;; amdgpu-corpus repo=ROCm/rocSPARSE kind=compiled arch=gfx906 opt=O3
	.amdgcn_target "amdgcn-amd-amdhsa--gfx906"
	.amdhsa_code_object_version 6
	.section	.text._ZN9rocsparseL22csrmvn_adaptive_kernelIiiffffEEvbT_PKS1_PjPKT0_NS_24const_host_device_scalarIT4_EES3_S7_PKT1_PKT2_SA_PT3_21rocsparse_index_base_b,"axG",@progbits,_ZN9rocsparseL22csrmvn_adaptive_kernelIiiffffEEvbT_PKS1_PjPKT0_NS_24const_host_device_scalarIT4_EES3_S7_PKT1_PKT2_SA_PT3_21rocsparse_index_base_b,comdat
	.globl	_ZN9rocsparseL22csrmvn_adaptive_kernelIiiffffEEvbT_PKS1_PjPKT0_NS_24const_host_device_scalarIT4_EES3_S7_PKT1_PKT2_SA_PT3_21rocsparse_index_base_b ; -- Begin function _ZN9rocsparseL22csrmvn_adaptive_kernelIiiffffEEvbT_PKS1_PjPKT0_NS_24const_host_device_scalarIT4_EES3_S7_PKT1_PKT2_SA_PT3_21rocsparse_index_base_b
	.p2align	8
	.type	_ZN9rocsparseL22csrmvn_adaptive_kernelIiiffffEEvbT_PKS1_PjPKT0_NS_24const_host_device_scalarIT4_EES3_S7_PKT1_PKT2_SA_PT3_21rocsparse_index_base_b,@function
_ZN9rocsparseL22csrmvn_adaptive_kernelIiiffffEEvbT_PKS1_PjPKT0_NS_24const_host_device_scalarIT4_EES3_S7_PKT1_PKT2_SA_PT3_21rocsparse_index_base_b: ; @_ZN9rocsparseL22csrmvn_adaptive_kernelIiiffffEEvbT_PKS1_PjPKT0_NS_24const_host_device_scalarIT4_EES3_S7_PKT1_PKT2_SA_PT3_21rocsparse_index_base_b
; %bb.0:
	s_load_dwordx2 s[44:45], s[4:5], 0x58
	s_load_dwordx2 s[42:43], s[4:5], 0x20
	;; [unrolled: 1-line block ×3, first 2 shown]
	s_waitcnt lgkmcnt(0)
	s_bitcmp1_b32 s45, 0
	s_cselect_b64 s[2:3], -1, 0
	s_xor_b64 s[0:1], s[2:3], -1
	s_and_b64 vcc, exec, s[2:3]
	s_cbranch_vccnz .LBB0_2
; %bb.1:
	s_load_dword s42, s[42:43], 0x0
.LBB0_2:
	s_andn2_b64 vcc, exec, s[0:1]
	s_cbranch_vccnz .LBB0_4
; %bb.3:
	s_load_dword s34, s[34:35], 0x0
.LBB0_4:
	s_waitcnt lgkmcnt(0)
	v_cmp_neq_f32_e64 s[0:1], s42, 0
	v_cmp_neq_f32_e64 s[2:3], s34, 1.0
	s_or_b64 s[0:1], s[0:1], s[2:3]
	s_andn2_b64 vcc, exec, s[0:1]
	s_cbranch_vccnz .LBB0_115
; %bb.5:
	s_load_dwordx2 s[0:1], s[4:5], 0x8
	s_load_dwordx2 s[8:9], s[4:5], 0x18
	s_ashr_i32 s7, s6, 31
	s_lshl_b64 s[48:49], s[6:7], 2
	s_waitcnt lgkmcnt(0)
	s_add_u32 s0, s0, s48
	s_addc_u32 s1, s1, s49
	s_load_dwordx2 s[38:39], s[0:1], 0x0
	s_load_dwordx2 s[36:37], s[4:5], 0x50
	s_load_dwordx8 s[24:31], s[4:5], 0x28
	s_waitcnt lgkmcnt(0)
	s_sub_i32 s2, s39, s38
	s_add_u32 s8, s8, s48
	s_mov_b32 s0, s38
	s_addc_u32 s9, s9, s49
	s_ashr_i32 s1, s38, 31
	s_lshl_b64 s[46:47], s[0:1], 2
	s_add_u32 s40, s24, s46
	s_addc_u32 s41, s25, s47
	s_load_dword s33, s[8:9], 0x0
	s_load_dword s35, s[40:41], 0x0
	s_cmp_lt_i32 s2, 2
	s_mov_b64 s[0:1], -1
	s_cbranch_scc0 .LBB0_71
; %bb.6:
	s_cmp_lg_u32 s2, 1
	s_cselect_b64 s[0:1], -1, 0
	s_waitcnt lgkmcnt(0)
	s_cmp_lg_u32 s33, 0
	s_cselect_b64 s[2:3], -1, 0
	s_or_b64 s[0:1], s[0:1], s[2:3]
	s_mov_b64 s[18:19], -1
	s_and_b64 vcc, exec, s[0:1]
	v_cmp_gt_u32_e64 s[0:1], 64, v0
	v_cmp_gt_u32_e64 s[2:3], 32, v0
	;; [unrolled: 1-line block ×6, first 2 shown]
	v_cmp_eq_u32_e64 s[16:17], 0, v0
	s_cbranch_vccnz .LBB0_34
; %bb.7:
	v_cmp_neq_f32_e64 s[20:21], s34, 0
	s_movk_i32 s7, 0x80
	v_cndmask_b32_e64 v1, 0, 1, s[20:21]
	v_subrev_u32_e32 v6, s44, v0
	v_lshlrev_b32_e32 v7, 2, v0
	v_cmp_gt_u32_e64 s[18:19], s7, v0
	v_mov_b32_e32 v8, 0
	v_cmp_ne_u32_e64 s[20:21], 1, v1
	s_mov_b32 s50, s38
	s_branch .LBB0_10
.LBB0_8:                                ;   in Loop: Header=BB0_10 Depth=1
	s_add_u32 s52, s36, s52
	s_addc_u32 s53, s37, s53
	s_waitcnt lgkmcnt(0)
	global_store_dword v8, v1, s[52:53]
.LBB0_9:                                ;   in Loop: Header=BB0_10 Depth=1
	s_or_b64 exec, exec, s[22:23]
	s_add_i32 s50, s50, 1
	s_cmp_ge_i32 s50, s39
	s_cbranch_scc1 .LBB0_33
.LBB0_10:                               ; =>This Loop Header: Depth=1
                                        ;     Child Loop BB0_12 Depth 2
	s_ashr_i32 s51, s50, 31
	s_lshl_b64 s[52:53], s[50:51], 2
	s_add_u32 s22, s24, s52
	s_addc_u32 s23, s25, s53
	s_load_dwordx2 s[54:55], s[22:23], 0x0
	v_mov_b32_e32 v9, 0
	s_waitcnt lgkmcnt(0)
	s_sub_i32 s7, s55, s44
	v_add_u32_e32 v1, s54, v6
	v_cmp_gt_i32_e32 vcc, s7, v1
	s_and_saveexec_b64 s[54:55], vcc
	s_cbranch_execz .LBB0_14
; %bb.11:                               ;   in Loop: Header=BB0_10 Depth=1
	v_ashrrev_i32_e32 v2, 31, v1
	v_lshlrev_b64 v[4:5], 2, v[1:2]
	v_mov_b32_e32 v3, s29
	v_add_co_u32_e32 v2, vcc, s28, v4
	v_addc_co_u32_e32 v3, vcc, v3, v5, vcc
	v_mov_b32_e32 v9, s27
	v_add_co_u32_e32 v4, vcc, s26, v4
	v_addc_co_u32_e32 v5, vcc, v9, v5, vcc
	v_mov_b32_e32 v9, 0
	s_mov_b64 s[56:57], 0
.LBB0_12:                               ;   Parent Loop BB0_10 Depth=1
                                        ; =>  This Inner Loop Header: Depth=2
	global_load_dword v10, v[4:5], off
	global_load_dword v12, v[2:3], off
	v_mov_b32_e32 v13, s31
	v_add_u32_e32 v1, 0x100, v1
	v_cmp_le_i32_e64 s[22:23], s7, v1
	s_or_b64 s[56:57], s[22:23], s[56:57]
	s_waitcnt vmcnt(1)
	v_subrev_u32_e32 v10, s44, v10
	v_ashrrev_i32_e32 v11, 31, v10
	v_lshlrev_b64 v[10:11], 2, v[10:11]
	v_add_co_u32_e32 v10, vcc, s30, v10
	v_addc_co_u32_e32 v11, vcc, v13, v11, vcc
	global_load_dword v10, v[10:11], off
	v_add_co_u32_e32 v2, vcc, 0x400, v2
	v_addc_co_u32_e32 v3, vcc, 0, v3, vcc
	v_add_co_u32_e32 v4, vcc, 0x400, v4
	s_waitcnt vmcnt(1)
	v_mul_f32_e32 v11, s42, v12
	v_addc_co_u32_e32 v5, vcc, 0, v5, vcc
	s_waitcnt vmcnt(0)
	v_fmac_f32_e32 v9, v11, v10
	s_andn2_b64 exec, exec, s[56:57]
	s_cbranch_execnz .LBB0_12
; %bb.13:                               ;   in Loop: Header=BB0_10 Depth=1
	s_or_b64 exec, exec, s[56:57]
.LBB0_14:                               ;   in Loop: Header=BB0_10 Depth=1
	s_or_b64 exec, exec, s[54:55]
	ds_write_b32 v7, v9
	s_waitcnt vmcnt(0) lgkmcnt(0)
	s_barrier
	s_and_saveexec_b64 s[22:23], s[18:19]
	s_cbranch_execz .LBB0_16
; %bb.15:                               ;   in Loop: Header=BB0_10 Depth=1
	ds_read2st64_b32 v[1:2], v7 offset1:2
	s_waitcnt lgkmcnt(0)
	v_add_f32_e32 v1, v1, v2
	ds_write_b32 v7, v1
.LBB0_16:                               ;   in Loop: Header=BB0_10 Depth=1
	s_or_b64 exec, exec, s[22:23]
	s_waitcnt lgkmcnt(0)
	s_barrier
	s_and_saveexec_b64 s[22:23], s[0:1]
	s_cbranch_execz .LBB0_18
; %bb.17:                               ;   in Loop: Header=BB0_10 Depth=1
	ds_read2st64_b32 v[1:2], v7 offset1:1
	s_waitcnt lgkmcnt(0)
	v_add_f32_e32 v1, v1, v2
	ds_write_b32 v7, v1
.LBB0_18:                               ;   in Loop: Header=BB0_10 Depth=1
	s_or_b64 exec, exec, s[22:23]
	s_waitcnt lgkmcnt(0)
	s_barrier
	s_and_saveexec_b64 s[22:23], s[2:3]
	s_cbranch_execz .LBB0_20
; %bb.19:                               ;   in Loop: Header=BB0_10 Depth=1
	ds_read2_b32 v[1:2], v7 offset1:32
	s_waitcnt lgkmcnt(0)
	v_add_f32_e32 v1, v1, v2
	ds_write_b32 v7, v1
.LBB0_20:                               ;   in Loop: Header=BB0_10 Depth=1
	s_or_b64 exec, exec, s[22:23]
	s_waitcnt lgkmcnt(0)
	s_barrier
	s_and_saveexec_b64 s[22:23], s[8:9]
	s_cbranch_execz .LBB0_22
; %bb.21:                               ;   in Loop: Header=BB0_10 Depth=1
	ds_read2_b32 v[1:2], v7 offset1:16
	s_waitcnt lgkmcnt(0)
	v_add_f32_e32 v1, v1, v2
	ds_write_b32 v7, v1
.LBB0_22:                               ;   in Loop: Header=BB0_10 Depth=1
	;; [unrolled: 11-line block ×5, first 2 shown]
	s_or_b64 exec, exec, s[22:23]
	s_waitcnt lgkmcnt(0)
	s_barrier
	s_and_saveexec_b64 s[22:23], s[16:17]
	s_cbranch_execz .LBB0_30
; %bb.29:                               ;   in Loop: Header=BB0_10 Depth=1
	ds_read_b64 v[1:2], v8
	s_waitcnt lgkmcnt(0)
	v_add_f32_e32 v1, v1, v2
	ds_write_b32 v8, v1
.LBB0_30:                               ;   in Loop: Header=BB0_10 Depth=1
	s_or_b64 exec, exec, s[22:23]
	s_waitcnt lgkmcnt(0)
	s_barrier
	s_and_saveexec_b64 s[22:23], s[16:17]
	s_cbranch_execz .LBB0_9
; %bb.31:                               ;   in Loop: Header=BB0_10 Depth=1
	ds_read_b32 v1, v8
	s_and_b64 vcc, exec, s[20:21]
	s_cbranch_vccnz .LBB0_8
; %bb.32:                               ;   in Loop: Header=BB0_10 Depth=1
	s_add_u32 s54, s36, s52
	s_addc_u32 s55, s37, s53
	global_load_dword v2, v8, s[54:55]
	s_waitcnt vmcnt(0) lgkmcnt(0)
	v_fmac_f32_e32 v1, s34, v2
	s_branch .LBB0_8
.LBB0_33:
	s_mov_b64 s[18:19], 0
.LBB0_34:
	s_and_b64 vcc, exec, s[18:19]
	s_cbranch_vccz .LBB0_70
; %bb.35:
	s_load_dwordx2 s[8:9], s[4:5], 0x10
	s_sub_i32 s6, s6, s33
	v_mov_b32_e32 v7, 0
	v_or_b32_e32 v1, s33, v0
	v_cmp_eq_u32_e32 vcc, 0, v1
	s_waitcnt lgkmcnt(0)
	s_add_u32 s2, s8, s48
	s_addc_u32 s3, s9, s49
	global_load_dword v6, v7, s[2:3]
	s_and_saveexec_b64 s[0:1], vcc
	s_cbranch_execz .LBB0_39
; %bb.36:
	s_add_u32 s12, s36, s46
	s_addc_u32 s13, s37, s47
	v_mov_b32_e32 v3, 0
	global_load_dword v1, v3, s[12:13]
	s_mov_b64 s[10:11], exec
	v_mbcnt_lo_u32_b32 v4, s10, 0
	v_mbcnt_hi_u32_b32 v4, s11, v4
	v_add_f32_e64 v2, s34, -1.0
	v_cmp_eq_u32_e32 vcc, 0, v4
	s_waitcnt vmcnt(0) expcnt(0) lgkmcnt(0)
	s_and_saveexec_b64 s[12:13], vcc
	s_cbranch_execz .LBB0_38
; %bb.37:
	s_ashr_i32 s7, s6, 31
	s_lshl_b64 s[14:15], s[6:7], 2
	s_add_u32 s14, s8, s14
	s_addc_u32 s15, s9, s15
	s_bcnt1_i32_b64 s7, s[10:11]
	s_and_b32 s7, s7, 1
	v_mov_b32_e32 v4, s7
	global_atomic_xor v3, v4, s[14:15]
.LBB0_38:
	s_or_b64 exec, exec, s[12:13]
	v_mul_f32_e32 v7, v2, v1
.LBB0_39:
	s_or_b64 exec, exec, s[0:1]
	s_load_dword s1, s[40:41], 0x4
	s_mul_i32 s0, s33, 0xc00
	s_sub_i32 s7, s35, s44
	s_add_i32 s0, s7, s0
	v_add_u32_e32 v1, s0, v0
	s_waitcnt lgkmcnt(0)
	s_sub_i32 s1, s1, s44
	v_cmp_gt_i32_e32 vcc, s1, v1
	s_and_saveexec_b64 s[10:11], vcc
	s_cbranch_execz .LBB0_43
; %bb.40:
	v_ashrrev_i32_e32 v2, 31, v1
	v_lshlrev_b64 v[4:5], 2, v[1:2]
	v_mov_b32_e32 v3, s29
	v_add_co_u32_e32 v2, vcc, s28, v4
	v_addc_co_u32_e32 v3, vcc, v3, v5, vcc
	s_addk_i32 s0, 0xc00
	v_mov_b32_e32 v8, s27
	v_add_co_u32_e32 v4, vcc, s26, v4
	s_min_i32 s7, s0, s1
	v_addc_co_u32_e32 v5, vcc, v8, v5, vcc
	s_mov_b64 s[12:13], 0
	v_mov_b32_e32 v8, s31
.LBB0_41:                               ; =>This Inner Loop Header: Depth=1
	global_load_dword v9, v[4:5], off
	global_load_dword v11, v[2:3], off
	v_add_u32_e32 v1, 0x100, v1
	v_cmp_le_i32_e64 s[0:1], s7, v1
	s_or_b64 s[12:13], s[0:1], s[12:13]
	s_waitcnt vmcnt(1)
	v_subrev_u32_e32 v9, s44, v9
	v_ashrrev_i32_e32 v10, 31, v9
	v_lshlrev_b64 v[9:10], 2, v[9:10]
	v_add_co_u32_e32 v9, vcc, s30, v9
	v_addc_co_u32_e32 v10, vcc, v8, v10, vcc
	global_load_dword v9, v[9:10], off
	v_add_co_u32_e32 v2, vcc, 0x400, v2
	v_addc_co_u32_e32 v3, vcc, 0, v3, vcc
	v_add_co_u32_e32 v4, vcc, 0x400, v4
	s_waitcnt vmcnt(1)
	v_mul_f32_e32 v10, s42, v11
	v_addc_co_u32_e32 v5, vcc, 0, v5, vcc
	s_waitcnt vmcnt(0)
	v_fmac_f32_e32 v7, v10, v9
	s_andn2_b64 exec, exec, s[12:13]
	s_cbranch_execnz .LBB0_41
; %bb.42:
	s_or_b64 exec, exec, s[12:13]
.LBB0_43:
	s_or_b64 exec, exec, s[10:11]
	s_movk_i32 s0, 0x80
	v_lshlrev_b32_e32 v1, 2, v0
	v_cmp_gt_u32_e32 vcc, s0, v0
	ds_write_b32 v1, v7
	s_waitcnt vmcnt(0) lgkmcnt(0)
	s_barrier
	s_and_saveexec_b64 s[0:1], vcc
	s_cbranch_execz .LBB0_45
; %bb.44:
	ds_read2st64_b32 v[2:3], v1 offset1:2
	s_waitcnt lgkmcnt(0)
	v_add_f32_e32 v2, v2, v3
	ds_write_b32 v1, v2
.LBB0_45:
	s_or_b64 exec, exec, s[0:1]
	v_cmp_gt_u32_e32 vcc, 64, v0
	s_waitcnt lgkmcnt(0)
	s_barrier
	s_and_saveexec_b64 s[0:1], vcc
	s_cbranch_execz .LBB0_47
; %bb.46:
	ds_read2st64_b32 v[2:3], v1 offset1:1
	s_waitcnt lgkmcnt(0)
	v_add_f32_e32 v2, v2, v3
	ds_write_b32 v1, v2
.LBB0_47:
	s_or_b64 exec, exec, s[0:1]
	v_cmp_gt_u32_e32 vcc, 32, v0
	s_waitcnt lgkmcnt(0)
	s_barrier
	s_and_saveexec_b64 s[0:1], vcc
	s_cbranch_execz .LBB0_49
; %bb.48:
	ds_read2_b32 v[2:3], v1 offset1:32
	s_waitcnt lgkmcnt(0)
	v_add_f32_e32 v2, v2, v3
	ds_write_b32 v1, v2
.LBB0_49:
	s_or_b64 exec, exec, s[0:1]
	v_cmp_gt_u32_e32 vcc, 16, v0
	s_waitcnt lgkmcnt(0)
	s_barrier
	s_and_saveexec_b64 s[0:1], vcc
	s_cbranch_execz .LBB0_51
; %bb.50:
	ds_read2_b32 v[2:3], v1 offset1:16
	s_waitcnt lgkmcnt(0)
	v_add_f32_e32 v2, v2, v3
	ds_write_b32 v1, v2
.LBB0_51:
	;; [unrolled: 12-line block ×5, first 2 shown]
	s_or_b64 exec, exec, s[0:1]
	v_cmp_eq_u32_e32 vcc, 0, v0
	s_waitcnt lgkmcnt(0)
	s_barrier
	s_and_saveexec_b64 s[0:1], vcc
	s_cbranch_execz .LBB0_59
; %bb.58:
	v_mov_b32_e32 v3, 0
	ds_read_b64 v[1:2], v3
	s_waitcnt lgkmcnt(0)
	v_add_f32_e32 v1, v1, v2
	ds_write_b32 v3, v1
.LBB0_59:
	s_or_b64 exec, exec, s[0:1]
	s_waitcnt lgkmcnt(0)
	s_barrier
	s_and_saveexec_b64 s[0:1], vcc
	s_cbranch_execz .LBB0_69
; %bb.60:
	s_cmp_eq_u32 s33, 0
	s_cbranch_scc1 .LBB0_66
; %bb.61:
	s_ashr_i32 s7, s6, 31
	s_lshl_b64 s[6:7], s[6:7], 2
	s_add_u32 s6, s8, s6
	s_addc_u32 s7, s9, s7
	v_mov_b32_e32 v1, 0
	s_branch .LBB0_63
.LBB0_62:                               ;   in Loop: Header=BB0_63 Depth=1
	s_or_b64 exec, exec, s[8:9]
	s_waitcnt vmcnt(0)
	v_readfirstlane_b32 s8, v2
	v_cmp_eq_u32_e32 vcc, s8, v6
	s_cbranch_vccz .LBB0_65
.LBB0_63:                               ; =>This Inner Loop Header: Depth=1
	v_mbcnt_lo_u32_b32 v2, exec_lo, 0
	v_mbcnt_hi_u32_b32 v2, exec_hi, v2
	v_cmp_eq_u32_e32 vcc, 0, v2
                                        ; implicit-def: $vgpr2
	s_and_saveexec_b64 s[8:9], vcc
	s_cbranch_execz .LBB0_62
; %bb.64:                               ;   in Loop: Header=BB0_63 Depth=1
	global_load_dword v2, v1, s[6:7] glc
	s_branch .LBB0_62
.LBB0_65:
	v_mov_b32_e32 v1, 0
	global_load_ushort v2, v1, s[2:3]
	s_waitcnt vmcnt(0)
	v_xor_b32_e32 v2, 1, v2
	global_store_short v1, v2, s[2:3]
.LBB0_66:
	s_mov_b64 s[6:7], exec
	v_mbcnt_lo_u32_b32 v1, s6, 0
	v_mbcnt_hi_u32_b32 v1, s7, v1
	v_cmp_eq_u32_e32 vcc, 0, v1
	s_and_b64 s[2:3], exec, vcc
	s_mov_b64 exec, s[2:3]
	s_cbranch_execz .LBB0_69
; %bb.67:
	s_add_u32 s2, s36, s46
	s_addc_u32 s3, s37, s47
	v_mov_b32_e32 v3, 0
	global_load_dword v2, v3, s[2:3]
	ds_read_b32 v1, v3
	s_bcnt1_i32_b64 s6, s[6:7]
	v_cvt_f32_ubyte0_e32 v4, s6
	s_mov_b64 s[6:7], 0
	s_waitcnt lgkmcnt(0)
	v_mul_f32_e32 v4, v1, v4
.LBB0_68:                               ; =>This Inner Loop Header: Depth=1
	s_waitcnt vmcnt(0)
	v_add_f32_e32 v1, v2, v4
	global_atomic_cmpswap v1, v3, v[1:2], s[2:3] glc
	s_waitcnt vmcnt(0)
	v_cmp_eq_u32_e32 vcc, v1, v2
	s_or_b64 s[6:7], vcc, s[6:7]
	v_mov_b32_e32 v2, v1
	s_andn2_b64 exec, exec, s[6:7]
	s_cbranch_execnz .LBB0_68
.LBB0_69:
	s_or_b64 exec, exec, s[0:1]
.LBB0_70:
	s_mov_b64 s[0:1], 0
.LBB0_71:
	s_andn2_b64 vcc, exec, s[0:1]
	s_cbranch_vccnz .LBB0_115
; %bb.72:
	s_load_dword s0, s[4:5], 0x4
	v_subrev_u32_e32 v1, s44, v0
	s_waitcnt lgkmcnt(0)
	v_add_u32_e32 v1, s35, v1
	v_add_u32_e32 v2, 0x300, v1
	v_cmp_le_i32_e32 vcc, s0, v2
	s_and_saveexec_b64 s[0:1], vcc
	s_xor_b64 s[0:1], exec, s[0:1]
	s_cbranch_execz .LBB0_77
; %bb.73:
	s_ashr_i32 s3, s39, 31
	s_mov_b32 s2, s39
	s_lshl_b64 s[2:3], s[2:3], 2
	s_add_u32 s2, s24, s2
	s_addc_u32 s3, s25, s3
	s_load_dword s2, s[2:3], 0x0
	s_waitcnt lgkmcnt(0)
	s_sub_i32 s6, s2, s44
	v_cmp_gt_i32_e32 vcc, s6, v1
	s_and_saveexec_b64 s[2:3], vcc
	s_cbranch_execz .LBB0_76
; %bb.74:
	v_lshlrev_b32_e32 v3, 2, v0
	s_mov_b64 s[4:5], 0
	v_mov_b32_e32 v4, s29
	v_mov_b32_e32 v5, s27
	;; [unrolled: 1-line block ×3, first 2 shown]
.LBB0_75:                               ; =>This Inner Loop Header: Depth=1
	v_ashrrev_i32_e32 v2, 31, v1
	v_lshlrev_b64 v[7:8], 2, v[1:2]
	v_add_u32_e32 v1, 0x100, v1
	v_add_co_u32_e32 v9, vcc, s26, v7
	v_addc_co_u32_e32 v10, vcc, v5, v8, vcc
	global_load_dword v2, v[9:10], off
	v_add_co_u32_e32 v7, vcc, s28, v7
	v_addc_co_u32_e32 v8, vcc, v4, v8, vcc
	global_load_dword v9, v[7:8], off
	s_waitcnt vmcnt(1)
	v_subrev_u32_e32 v7, s44, v2
	v_ashrrev_i32_e32 v8, 31, v7
	v_lshlrev_b64 v[7:8], 2, v[7:8]
	v_add_co_u32_e32 v7, vcc, s30, v7
	v_addc_co_u32_e32 v8, vcc, v6, v8, vcc
	global_load_dword v2, v[7:8], off
	s_waitcnt vmcnt(1)
	v_mul_f32_e32 v7, s42, v9
	v_cmp_le_i32_e32 vcc, s6, v1
	s_or_b64 s[4:5], vcc, s[4:5]
	s_waitcnt vmcnt(0)
	v_mul_f32_e32 v2, v7, v2
	ds_write_b32 v3, v2
	v_add_u32_e32 v3, 0x400, v3
	s_andn2_b64 exec, exec, s[4:5]
	s_cbranch_execnz .LBB0_75
.LBB0_76:
	s_or_b64 exec, exec, s[2:3]
                                        ; implicit-def: $vgpr1
.LBB0_77:
	s_or_saveexec_b64 s[0:1], s[0:1]
	v_lshlrev_b32_e32 v6, 2, v0
	s_xor_b64 exec, exec, s[0:1]
	s_cbranch_execz .LBB0_79
; %bb.78:
	v_ashrrev_i32_e32 v2, 31, v1
	v_lshlrev_b64 v[1:2], 2, v[1:2]
	v_mov_b32_e32 v4, s27
	v_add_co_u32_e32 v3, vcc, s26, v1
	v_addc_co_u32_e32 v4, vcc, v4, v2, vcc
	global_load_dword v5, v[3:4], off
	global_load_dword v7, v[3:4], off offset:1024
	global_load_dword v8, v[3:4], off offset:2048
	;; [unrolled: 1-line block ×3, first 2 shown]
	v_mov_b32_e32 v3, s29
	v_add_co_u32_e32 v1, vcc, s28, v1
	v_addc_co_u32_e32 v2, vcc, v3, v2, vcc
	global_load_dword v15, v[1:2], off
	global_load_dword v16, v[1:2], off offset:1024
	global_load_dword v17, v[1:2], off offset:2048
	;; [unrolled: 1-line block ×3, first 2 shown]
	v_mov_b32_e32 v11, s31
	v_mov_b32_e32 v12, s31
	v_mov_b32_e32 v13, s31
	v_mov_b32_e32 v14, s31
	s_waitcnt vmcnt(7)
	v_subrev_u32_e32 v1, s44, v5
	v_ashrrev_i32_e32 v2, 31, v1
	s_waitcnt vmcnt(6)
	v_subrev_u32_e32 v3, s44, v7
	v_lshlrev_b64 v[1:2], 2, v[1:2]
	v_ashrrev_i32_e32 v4, 31, v3
	s_waitcnt vmcnt(5)
	v_subrev_u32_e32 v7, s44, v8
	v_lshlrev_b64 v[3:4], 2, v[3:4]
	v_add_co_u32_e32 v1, vcc, s30, v1
	v_ashrrev_i32_e32 v8, 31, v7
	v_addc_co_u32_e32 v2, vcc, v11, v2, vcc
	s_waitcnt vmcnt(4)
	v_subrev_u32_e32 v9, s44, v9
	v_lshlrev_b64 v[7:8], 2, v[7:8]
	v_add_co_u32_e32 v3, vcc, s30, v3
	v_ashrrev_i32_e32 v10, 31, v9
	v_addc_co_u32_e32 v4, vcc, v12, v4, vcc
	v_lshlrev_b64 v[9:10], 2, v[9:10]
	v_add_co_u32_e32 v7, vcc, s30, v7
	v_addc_co_u32_e32 v8, vcc, v13, v8, vcc
	v_add_co_u32_e32 v9, vcc, s30, v9
	v_addc_co_u32_e32 v10, vcc, v14, v10, vcc
	global_load_dword v5, v[1:2], off
	global_load_dword v11, v[3:4], off
	;; [unrolled: 1-line block ×4, first 2 shown]
	s_waitcnt vmcnt(7)
	v_mul_f32_e32 v1, s42, v15
	s_waitcnt vmcnt(6)
	v_mul_f32_e32 v2, s42, v16
	;; [unrolled: 2-line block ×8, first 2 shown]
	ds_write2st64_b32 v6, v1, v2 offset1:4
	ds_write2st64_b32 v6, v3, v4 offset0:8 offset1:12
.LBB0_79:
	s_or_b64 exec, exec, s[0:1]
	s_cmp_lt_i32 s33, 2
	s_mov_b64 s[0:1], -1
	s_waitcnt vmcnt(0) lgkmcnt(0)
	s_barrier
	s_cbranch_scc0 .LBB0_90
; %bb.80:
	v_add_u32_e32 v1, s38, v0
	v_cmp_gt_i32_e32 vcc, s39, v1
	s_and_saveexec_b64 s[0:1], vcc
	s_cbranch_execz .LBB0_89
; %bb.81:
	s_lshl_b32 s4, s35, 2
	v_cmp_neq_f32_e64 s[2:3], s34, 0
	s_sub_i32 s10, 0, s4
	s_mov_b64 s[4:5], 0
	v_mov_b32_e32 v7, s25
	v_mov_b32_e32 v8, s37
	s_branch .LBB0_83
.LBB0_82:                               ;   in Loop: Header=BB0_83 Depth=1
	v_add_co_u32_e32 v2, vcc, s36, v2
	v_addc_co_u32_e32 v3, vcc, v8, v3, vcc
	v_add_u32_e32 v1, 0x100, v1
	v_cmp_le_i32_e32 vcc, s39, v1
	s_or_b64 s[4:5], vcc, s[4:5]
	global_store_dword v[2:3], v9, off
	s_andn2_b64 exec, exec, s[4:5]
	s_cbranch_execz .LBB0_89
.LBB0_83:                               ; =>This Loop Header: Depth=1
                                        ;     Child Loop BB0_85 Depth 2
	v_ashrrev_i32_e32 v2, 31, v1
	v_lshlrev_b64 v[2:3], 2, v[1:2]
	v_mov_b32_e32 v9, 0
	v_add_co_u32_e32 v4, vcc, s24, v2
	v_addc_co_u32_e32 v5, vcc, v7, v3, vcc
	global_load_dwordx2 v[4:5], v[4:5], off
	s_waitcnt vmcnt(0)
	v_cmp_lt_i32_e32 vcc, v4, v5
	s_and_saveexec_b64 s[6:7], vcc
	s_cbranch_execz .LBB0_87
; %bb.84:                               ;   in Loop: Header=BB0_83 Depth=1
	v_subrev_u32_e32 v5, s35, v5
	v_subrev_u32_e32 v10, s35, v4
	v_lshl_add_u32 v4, v4, 2, s10
	v_mov_b32_e32 v9, 0
	s_mov_b64 s[8:9], 0
.LBB0_85:                               ;   Parent Loop BB0_83 Depth=1
                                        ; =>  This Inner Loop Header: Depth=2
	ds_read_b32 v11, v4
	v_add_u32_e32 v10, 1, v10
	v_cmp_ge_i32_e32 vcc, v10, v5
	v_add_u32_e32 v4, 4, v4
	s_or_b64 s[8:9], vcc, s[8:9]
	s_waitcnt lgkmcnt(0)
	v_add_f32_e32 v9, v9, v11
	s_andn2_b64 exec, exec, s[8:9]
	s_cbranch_execnz .LBB0_85
; %bb.86:                               ;   in Loop: Header=BB0_83 Depth=1
	s_or_b64 exec, exec, s[8:9]
.LBB0_87:                               ;   in Loop: Header=BB0_83 Depth=1
	s_or_b64 exec, exec, s[6:7]
	s_and_b64 vcc, exec, s[2:3]
	s_cbranch_vccz .LBB0_82
; %bb.88:                               ;   in Loop: Header=BB0_83 Depth=1
	v_mov_b32_e32 v5, s37
	v_add_co_u32_e32 v4, vcc, s36, v2
	v_addc_co_u32_e32 v5, vcc, v5, v3, vcc
	global_load_dword v4, v[4:5], off
	s_waitcnt vmcnt(0)
	v_fmac_f32_e32 v9, s34, v4
	s_branch .LBB0_82
.LBB0_89:
	s_or_b64 exec, exec, s[0:1]
	s_mov_b64 s[0:1], 0
.LBB0_90:
	s_andn2_b64 vcc, exec, s[0:1]
	s_cbranch_vccnz .LBB0_115
; %bb.91:
	s_flbit_i32_b32 s0, s33
	s_xor_b32 s0, s0, 31
	v_lshrrev_b32_e32 v3, s0, v0
	v_add_u32_e32 v1, s38, v3
	s_add_i32 s0, s33, -1
	v_and_b32_e32 v0, s0, v0
	v_cmp_le_i32_e32 vcc, s39, v1
	v_cmp_gt_i32_e64 s[0:1], s39, v1
	v_mov_b32_e32 v2, 0
	s_and_saveexec_b64 s[2:3], s[0:1]
	s_cbranch_execz .LBB0_97
; %bb.92:
	v_lshlrev_b32_e32 v2, 2, v3
	global_load_dwordx2 v[2:3], v2, s[40:41]
	v_subrev_u32_e32 v4, s35, v0
	s_waitcnt vmcnt(0)
	v_subrev_u32_e32 v3, s35, v3
	v_add_u32_e32 v4, v2, v4
	v_cmp_lt_i32_e64 s[0:1], v4, v3
	v_mov_b32_e32 v2, 0
	s_and_saveexec_b64 s[4:5], s[0:1]
	s_cbranch_execz .LBB0_96
; %bb.93:
	v_lshlrev_b32_e32 v5, 2, v4
	s_lshl_b32 s8, s33, 2
	v_mov_b32_e32 v2, 0
	s_mov_b64 s[6:7], 0
.LBB0_94:                               ; =>This Inner Loop Header: Depth=1
	ds_read_b32 v7, v5
	v_add_u32_e32 v4, s33, v4
	v_cmp_ge_i32_e64 s[0:1], v4, v3
	v_add_u32_e32 v5, s8, v5
	s_or_b64 s[6:7], s[0:1], s[6:7]
	s_waitcnt lgkmcnt(0)
	v_add_f32_e32 v2, v2, v7
	s_andn2_b64 exec, exec, s[6:7]
	s_cbranch_execnz .LBB0_94
; %bb.95:
	s_or_b64 exec, exec, s[6:7]
.LBB0_96:
	s_or_b64 exec, exec, s[4:5]
.LBB0_97:
	s_or_b64 exec, exec, s[2:3]
	s_cmpk_lt_u32 s33, 0x81
	s_waitcnt vmcnt(0)
	s_barrier
	ds_write_b32 v6, v2
	s_waitcnt lgkmcnt(0)
	s_barrier
	s_cbranch_scc1 .LBB0_99
; %bb.98:
	ds_read_b32 v3, v6 offset:512
	s_waitcnt lgkmcnt(0)
	s_barrier
	v_add_f32_e32 v2, v2, v3
	ds_write_b32 v6, v2
.LBB0_99:
	s_cmpk_lt_u32 s33, 0x41
	s_waitcnt lgkmcnt(0)
	s_barrier
	s_cbranch_scc1 .LBB0_101
; %bb.100:
	ds_read_b32 v3, v6 offset:256
	s_waitcnt lgkmcnt(0)
	s_barrier
	v_add_f32_e32 v2, v2, v3
	ds_write_b32 v6, v2
.LBB0_101:
	s_cmp_lt_u32 s33, 33
	s_waitcnt lgkmcnt(0)
	s_barrier
	s_cbranch_scc1 .LBB0_103
; %bb.102:
	ds_read_b32 v3, v6 offset:128
	s_waitcnt lgkmcnt(0)
	s_barrier
	v_add_f32_e32 v2, v2, v3
	ds_write_b32 v6, v2
.LBB0_103:
	s_cmp_lt_u32 s33, 17
	;; [unrolled: 11-line block ×4, first 2 shown]
	s_waitcnt lgkmcnt(0)
	s_barrier
	s_cbranch_scc1 .LBB0_109
; %bb.108:
	ds_read_b32 v3, v6 offset:16
	s_waitcnt lgkmcnt(0)
	s_barrier
	v_add_f32_e32 v2, v2, v3
	ds_write_b32 v6, v2
.LBB0_109:
	s_cmp_eq_u32 s33, 2
	s_waitcnt lgkmcnt(0)
	s_barrier
	s_cbranch_scc1 .LBB0_111
; %bb.110:
	ds_read_b32 v3, v6 offset:8
	s_waitcnt lgkmcnt(0)
	s_barrier
	v_add_f32_e32 v2, v2, v3
	ds_write_b32 v6, v2
.LBB0_111:
	s_waitcnt lgkmcnt(0)
	s_barrier
	ds_read_b32 v3, v6 offset:4
	v_cmp_eq_u32_e64 s[0:1], 0, v0
	s_xor_b64 s[2:3], vcc, -1
	s_and_b64 s[0:1], s[0:1], s[2:3]
	s_waitcnt lgkmcnt(0)
	v_add_f32_e32 v3, v2, v3
	s_barrier
	ds_write_b32 v6, v3
	s_and_saveexec_b64 s[2:3], s[0:1]
	s_cbranch_execz .LBB0_115
; %bb.112:
	v_ashrrev_i32_e32 v2, 31, v1
	v_cmp_eq_f32_e64 s[0:1], s34, 0
	v_lshlrev_b64 v[0:1], 2, v[1:2]
	s_and_b64 vcc, exec, s[0:1]
	s_cbranch_vccnz .LBB0_114
; %bb.113:
	v_mov_b32_e32 v2, s37
	v_add_co_u32_e32 v4, vcc, s36, v0
	v_addc_co_u32_e32 v5, vcc, v2, v1, vcc
	global_load_dword v2, v[4:5], off
	s_waitcnt vmcnt(0)
	v_fmac_f32_e32 v3, s34, v2
.LBB0_114:
	v_mov_b32_e32 v2, s37
	v_add_co_u32_e32 v0, vcc, s36, v0
	v_addc_co_u32_e32 v1, vcc, v2, v1, vcc
	global_store_dword v[0:1], v3, off
.LBB0_115:
	s_endpgm
	.section	.rodata,"a",@progbits
	.p2align	6, 0x0
	.amdhsa_kernel _ZN9rocsparseL22csrmvn_adaptive_kernelIiiffffEEvbT_PKS1_PjPKT0_NS_24const_host_device_scalarIT4_EES3_S7_PKT1_PKT2_SA_PT3_21rocsparse_index_base_b
		.amdhsa_group_segment_fixed_size 4096
		.amdhsa_private_segment_fixed_size 0
		.amdhsa_kernarg_size 96
		.amdhsa_user_sgpr_count 6
		.amdhsa_user_sgpr_private_segment_buffer 1
		.amdhsa_user_sgpr_dispatch_ptr 0
		.amdhsa_user_sgpr_queue_ptr 0
		.amdhsa_user_sgpr_kernarg_segment_ptr 1
		.amdhsa_user_sgpr_dispatch_id 0
		.amdhsa_user_sgpr_flat_scratch_init 0
		.amdhsa_user_sgpr_private_segment_size 0
		.amdhsa_uses_dynamic_stack 0
		.amdhsa_system_sgpr_private_segment_wavefront_offset 0
		.amdhsa_system_sgpr_workgroup_id_x 1
		.amdhsa_system_sgpr_workgroup_id_y 0
		.amdhsa_system_sgpr_workgroup_id_z 0
		.amdhsa_system_sgpr_workgroup_info 0
		.amdhsa_system_vgpr_workitem_id 0
		.amdhsa_next_free_vgpr 19
		.amdhsa_next_free_sgpr 58
		.amdhsa_reserve_vcc 1
		.amdhsa_reserve_flat_scratch 0
		.amdhsa_float_round_mode_32 0
		.amdhsa_float_round_mode_16_64 0
		.amdhsa_float_denorm_mode_32 3
		.amdhsa_float_denorm_mode_16_64 3
		.amdhsa_dx10_clamp 1
		.amdhsa_ieee_mode 1
		.amdhsa_fp16_overflow 0
		.amdhsa_exception_fp_ieee_invalid_op 0
		.amdhsa_exception_fp_denorm_src 0
		.amdhsa_exception_fp_ieee_div_zero 0
		.amdhsa_exception_fp_ieee_overflow 0
		.amdhsa_exception_fp_ieee_underflow 0
		.amdhsa_exception_fp_ieee_inexact 0
		.amdhsa_exception_int_div_zero 0
	.end_amdhsa_kernel
	.section	.text._ZN9rocsparseL22csrmvn_adaptive_kernelIiiffffEEvbT_PKS1_PjPKT0_NS_24const_host_device_scalarIT4_EES3_S7_PKT1_PKT2_SA_PT3_21rocsparse_index_base_b,"axG",@progbits,_ZN9rocsparseL22csrmvn_adaptive_kernelIiiffffEEvbT_PKS1_PjPKT0_NS_24const_host_device_scalarIT4_EES3_S7_PKT1_PKT2_SA_PT3_21rocsparse_index_base_b,comdat
.Lfunc_end0:
	.size	_ZN9rocsparseL22csrmvn_adaptive_kernelIiiffffEEvbT_PKS1_PjPKT0_NS_24const_host_device_scalarIT4_EES3_S7_PKT1_PKT2_SA_PT3_21rocsparse_index_base_b, .Lfunc_end0-_ZN9rocsparseL22csrmvn_adaptive_kernelIiiffffEEvbT_PKS1_PjPKT0_NS_24const_host_device_scalarIT4_EES3_S7_PKT1_PKT2_SA_PT3_21rocsparse_index_base_b
                                        ; -- End function
	.set _ZN9rocsparseL22csrmvn_adaptive_kernelIiiffffEEvbT_PKS1_PjPKT0_NS_24const_host_device_scalarIT4_EES3_S7_PKT1_PKT2_SA_PT3_21rocsparse_index_base_b.num_vgpr, 19
	.set _ZN9rocsparseL22csrmvn_adaptive_kernelIiiffffEEvbT_PKS1_PjPKT0_NS_24const_host_device_scalarIT4_EES3_S7_PKT1_PKT2_SA_PT3_21rocsparse_index_base_b.num_agpr, 0
	.set _ZN9rocsparseL22csrmvn_adaptive_kernelIiiffffEEvbT_PKS1_PjPKT0_NS_24const_host_device_scalarIT4_EES3_S7_PKT1_PKT2_SA_PT3_21rocsparse_index_base_b.numbered_sgpr, 58
	.set _ZN9rocsparseL22csrmvn_adaptive_kernelIiiffffEEvbT_PKS1_PjPKT0_NS_24const_host_device_scalarIT4_EES3_S7_PKT1_PKT2_SA_PT3_21rocsparse_index_base_b.num_named_barrier, 0
	.set _ZN9rocsparseL22csrmvn_adaptive_kernelIiiffffEEvbT_PKS1_PjPKT0_NS_24const_host_device_scalarIT4_EES3_S7_PKT1_PKT2_SA_PT3_21rocsparse_index_base_b.private_seg_size, 0
	.set _ZN9rocsparseL22csrmvn_adaptive_kernelIiiffffEEvbT_PKS1_PjPKT0_NS_24const_host_device_scalarIT4_EES3_S7_PKT1_PKT2_SA_PT3_21rocsparse_index_base_b.uses_vcc, 1
	.set _ZN9rocsparseL22csrmvn_adaptive_kernelIiiffffEEvbT_PKS1_PjPKT0_NS_24const_host_device_scalarIT4_EES3_S7_PKT1_PKT2_SA_PT3_21rocsparse_index_base_b.uses_flat_scratch, 0
	.set _ZN9rocsparseL22csrmvn_adaptive_kernelIiiffffEEvbT_PKS1_PjPKT0_NS_24const_host_device_scalarIT4_EES3_S7_PKT1_PKT2_SA_PT3_21rocsparse_index_base_b.has_dyn_sized_stack, 0
	.set _ZN9rocsparseL22csrmvn_adaptive_kernelIiiffffEEvbT_PKS1_PjPKT0_NS_24const_host_device_scalarIT4_EES3_S7_PKT1_PKT2_SA_PT3_21rocsparse_index_base_b.has_recursion, 0
	.set _ZN9rocsparseL22csrmvn_adaptive_kernelIiiffffEEvbT_PKS1_PjPKT0_NS_24const_host_device_scalarIT4_EES3_S7_PKT1_PKT2_SA_PT3_21rocsparse_index_base_b.has_indirect_call, 0
	.section	.AMDGPU.csdata,"",@progbits
; Kernel info:
; codeLenInByte = 3672
; TotalNumSgprs: 62
; NumVgprs: 19
; ScratchSize: 0
; MemoryBound: 0
; FloatMode: 240
; IeeeMode: 1
; LDSByteSize: 4096 bytes/workgroup (compile time only)
; SGPRBlocks: 7
; VGPRBlocks: 4
; NumSGPRsForWavesPerEU: 62
; NumVGPRsForWavesPerEU: 19
; Occupancy: 10
; WaveLimiterHint : 1
; COMPUTE_PGM_RSRC2:SCRATCH_EN: 0
; COMPUTE_PGM_RSRC2:USER_SGPR: 6
; COMPUTE_PGM_RSRC2:TRAP_HANDLER: 0
; COMPUTE_PGM_RSRC2:TGID_X_EN: 1
; COMPUTE_PGM_RSRC2:TGID_Y_EN: 0
; COMPUTE_PGM_RSRC2:TGID_Z_EN: 0
; COMPUTE_PGM_RSRC2:TIDIG_COMP_CNT: 0
	.section	.text._ZN9rocsparseL22partial_scale_y_kernelIiffEEvT_S1_S1_NS_24const_host_device_scalarIT1_EEPT0_b,"axG",@progbits,_ZN9rocsparseL22partial_scale_y_kernelIiffEEvT_S1_S1_NS_24const_host_device_scalarIT1_EEPT0_b,comdat
	.globl	_ZN9rocsparseL22partial_scale_y_kernelIiffEEvT_S1_S1_NS_24const_host_device_scalarIT1_EEPT0_b ; -- Begin function _ZN9rocsparseL22partial_scale_y_kernelIiffEEvT_S1_S1_NS_24const_host_device_scalarIT1_EEPT0_b
	.p2align	8
	.type	_ZN9rocsparseL22partial_scale_y_kernelIiffEEvT_S1_S1_NS_24const_host_device_scalarIT1_EEPT0_b,@function
_ZN9rocsparseL22partial_scale_y_kernelIiffEEvT_S1_S1_NS_24const_host_device_scalarIT1_EEPT0_b: ; @_ZN9rocsparseL22partial_scale_y_kernelIiffEEvT_S1_S1_NS_24const_host_device_scalarIT1_EEPT0_b
; %bb.0:
	s_load_dword s0, s[4:5], 0x20
	s_load_dwordx2 s[8:9], s[4:5], 0x10
	s_waitcnt lgkmcnt(0)
	s_bitcmp1_b32 s0, 0
	s_cselect_b64 s[0:1], -1, 0
	s_and_b64 vcc, exec, s[0:1]
	s_cbranch_vccnz .LBB1_2
; %bb.1:
	s_load_dword s8, s[8:9], 0x0
.LBB1_2:
	s_waitcnt lgkmcnt(0)
	v_cmp_eq_f32_e64 s[0:1], s8, 1.0
	s_and_b64 vcc, exec, s[0:1]
	s_cbranch_vccnz .LBB1_12
; %bb.3:
	s_load_dwordx4 s[0:3], s[4:5], 0x0
	v_lshl_or_b32 v0, s6, 8, v0
	s_waitcnt lgkmcnt(0)
	s_add_i32 s0, s1, s0
	s_sub_i32 s0, s0, s2
	v_cmp_gt_i32_e32 vcc, s0, v0
	s_and_saveexec_b64 s[6:7], vcc
	s_cbranch_execz .LBB1_12
; %bb.4:
	s_load_dwordx2 s[6:7], s[4:5], 0x18
	v_cmp_le_i32_e32 vcc, s1, v0
	v_cmp_neq_f32_e64 s[4:5], s8, 0
	s_and_saveexec_b64 s[10:11], vcc
	s_xor_b64 s[10:11], exec, s[10:11]
	s_cbranch_execz .LBB1_8
; %bb.5:
	v_subrev_u32_e32 v0, s1, v0
	v_add_u32_e32 v0, s2, v0
	v_ashrrev_i32_e32 v1, 31, v0
	v_lshlrev_b64 v[1:2], 2, v[0:1]
	s_waitcnt lgkmcnt(0)
	v_mov_b32_e32 v0, s7
	v_add_co_u32_e32 v1, vcc, s6, v1
	v_addc_co_u32_e32 v2, vcc, v0, v2, vcc
	s_and_b64 vcc, exec, s[4:5]
	s_cbranch_vccz .LBB1_13
; %bb.6:
	global_load_dword v0, v[1:2], off
	s_waitcnt vmcnt(0)
	v_mul_f32_e32 v0, s8, v0
	global_store_dword v[1:2], v0, off
                                        ; implicit-def: $vgpr0
	s_cbranch_execnz .LBB1_8
.LBB1_7:
	v_mov_b32_e32 v0, 0
	global_store_dword v[1:2], v0, off
                                        ; implicit-def: $vgpr0
.LBB1_8:
	s_andn2_saveexec_b64 s[0:1], s[10:11]
	s_cbranch_execz .LBB1_12
; %bb.9:
	v_ashrrev_i32_e32 v1, 31, v0
	v_lshlrev_b64 v[0:1], 2, v[0:1]
	s_waitcnt lgkmcnt(0)
	v_mov_b32_e32 v2, s7
	v_add_co_u32_e32 v0, vcc, s6, v0
	v_addc_co_u32_e32 v1, vcc, v2, v1, vcc
	s_and_b64 vcc, exec, s[4:5]
	s_cbranch_vccz .LBB1_14
; %bb.10:
	global_load_dword v2, v[0:1], off
	s_waitcnt vmcnt(0)
	v_mul_f32_e32 v2, s8, v2
	global_store_dword v[0:1], v2, off
	s_cbranch_execnz .LBB1_12
.LBB1_11:
	v_mov_b32_e32 v2, 0
	global_store_dword v[0:1], v2, off
.LBB1_12:
	s_endpgm
.LBB1_13:
                                        ; implicit-def: $vgpr0
	s_branch .LBB1_7
.LBB1_14:
	s_branch .LBB1_11
	.section	.rodata,"a",@progbits
	.p2align	6, 0x0
	.amdhsa_kernel _ZN9rocsparseL22partial_scale_y_kernelIiffEEvT_S1_S1_NS_24const_host_device_scalarIT1_EEPT0_b
		.amdhsa_group_segment_fixed_size 0
		.amdhsa_private_segment_fixed_size 0
		.amdhsa_kernarg_size 36
		.amdhsa_user_sgpr_count 6
		.amdhsa_user_sgpr_private_segment_buffer 1
		.amdhsa_user_sgpr_dispatch_ptr 0
		.amdhsa_user_sgpr_queue_ptr 0
		.amdhsa_user_sgpr_kernarg_segment_ptr 1
		.amdhsa_user_sgpr_dispatch_id 0
		.amdhsa_user_sgpr_flat_scratch_init 0
		.amdhsa_user_sgpr_private_segment_size 0
		.amdhsa_uses_dynamic_stack 0
		.amdhsa_system_sgpr_private_segment_wavefront_offset 0
		.amdhsa_system_sgpr_workgroup_id_x 1
		.amdhsa_system_sgpr_workgroup_id_y 0
		.amdhsa_system_sgpr_workgroup_id_z 0
		.amdhsa_system_sgpr_workgroup_info 0
		.amdhsa_system_vgpr_workitem_id 0
		.amdhsa_next_free_vgpr 3
		.amdhsa_next_free_sgpr 12
		.amdhsa_reserve_vcc 1
		.amdhsa_reserve_flat_scratch 0
		.amdhsa_float_round_mode_32 0
		.amdhsa_float_round_mode_16_64 0
		.amdhsa_float_denorm_mode_32 3
		.amdhsa_float_denorm_mode_16_64 3
		.amdhsa_dx10_clamp 1
		.amdhsa_ieee_mode 1
		.amdhsa_fp16_overflow 0
		.amdhsa_exception_fp_ieee_invalid_op 0
		.amdhsa_exception_fp_denorm_src 0
		.amdhsa_exception_fp_ieee_div_zero 0
		.amdhsa_exception_fp_ieee_overflow 0
		.amdhsa_exception_fp_ieee_underflow 0
		.amdhsa_exception_fp_ieee_inexact 0
		.amdhsa_exception_int_div_zero 0
	.end_amdhsa_kernel
	.section	.text._ZN9rocsparseL22partial_scale_y_kernelIiffEEvT_S1_S1_NS_24const_host_device_scalarIT1_EEPT0_b,"axG",@progbits,_ZN9rocsparseL22partial_scale_y_kernelIiffEEvT_S1_S1_NS_24const_host_device_scalarIT1_EEPT0_b,comdat
.Lfunc_end1:
	.size	_ZN9rocsparseL22partial_scale_y_kernelIiffEEvT_S1_S1_NS_24const_host_device_scalarIT1_EEPT0_b, .Lfunc_end1-_ZN9rocsparseL22partial_scale_y_kernelIiffEEvT_S1_S1_NS_24const_host_device_scalarIT1_EEPT0_b
                                        ; -- End function
	.set _ZN9rocsparseL22partial_scale_y_kernelIiffEEvT_S1_S1_NS_24const_host_device_scalarIT1_EEPT0_b.num_vgpr, 3
	.set _ZN9rocsparseL22partial_scale_y_kernelIiffEEvT_S1_S1_NS_24const_host_device_scalarIT1_EEPT0_b.num_agpr, 0
	.set _ZN9rocsparseL22partial_scale_y_kernelIiffEEvT_S1_S1_NS_24const_host_device_scalarIT1_EEPT0_b.numbered_sgpr, 12
	.set _ZN9rocsparseL22partial_scale_y_kernelIiffEEvT_S1_S1_NS_24const_host_device_scalarIT1_EEPT0_b.num_named_barrier, 0
	.set _ZN9rocsparseL22partial_scale_y_kernelIiffEEvT_S1_S1_NS_24const_host_device_scalarIT1_EEPT0_b.private_seg_size, 0
	.set _ZN9rocsparseL22partial_scale_y_kernelIiffEEvT_S1_S1_NS_24const_host_device_scalarIT1_EEPT0_b.uses_vcc, 1
	.set _ZN9rocsparseL22partial_scale_y_kernelIiffEEvT_S1_S1_NS_24const_host_device_scalarIT1_EEPT0_b.uses_flat_scratch, 0
	.set _ZN9rocsparseL22partial_scale_y_kernelIiffEEvT_S1_S1_NS_24const_host_device_scalarIT1_EEPT0_b.has_dyn_sized_stack, 0
	.set _ZN9rocsparseL22partial_scale_y_kernelIiffEEvT_S1_S1_NS_24const_host_device_scalarIT1_EEPT0_b.has_recursion, 0
	.set _ZN9rocsparseL22partial_scale_y_kernelIiffEEvT_S1_S1_NS_24const_host_device_scalarIT1_EEPT0_b.has_indirect_call, 0
	.section	.AMDGPU.csdata,"",@progbits
; Kernel info:
; codeLenInByte = 316
; TotalNumSgprs: 16
; NumVgprs: 3
; ScratchSize: 0
; MemoryBound: 0
; FloatMode: 240
; IeeeMode: 1
; LDSByteSize: 0 bytes/workgroup (compile time only)
; SGPRBlocks: 1
; VGPRBlocks: 0
; NumSGPRsForWavesPerEU: 16
; NumVGPRsForWavesPerEU: 3
; Occupancy: 10
; WaveLimiterHint : 0
; COMPUTE_PGM_RSRC2:SCRATCH_EN: 0
; COMPUTE_PGM_RSRC2:USER_SGPR: 6
; COMPUTE_PGM_RSRC2:TRAP_HANDLER: 0
; COMPUTE_PGM_RSRC2:TGID_X_EN: 1
; COMPUTE_PGM_RSRC2:TGID_Y_EN: 0
; COMPUTE_PGM_RSRC2:TGID_Z_EN: 0
; COMPUTE_PGM_RSRC2:TIDIG_COMP_CNT: 0
	.section	.text._ZN9rocsparseL27csrmvn_symm_adaptive_kernelIiiffffEEvbT_S1_PKS1_NS_24const_host_device_scalarIT4_EES3_PKT0_PKT1_PKT2_S6_PT3_21rocsparse_index_base_b,"axG",@progbits,_ZN9rocsparseL27csrmvn_symm_adaptive_kernelIiiffffEEvbT_S1_PKS1_NS_24const_host_device_scalarIT4_EES3_PKT0_PKT1_PKT2_S6_PT3_21rocsparse_index_base_b,comdat
	.globl	_ZN9rocsparseL27csrmvn_symm_adaptive_kernelIiiffffEEvbT_S1_PKS1_NS_24const_host_device_scalarIT4_EES3_PKT0_PKT1_PKT2_S6_PT3_21rocsparse_index_base_b ; -- Begin function _ZN9rocsparseL27csrmvn_symm_adaptive_kernelIiiffffEEvbT_S1_PKS1_NS_24const_host_device_scalarIT4_EES3_PKT0_PKT1_PKT2_S6_PT3_21rocsparse_index_base_b
	.p2align	8
	.type	_ZN9rocsparseL27csrmvn_symm_adaptive_kernelIiiffffEEvbT_S1_PKS1_NS_24const_host_device_scalarIT4_EES3_PKT0_PKT1_PKT2_S6_PT3_21rocsparse_index_base_b,@function
_ZN9rocsparseL27csrmvn_symm_adaptive_kernelIiiffffEEvbT_S1_PKS1_NS_24const_host_device_scalarIT4_EES3_PKT0_PKT1_PKT2_S6_PT3_21rocsparse_index_base_b: ; @_ZN9rocsparseL27csrmvn_symm_adaptive_kernelIiiffffEEvbT_S1_PKS1_NS_24const_host_device_scalarIT4_EES3_PKT0_PKT1_PKT2_S6_PT3_21rocsparse_index_base_b
; %bb.0:
	s_load_dwordx2 s[24:25], s[4:5], 0x50
	s_load_dwordx2 s[26:27], s[4:5], 0x18
	;; [unrolled: 1-line block ×3, first 2 shown]
	s_waitcnt lgkmcnt(0)
	s_bitcmp1_b32 s25, 0
	s_cselect_b64 s[8:9], -1, 0
	s_xor_b64 s[2:3], s[8:9], -1
	s_and_b64 vcc, exec, s[8:9]
	s_cbranch_vccnz .LBB2_2
; %bb.1:
	s_load_dword s26, s[26:27], 0x0
.LBB2_2:
	s_andn2_b64 vcc, exec, s[2:3]
	s_cbranch_vccnz .LBB2_4
; %bb.3:
	s_load_dword s0, s[0:1], 0x0
.LBB2_4:
	s_waitcnt lgkmcnt(0)
	v_cmp_neq_f32_e64 s[2:3], s26, 0
	v_cmp_neq_f32_e64 s[0:1], s0, 1.0
	s_or_b64 s[0:1], s[2:3], s[0:1]
	s_andn2_b64 vcc, exec, s[0:1]
	s_cbranch_vccnz .LBB2_158
; %bb.5:
	s_load_dwordx2 s[0:1], s[4:5], 0x10
	s_ashr_i32 s7, s6, 31
	s_lshl_b64 s[2:3], s[6:7], 2
	v_lshlrev_b32_e32 v9, 2, v0
	v_mov_b32_e32 v1, 0
	s_waitcnt lgkmcnt(0)
	s_add_u32 s0, s0, s2
	s_addc_u32 s1, s1, s3
	ds_write2st64_b32 v9, v1, v1 offset1:4
	ds_write2st64_b32 v9, v1, v1 offset0:8 offset1:12
	s_waitcnt lgkmcnt(0)
	s_barrier
	s_load_dwordx2 s[22:23], s[0:1], 0x0
	s_load_dwordx8 s[12:19], s[4:5], 0x20
	s_load_dwordx2 s[20:21], s[4:5], 0x48
	s_mov_b64 s[0:1], -1
	v_subrev_u32_e32 v8, s24, v0
	s_waitcnt lgkmcnt(0)
	s_sub_i32 s25, s23, s22
	s_cmp_gt_i32 s25, 2
	s_cbranch_scc1 .LBB2_36
; %bb.6:
	s_cmp_le_i32 s23, s22
	s_cbranch_scc1 .LBB2_25
; %bb.7:
	v_cmp_gt_u32_e64 s[0:1], 64, v0
	v_cmp_gt_u32_e64 s[2:3], 16, v0
	;; [unrolled: 1-line block ×3, first 2 shown]
	v_cmp_eq_u32_e64 s[8:9], 0, v0
	v_mov_b32_e32 v6, 0
	s_mov_b32 s28, s22
	s_branch .LBB2_9
.LBB2_8:                                ;   in Loop: Header=BB2_9 Depth=1
	s_or_b64 exec, exec, s[10:11]
	s_add_i32 s28, s28, 1
	s_cmp_ge_i32 s28, s23
	s_cbranch_scc1 .LBB2_25
.LBB2_9:                                ; =>This Loop Header: Depth=1
                                        ;     Child Loop BB2_11 Depth 2
                                        ;     Child Loop BB2_24 Depth 2
	s_ashr_i32 s29, s28, 31
	s_lshl_b64 s[30:31], s[28:29], 2
	s_add_u32 s10, s12, s30
	s_addc_u32 s11, s13, s31
	s_load_dwordx2 s[34:35], s[10:11], 0x0
	v_mov_b32_e32 v7, 0
	s_waitcnt lgkmcnt(0)
	s_sub_i32 s27, s35, s24
	v_add_u32_e32 v1, s34, v8
	v_cmp_gt_i32_e32 vcc, s27, v1
	s_and_saveexec_b64 s[34:35], vcc
	s_cbranch_execz .LBB2_13
; %bb.10:                               ;   in Loop: Header=BB2_9 Depth=1
	v_ashrrev_i32_e32 v2, 31, v1
	v_lshlrev_b64 v[4:5], 2, v[1:2]
	v_mov_b32_e32 v3, s15
	v_add_co_u32_e32 v2, vcc, s14, v4
	v_addc_co_u32_e32 v3, vcc, v3, v5, vcc
	v_mov_b32_e32 v7, s17
	v_add_co_u32_e32 v4, vcc, s16, v4
	v_addc_co_u32_e32 v5, vcc, v7, v5, vcc
	v_mov_b32_e32 v7, 0
	s_mov_b64 s[36:37], 0
.LBB2_11:                               ;   Parent Loop BB2_9 Depth=1
                                        ; =>  This Inner Loop Header: Depth=2
	global_load_dword v10, v[2:3], off
	global_load_dword v12, v[4:5], off
	v_mov_b32_e32 v13, s19
	v_add_u32_e32 v1, 0x100, v1
	v_cmp_le_i32_e64 s[10:11], s27, v1
	s_or_b64 s[36:37], s[10:11], s[36:37]
	s_waitcnt vmcnt(1)
	v_subrev_u32_e32 v10, s24, v10
	v_ashrrev_i32_e32 v11, 31, v10
	v_lshlrev_b64 v[10:11], 2, v[10:11]
	v_add_co_u32_e32 v10, vcc, s18, v10
	v_addc_co_u32_e32 v11, vcc, v13, v11, vcc
	global_load_dword v10, v[10:11], off
	v_add_co_u32_e32 v2, vcc, 0x400, v2
	v_addc_co_u32_e32 v3, vcc, 0, v3, vcc
	v_add_co_u32_e32 v4, vcc, 0x400, v4
	v_addc_co_u32_e32 v5, vcc, 0, v5, vcc
	s_waitcnt vmcnt(0)
	v_fmac_f32_e32 v7, v12, v10
	s_andn2_b64 exec, exec, s[36:37]
	s_cbranch_execnz .LBB2_11
; %bb.12:                               ;   in Loop: Header=BB2_9 Depth=1
	s_or_b64 exec, exec, s[36:37]
.LBB2_13:                               ;   in Loop: Header=BB2_9 Depth=1
	s_or_b64 exec, exec, s[34:35]
	ds_write_b32 v9, v7
	s_waitcnt lgkmcnt(0)
	s_barrier
	ds_read2st64_b32 v[1:2], v9 offset1:4
	ds_read2st64_b32 v[3:4], v9 offset0:8 offset1:12
	s_waitcnt lgkmcnt(0)
	v_add_f32_e32 v2, v2, v3
	v_add_f32_e32 v2, v2, v4
	;; [unrolled: 1-line block ×3, first 2 shown]
	ds_write_b32 v9, v1
	s_waitcnt lgkmcnt(0)
	s_barrier
	s_and_saveexec_b64 s[10:11], s[0:1]
	s_cbranch_execz .LBB2_15
; %bb.14:                               ;   in Loop: Header=BB2_9 Depth=1
	ds_read2st64_b32 v[1:2], v9 offset1:1
	ds_read2st64_b32 v[3:4], v9 offset0:2 offset1:3
	s_waitcnt lgkmcnt(0)
	v_add_f32_e32 v2, v2, v3
	v_add_f32_e32 v2, v2, v4
	;; [unrolled: 1-line block ×3, first 2 shown]
	ds_write_b32 v9, v1
.LBB2_15:                               ;   in Loop: Header=BB2_9 Depth=1
	s_or_b64 exec, exec, s[10:11]
	s_waitcnt lgkmcnt(0)
	s_barrier
	s_and_saveexec_b64 s[10:11], s[2:3]
	s_cbranch_execz .LBB2_17
; %bb.16:                               ;   in Loop: Header=BB2_9 Depth=1
	ds_read2_b32 v[1:2], v9 offset1:16
	ds_read2_b32 v[3:4], v9 offset0:32 offset1:48
	s_waitcnt lgkmcnt(0)
	v_add_f32_e32 v2, v2, v3
	v_add_f32_e32 v2, v2, v4
	;; [unrolled: 1-line block ×3, first 2 shown]
	ds_write_b32 v9, v1
.LBB2_17:                               ;   in Loop: Header=BB2_9 Depth=1
	s_or_b64 exec, exec, s[10:11]
	s_waitcnt lgkmcnt(0)
	s_barrier
	s_and_saveexec_b64 s[10:11], s[6:7]
	s_cbranch_execz .LBB2_19
; %bb.18:                               ;   in Loop: Header=BB2_9 Depth=1
	ds_read2_b32 v[1:2], v9 offset1:4
	ds_read2_b32 v[3:4], v9 offset0:8 offset1:12
	s_waitcnt lgkmcnt(0)
	v_add_f32_e32 v2, v2, v3
	v_add_f32_e32 v2, v2, v4
	;; [unrolled: 1-line block ×3, first 2 shown]
	ds_write_b32 v9, v1
.LBB2_19:                               ;   in Loop: Header=BB2_9 Depth=1
	s_or_b64 exec, exec, s[10:11]
	s_waitcnt lgkmcnt(0)
	s_barrier
	s_and_saveexec_b64 s[10:11], s[8:9]
	s_cbranch_execz .LBB2_21
; %bb.20:                               ;   in Loop: Header=BB2_9 Depth=1
	ds_read2_b32 v[1:2], v6 offset0:1 offset1:2
	ds_read_b32 v3, v6 offset:12
	ds_read_b32 v4, v9
	s_waitcnt lgkmcnt(2)
	v_add_f32_e32 v1, v1, v2
	s_waitcnt lgkmcnt(1)
	v_add_f32_e32 v1, v1, v3
	s_waitcnt lgkmcnt(0)
	v_add_f32_e32 v1, v4, v1
	ds_write_b32 v9, v1
.LBB2_21:                               ;   in Loop: Header=BB2_9 Depth=1
	s_or_b64 exec, exec, s[10:11]
	s_waitcnt lgkmcnt(0)
	s_barrier
	s_and_saveexec_b64 s[10:11], s[8:9]
	s_cbranch_execz .LBB2_8
; %bb.22:                               ;   in Loop: Header=BB2_9 Depth=1
	s_mov_b64 s[34:35], exec
	v_mbcnt_lo_u32_b32 v1, s34, 0
	v_mbcnt_hi_u32_b32 v1, s35, v1
	v_cmp_eq_u32_e32 vcc, 0, v1
	s_and_b64 s[36:37], exec, vcc
	s_mov_b64 exec, s[36:37]
	s_cbranch_execz .LBB2_8
; %bb.23:                               ;   in Loop: Header=BB2_9 Depth=1
	s_add_u32 s30, s20, s30
	s_addc_u32 s31, s21, s31
	global_load_dword v2, v6, s[30:31]
	ds_read_b32 v1, v6
	s_bcnt1_i32_b64 s27, s[34:35]
	v_cvt_f32_ubyte0_e32 v3, s27
	s_mov_b64 s[34:35], 0
	s_waitcnt lgkmcnt(0)
	v_mul_f32_e32 v1, s26, v1
	v_mul_f32_e32 v3, v1, v3
.LBB2_24:                               ;   Parent Loop BB2_9 Depth=1
                                        ; =>  This Inner Loop Header: Depth=2
	s_waitcnt vmcnt(0)
	v_add_f32_e32 v1, v2, v3
	global_atomic_cmpswap v1, v6, v[1:2], s[30:31] glc
	s_waitcnt vmcnt(0)
	v_cmp_eq_u32_e32 vcc, v1, v2
	s_or_b64 s[34:35], vcc, s[34:35]
	v_mov_b32_e32 v2, v1
	s_andn2_b64 exec, exec, s[34:35]
	s_cbranch_execnz .LBB2_24
	s_branch .LBB2_8
.LBB2_25:
	s_ashr_i32 s1, s22, 31
	s_mov_b32 s0, s22
	s_lshl_b64 s[0:1], s[0:1], 2
	s_add_u32 s0, s12, s0
	s_addc_u32 s1, s13, s1
	s_ashr_i32 s3, s23, 31
	s_mov_b32 s2, s23
	s_lshl_b64 s[2:3], s[2:3], 2
	s_add_u32 s2, s12, s2
	s_addc_u32 s3, s13, s3
	s_load_dword s6, s[2:3], 0x0
	s_load_dword s7, s[0:1], 0x0
	s_waitcnt lgkmcnt(0)
	s_sub_i32 s27, s6, s24
	v_add_u32_e32 v1, s7, v8
	v_cmp_gt_i32_e32 vcc, s27, v1
	s_and_saveexec_b64 s[6:7], vcc
	s_cbranch_execz .LBB2_35
; %bb.26:
	s_add_i32 s28, s23, -1
	s_cmp_lt_i32 s22, s28
	s_cselect_b64 s[0:1], -1, 0
	s_add_i32 s2, s23, -2
	s_cmp_lg_u32 s22, s2
	s_cselect_b64 s[2:3], -1, 0
	s_and_b64 s[0:1], s[0:1], s[2:3]
	v_cndmask_b32_e64 v2, 0, 1, s[0:1]
	s_mov_b64 s[8:9], 0
	v_cmp_ne_u32_e64 s[0:1], 1, v2
	v_mov_b32_e32 v10, s13
	v_mov_b32_e32 v11, s15
	s_branch .LBB2_28
.LBB2_27:                               ;   in Loop: Header=BB2_28 Depth=1
	s_or_b64 exec, exec, s[2:3]
	v_add_u32_e32 v1, 0x100, v1
	v_cmp_le_i32_e32 vcc, s27, v1
	s_or_b64 s[8:9], vcc, s[8:9]
	s_andn2_b64 exec, exec, s[8:9]
	s_cbranch_execz .LBB2_35
.LBB2_28:                               ; =>This Loop Header: Depth=1
                                        ;     Child Loop BB2_30 Depth 2
                                        ;     Child Loop BB2_34 Depth 2
	s_and_b64 vcc, exec, s[0:1]
	v_mov_b32_e32 v6, s22
	v_mov_b32_e32 v3, s28
	s_cbranch_vccnz .LBB2_32
; %bb.29:                               ;   in Loop: Header=BB2_28 Depth=1
	s_mov_b64 s[10:11], 0
	v_mov_b32_e32 v6, s22
	v_mov_b32_e32 v3, s28
.LBB2_30:                               ;   Parent Loop BB2_28 Depth=1
                                        ; =>  This Inner Loop Header: Depth=2
	v_add_u32_e32 v2, v3, v6
	v_lshrrev_b32_e32 v4, 31, v2
	v_add_u32_e32 v2, v2, v4
	v_ashrrev_i32_e32 v4, 1, v2
	v_ashrrev_i32_e32 v5, 31, v4
	v_lshlrev_b64 v[12:13], 2, v[4:5]
	v_mov_b32_e32 v7, s13
	v_add_co_u32_e32 v12, vcc, s12, v12
	v_addc_co_u32_e32 v13, vcc, v7, v13, vcc
	global_load_dword v2, v[12:13], off
	s_waitcnt vmcnt(0)
	v_subrev_u32_e32 v2, s24, v2
	v_cmp_lt_i32_e32 vcc, v1, v2
	v_cndmask_b32_e32 v3, v3, v4, vcc
	v_cndmask_b32_e32 v6, v4, v6, vcc
	v_add_u32_e32 v2, -1, v3
	v_cmp_ge_i32_e32 vcc, v6, v3
	v_cmp_eq_u32_e64 s[2:3], v6, v2
	s_or_b64 s[2:3], vcc, s[2:3]
	s_and_b64 s[2:3], exec, s[2:3]
	s_or_b64 s[10:11], s[2:3], s[10:11]
	s_andn2_b64 exec, exec, s[10:11]
	s_cbranch_execnz .LBB2_30
; %bb.31:                               ;   in Loop: Header=BB2_28 Depth=1
	s_or_b64 exec, exec, s[10:11]
.LBB2_32:                               ;   in Loop: Header=BB2_28 Depth=1
	v_ashrrev_i32_e32 v4, 31, v3
	v_lshlrev_b64 v[4:5], 2, v[3:4]
	v_ashrrev_i32_e32 v2, 31, v1
	v_add_co_u32_e32 v4, vcc, s12, v4
	v_addc_co_u32_e32 v5, vcc, v10, v5, vcc
	global_load_dword v7, v[4:5], off
	v_lshlrev_b64 v[4:5], 2, v[1:2]
	v_add_co_u32_e32 v12, vcc, s14, v4
	v_addc_co_u32_e32 v13, vcc, v11, v5, vcc
	global_load_dword v12, v[12:13], off
	s_waitcnt vmcnt(1)
	v_subrev_u32_e32 v2, s24, v7
	v_cmp_lt_i32_e32 vcc, v1, v2
	v_cndmask_b32_e32 v2, v3, v6, vcc
	s_waitcnt vmcnt(0)
	v_subrev_u32_e32 v6, s24, v12
	v_cmp_ne_u32_e32 vcc, v6, v2
	s_and_saveexec_b64 s[2:3], vcc
	s_cbranch_execz .LBB2_27
; %bb.33:                               ;   in Loop: Header=BB2_28 Depth=1
	v_mov_b32_e32 v13, s17
	v_add_co_u32_e32 v3, vcc, s16, v4
	v_addc_co_u32_e32 v4, vcc, v13, v5, vcc
	global_load_dword v4, v[3:4], off
	v_ashrrev_i32_e32 v3, 31, v2
	v_lshlrev_b64 v[2:3], 2, v[2:3]
	v_ashrrev_i32_e32 v7, 31, v6
	v_lshlrev_b64 v[6:7], 2, v[6:7]
	v_mov_b32_e32 v5, s19
	v_add_co_u32_e32 v2, vcc, s18, v2
	v_addc_co_u32_e32 v3, vcc, v5, v3, vcc
	v_mov_b32_e32 v12, s21
	global_load_dword v13, v[2:3], off
	v_add_co_u32_e32 v2, vcc, s20, v6
	v_addc_co_u32_e32 v3, vcc, v12, v7, vcc
	global_load_dword v5, v[2:3], off
	s_mov_b64 s[10:11], 0
	s_waitcnt vmcnt(2)
	v_mul_f32_e32 v4, s26, v4
	s_waitcnt vmcnt(1)
	v_mul_f32_e32 v6, v4, v13
.LBB2_34:                               ;   Parent Loop BB2_28 Depth=1
                                        ; =>  This Inner Loop Header: Depth=2
	s_waitcnt vmcnt(0)
	v_add_f32_e32 v4, v5, v6
	global_atomic_cmpswap v4, v[2:3], v[4:5], off glc
	s_waitcnt vmcnt(0)
	v_cmp_eq_u32_e32 vcc, v4, v5
	s_or_b64 s[10:11], vcc, s[10:11]
	v_mov_b32_e32 v5, v4
	s_andn2_b64 exec, exec, s[10:11]
	s_cbranch_execnz .LBB2_34
	s_branch .LBB2_27
.LBB2_35:
	s_or_b64 exec, exec, s[6:7]
	s_mov_b64 s[0:1], 0
.LBB2_36:
	s_and_b64 vcc, exec, s[0:1]
	s_cbranch_vccz .LBB2_158
; %bb.37:
	v_cvt_f32_u32_e32 v1, s25
	s_ashr_i32 s1, s22, 31
	s_mov_b32 s0, s22
	s_sub_i32 s2, 0, s25
	v_rcp_iflag_f32_e32 v1, v1
	s_lshl_b64 s[0:1], s[0:1], 2
	s_add_u32 s6, s12, s0
	s_addc_u32 s7, s13, s1
	v_mul_f32_e32 v1, 0x4f7ffffe, v1
	v_cvt_u32_f32_e32 v1, v1
	s_load_dword s30, s[6:7], 0x0
	s_load_dwordx2 s[8:9], s[4:5], 0x4
	s_load_dword s27, s[4:5], 0x64
	v_readfirstlane_b32 s28, v1
	s_waitcnt lgkmcnt(0)
	v_add_u32_e32 v1, s30, v8
	s_mul_i32 s2, s2, s28
	v_add_u32_e32 v10, 0x300, v1
	s_mul_hi_u32 s29, s28, s2
	v_cmp_le_i32_e32 vcc, s8, v10
	s_and_saveexec_b64 s[0:1], vcc
	s_xor_b64 s[2:3], exec, s[0:1]
	s_cbranch_execz .LBB2_42
; %bb.38:
	s_ashr_i32 s1, s23, 31
	s_mov_b32 s0, s23
	s_lshl_b64 s[0:1], s[0:1], 2
	s_add_u32 s0, s12, s0
	s_addc_u32 s1, s13, s1
	s_load_dword s0, s[0:1], 0x0
	s_waitcnt lgkmcnt(0)
	s_sub_i32 s8, s0, s30
	v_cmp_gt_i32_e64 s[0:1], s8, v0
	s_and_saveexec_b64 s[4:5], s[0:1]
	s_cbranch_execz .LBB2_41
; %bb.39:
	s_sub_i32 s31, s30, s24
	s_mov_b64 s[10:11], 0
	v_mov_b32_e32 v2, s17
	v_mov_b32_e32 v3, v9
	;; [unrolled: 1-line block ×3, first 2 shown]
.LBB2_40:                               ; =>This Inner Loop Header: Depth=1
	v_add_u32_e32 v5, s31, v4
	v_ashrrev_i32_e32 v6, 31, v5
	v_lshlrev_b64 v[5:6], 2, v[5:6]
	v_add_u32_e32 v4, 0x100, v4
	v_add_co_u32_e64 v5, s[0:1], s16, v5
	v_addc_co_u32_e64 v6, s[0:1], v2, v6, s[0:1]
	global_load_dword v5, v[5:6], off
	v_cmp_le_i32_e64 s[0:1], s8, v4
	s_or_b64 s[10:11], s[0:1], s[10:11]
	s_waitcnt vmcnt(0)
	v_mul_f32_e32 v5, s26, v5
	ds_write_b32 v3, v5
	v_add_u32_e32 v3, 0x400, v3
	s_andn2_b64 exec, exec, s[10:11]
	s_cbranch_execnz .LBB2_40
.LBB2_41:
	s_or_b64 exec, exec, s[4:5]
.LBB2_42:
	s_or_saveexec_b64 s[2:3], s[2:3]
	s_and_b32 s31, s27, 0xffff
	s_add_i32 s28, s28, s29
	v_ashrrev_i32_e32 v2, 31, v1
	s_xor_b64 exec, exec, s[2:3]
	s_cbranch_execz .LBB2_44
; %bb.43:
	v_lshlrev_b64 v[3:4], 2, v[1:2]
	v_mov_b32_e32 v5, s17
	v_add_co_u32_e64 v3, s[0:1], s16, v3
	v_addc_co_u32_e64 v4, s[0:1], v5, v4, s[0:1]
	global_load_dword v5, v[3:4], off
	global_load_dword v6, v[3:4], off offset:1024
	global_load_dword v7, v[3:4], off offset:2048
	;; [unrolled: 1-line block ×3, first 2 shown]
	s_waitcnt vmcnt(3)
	v_mul_f32_e32 v3, s26, v5
	s_waitcnt vmcnt(2)
	v_mul_f32_e32 v4, s26, v6
	;; [unrolled: 2-line block ×4, first 2 shown]
	ds_write2st64_b32 v9, v3, v4 offset1:4
	ds_write2st64_b32 v9, v5, v6 offset0:8 offset1:12
.LBB2_44:
	s_or_b64 exec, exec, s[2:3]
	s_mul_hi_u32 s8, s31, s28
	v_cmp_gt_i32_e64 s[0:1], s9, v0
	s_and_saveexec_b64 s[2:3], s[0:1]
	s_cbranch_execz .LBB2_47
; %bb.45:
	v_mov_b32_e32 v3, 0x1000
	v_lshl_add_u32 v3, v0, 2, v3
	s_mov_b64 s[4:5], 0
	v_mov_b32_e32 v4, 0
	v_mov_b32_e32 v5, v0
.LBB2_46:                               ; =>This Inner Loop Header: Depth=1
	v_add_u32_e32 v5, 0x100, v5
	v_cmp_le_i32_e64 s[0:1], s9, v5
	ds_write_b32 v3, v4
	s_or_b64 s[4:5], s[0:1], s[4:5]
	v_add_u32_e32 v3, 0x400, v3
	s_andn2_b64 exec, exec, s[4:5]
	s_cbranch_execnz .LBB2_46
.LBB2_47:
	s_or_b64 exec, exec, s[2:3]
	s_sub_i32 s0, s23, s9
	s_cmp_ge_i32 s23, s9
	s_cselect_b32 s33, s0, 0
	s_waitcnt lgkmcnt(0)
	s_barrier
	s_and_saveexec_b64 s[0:1], vcc
	s_xor_b64 s[4:5], exec, s[0:1]
	s_cbranch_execz .LBB2_66
; %bb.48:
	s_ashr_i32 s1, s23, 31
	s_mov_b32 s0, s23
	s_lshl_b64 s[0:1], s[0:1], 2
	s_add_u32 s0, s12, s0
	s_addc_u32 s1, s13, s1
	s_load_dword s0, s[0:1], 0x0
	s_waitcnt lgkmcnt(0)
	s_sub_i32 s34, s0, s30
	v_cmp_gt_i32_e32 vcc, s34, v0
	s_and_saveexec_b64 s[10:11], vcc
	s_cbranch_execz .LBB2_65
; %bb.49:
	s_add_i32 s35, s23, -1
	s_add_i32 s1, s23, -2
	s_cmp_lg_u32 s22, s1
	s_cselect_b64 s[2:3], -1, 0
	v_cndmask_b32_e64 v2, 0, 1, s[2:3]
	s_sub_i32 s36, s0, s24
	s_mov_b32 s37, 0
	s_mov_b64 s[16:17], 0
	v_cmp_ne_u32_e64 s[0:1], 1, v2
	v_mov_b32_e32 v7, s13
	v_mov_b32_e32 v8, s15
	;; [unrolled: 1-line block ×4, first 2 shown]
	s_branch .LBB2_52
.LBB2_50:                               ;   in Loop: Header=BB2_52 Depth=1
	s_or_b64 exec, exec, s[2:3]
.LBB2_51:                               ;   in Loop: Header=BB2_52 Depth=1
	s_or_b64 exec, exec, s[26:27]
	v_ashrrev_i32_e32 v3, 31, v2
	v_lshlrev_b64 v[2:3], 2, v[2:3]
	s_addk_i32 s37, 0x100
	v_add_co_u32_e32 v2, vcc, s18, v2
	v_addc_co_u32_e32 v3, vcc, v10, v3, vcc
	global_load_dword v2, v[2:3], off
	v_add_u32_e32 v3, s37, v0
	v_cmp_le_i32_e32 vcc, s34, v3
	s_or_b64 s[16:17], vcc, s[16:17]
	s_waitcnt vmcnt(0) lgkmcnt(0)
	v_mul_f32_e32 v2, v2, v13
	ds_write_b32 v12, v2
	s_andn2_b64 exec, exec, s[16:17]
	s_cbranch_execz .LBB2_65
.LBB2_52:                               ; =>This Loop Header: Depth=1
                                        ;     Child Loop BB2_54 Depth 2
                                        ;     Child Loop BB2_61 Depth 2
	v_add_u32_e32 v3, s37, v1
	s_and_b64 vcc, exec, s[0:1]
	v_mov_b32_e32 v12, s22
	v_mov_b32_e32 v5, s35
	s_cbranch_vccnz .LBB2_56
; %bb.53:                               ;   in Loop: Header=BB2_52 Depth=1
	s_mov_b64 s[26:27], 0
	v_mov_b32_e32 v12, s22
	v_mov_b32_e32 v5, s35
.LBB2_54:                               ;   Parent Loop BB2_52 Depth=1
                                        ; =>  This Inner Loop Header: Depth=2
	v_add_u32_e32 v2, v5, v12
	v_lshrrev_b32_e32 v6, 31, v2
	v_add_u32_e32 v2, v2, v6
	v_ashrrev_i32_e32 v13, 1, v2
	v_ashrrev_i32_e32 v14, 31, v13
	v_lshlrev_b64 v[14:15], 2, v[13:14]
	v_mov_b32_e32 v4, s13
	v_add_co_u32_e32 v14, vcc, s12, v14
	v_addc_co_u32_e32 v15, vcc, v4, v15, vcc
	global_load_dword v2, v[14:15], off
	s_waitcnt vmcnt(0)
	v_subrev_u32_e32 v2, s24, v2
	v_cmp_lt_i32_e32 vcc, v3, v2
	v_cndmask_b32_e32 v5, v5, v13, vcc
	v_cndmask_b32_e32 v12, v13, v12, vcc
	v_add_u32_e32 v2, -1, v5
	v_cmp_ge_i32_e32 vcc, v12, v5
	v_cmp_eq_u32_e64 s[2:3], v12, v2
	s_or_b64 s[2:3], vcc, s[2:3]
	s_and_b64 s[2:3], exec, s[2:3]
	s_or_b64 s[26:27], s[2:3], s[26:27]
	s_andn2_b64 exec, exec, s[26:27]
	s_cbranch_execnz .LBB2_54
; %bb.55:                               ;   in Loop: Header=BB2_52 Depth=1
	s_or_b64 exec, exec, s[26:27]
.LBB2_56:                               ;   in Loop: Header=BB2_52 Depth=1
	v_ashrrev_i32_e32 v6, 31, v5
	v_lshlrev_b64 v[13:14], 2, v[5:6]
	v_ashrrev_i32_e32 v4, 31, v3
	v_add_co_u32_e32 v13, vcc, s12, v13
	v_addc_co_u32_e32 v14, vcc, v7, v14, vcc
	global_load_dword v2, v[13:14], off
	v_lshlrev_b64 v[13:14], 2, v[3:4]
	v_add_co_u32_e32 v13, vcc, s14, v13
	v_addc_co_u32_e32 v14, vcc, v8, v14, vcc
	global_load_dword v4, v[13:14], off
	v_cmp_le_i32_e32 vcc, s36, v3
                                        ; implicit-def: $vgpr13
	s_waitcnt vmcnt(1)
	v_subrev_u32_e32 v6, s24, v2
	v_cmp_lt_i32_e64 s[2:3], v3, v6
	v_cndmask_b32_e64 v3, v5, v12, s[2:3]
	v_lshl_add_u32 v12, s37, 2, v9
	s_waitcnt vmcnt(0)
	v_subrev_u32_e32 v2, s24, v4
	v_cmp_eq_u32_e64 s[2:3], v2, v3
	s_or_b64 s[2:3], s[2:3], vcc
	s_and_saveexec_b64 s[26:27], s[2:3]
	s_xor_b64 s[2:3], exec, s[26:27]
; %bb.57:                               ;   in Loop: Header=BB2_52 Depth=1
	ds_read_b32 v13, v12
                                        ; implicit-def: $vgpr3
; %bb.58:                               ;   in Loop: Header=BB2_52 Depth=1
	s_andn2_saveexec_b64 s[26:27], s[2:3]
	s_cbranch_execz .LBB2_51
; %bb.59:                               ;   in Loop: Header=BB2_52 Depth=1
	v_ashrrev_i32_e32 v4, 31, v3
	v_lshlrev_b64 v[3:4], 2, v[3:4]
	v_mov_b32_e32 v5, s19
	v_add_co_u32_e32 v3, vcc, s18, v3
	v_addc_co_u32_e32 v4, vcc, v5, v4, vcc
	global_load_dword v3, v[3:4], off
	s_waitcnt lgkmcnt(0)
	ds_read_b32 v13, v12
	v_cmp_gt_i32_e32 vcc, s33, v2
	v_cmp_le_i32_e64 s[2:3], s23, v2
	s_or_b64 s[2:3], vcc, s[2:3]
	s_waitcnt vmcnt(0) lgkmcnt(0)
	v_mul_f32_e32 v14, v13, v3
	s_and_saveexec_b64 s[28:29], s[2:3]
	s_xor_b64 s[2:3], exec, s[28:29]
	s_cbranch_execz .LBB2_63
; %bb.60:                               ;   in Loop: Header=BB2_52 Depth=1
	v_ashrrev_i32_e32 v3, 31, v2
	v_lshlrev_b64 v[3:4], 2, v[2:3]
	v_mov_b32_e32 v5, s21
	v_add_co_u32_e32 v3, vcc, s20, v3
	v_addc_co_u32_e32 v4, vcc, v5, v4, vcc
	global_load_dword v6, v[3:4], off
	s_mov_b64 s[28:29], 0
.LBB2_61:                               ;   Parent Loop BB2_52 Depth=1
                                        ; =>  This Inner Loop Header: Depth=2
	s_waitcnt vmcnt(0)
	v_add_f32_e32 v5, v6, v14
	global_atomic_cmpswap v5, v[3:4], v[5:6], off glc
	s_waitcnt vmcnt(0)
	v_cmp_eq_u32_e32 vcc, v5, v6
	s_or_b64 s[28:29], vcc, s[28:29]
	v_mov_b32_e32 v6, v5
	s_andn2_b64 exec, exec, s[28:29]
	s_cbranch_execnz .LBB2_61
; %bb.62:                               ;   in Loop: Header=BB2_52 Depth=1
	s_or_b64 exec, exec, s[28:29]
                                        ; implicit-def: $vgpr14
.LBB2_63:                               ;   in Loop: Header=BB2_52 Depth=1
	s_andn2_saveexec_b64 s[2:3], s[2:3]
	s_cbranch_execz .LBB2_50
; %bb.64:                               ;   in Loop: Header=BB2_52 Depth=1
	v_subrev_u32_e32 v3, s33, v2
	v_lshl_add_u32 v3, v3, 2, v11
	ds_add_f32 v3, v14
	s_branch .LBB2_50
.LBB2_65:
	s_or_b64 exec, exec, s[10:11]
                                        ; implicit-def: $vgpr10
                                        ; implicit-def: $vgpr1
.LBB2_66:
	s_andn2_saveexec_b64 s[4:5], s[4:5]
	s_cbranch_execz .LBB2_128
; %bb.67:
	s_add_i32 s28, s23, -1
	s_add_i32 s0, s23, -2
	s_cmp_lg_u32 s22, s0
	s_cselect_b64 s[2:3], -1, 0
	s_cmp_eq_u32 s22, s0
	v_mov_b32_e32 v6, s22
	v_mov_b32_e32 v4, s28
	s_cbranch_scc1 .LBB2_71
; %bb.68:
	s_mov_b64 s[10:11], 0
	v_mov_b32_e32 v6, s22
	v_mov_b32_e32 v4, s28
	;; [unrolled: 1-line block ×3, first 2 shown]
.LBB2_69:                               ; =>This Inner Loop Header: Depth=1
	v_add_u32_e32 v5, v4, v6
	v_lshrrev_b32_e32 v7, 31, v5
	v_add_u32_e32 v5, v5, v7
	v_ashrrev_i32_e32 v7, 1, v5
	v_ashrrev_i32_e32 v8, 31, v7
	v_lshlrev_b64 v[11:12], 2, v[7:8]
	v_add_co_u32_e32 v11, vcc, s12, v11
	v_addc_co_u32_e32 v12, vcc, v3, v12, vcc
	global_load_dword v5, v[11:12], off
	s_waitcnt vmcnt(0)
	v_subrev_u32_e32 v5, s24, v5
	v_cmp_lt_i32_e32 vcc, v1, v5
	v_cndmask_b32_e32 v4, v4, v7, vcc
	v_cndmask_b32_e32 v6, v7, v6, vcc
	v_add_u32_e32 v5, -1, v4
	v_cmp_ge_i32_e32 vcc, v6, v4
	v_cmp_eq_u32_e64 s[0:1], v6, v5
	s_or_b64 s[0:1], vcc, s[0:1]
	s_and_b64 s[0:1], exec, s[0:1]
	s_or_b64 s[10:11], s[0:1], s[10:11]
	s_andn2_b64 exec, exec, s[10:11]
	s_cbranch_execnz .LBB2_69
; %bb.70:
	s_or_b64 exec, exec, s[10:11]
.LBB2_71:
	v_ashrrev_i32_e32 v5, 31, v4
	v_lshlrev_b64 v[7:8], 2, v[4:5]
	v_mov_b32_e32 v3, s13
	v_add_co_u32_e32 v7, vcc, s12, v7
	v_addc_co_u32_e32 v8, vcc, v3, v8, vcc
	v_lshlrev_b64 v[2:3], 2, v[1:2]
	global_load_dword v5, v[7:8], off
	v_mov_b32_e32 v7, s15
	v_add_co_u32_e32 v2, vcc, s14, v2
	v_addc_co_u32_e32 v3, vcc, v7, v3, vcc
	global_load_dword v7, v[2:3], off
	s_ashr_i32 s1, s23, 31
	s_mov_b32 s0, s23
	s_lshl_b64 s[0:1], s[0:1], 2
	s_add_u32 s10, s12, s0
	s_addc_u32 s11, s13, s1
                                        ; implicit-def: $vgpr11
	s_waitcnt vmcnt(1)
	v_subrev_u32_e32 v5, s24, v5
	v_cmp_lt_i32_e32 vcc, v1, v5
	v_cndmask_b32_e32 v5, v4, v6, vcc
	s_waitcnt vmcnt(0)
	v_subrev_u32_e32 v4, s24, v7
	v_cmp_ne_u32_e32 vcc, v4, v5
	s_and_saveexec_b64 s[0:1], vcc
	s_xor_b64 s[14:15], exec, s[0:1]
	s_cbranch_execz .LBB2_80
; %bb.72:
	s_load_dword s0, s[10:11], 0x0
	ds_read_b32 v11, v9
	s_waitcnt lgkmcnt(0)
	s_sub_i32 s0, s0, s24
	v_cmp_gt_i32_e32 vcc, s0, v1
	s_and_saveexec_b64 s[16:17], vcc
	s_cbranch_execz .LBB2_79
; %bb.73:
	v_ashrrev_i32_e32 v6, 31, v5
	v_lshlrev_b64 v[5:6], 2, v[5:6]
	v_mov_b32_e32 v7, s19
	v_add_co_u32_e32 v5, vcc, s18, v5
	v_addc_co_u32_e32 v6, vcc, v7, v6, vcc
	global_load_dword v5, v[5:6], off
	v_cmp_gt_i32_e32 vcc, s33, v4
	v_cmp_le_i32_e64 s[0:1], s23, v4
	s_or_b64 s[0:1], vcc, s[0:1]
	s_waitcnt vmcnt(0)
	v_mul_f32_e32 v12, v11, v5
	s_and_saveexec_b64 s[26:27], s[0:1]
	s_xor_b64 s[0:1], exec, s[26:27]
	s_cbranch_execz .LBB2_77
; %bb.74:
	v_ashrrev_i32_e32 v5, 31, v4
	v_lshlrev_b64 v[5:6], 2, v[4:5]
	v_mov_b32_e32 v7, s21
	v_add_co_u32_e32 v5, vcc, s20, v5
	v_addc_co_u32_e32 v6, vcc, v7, v6, vcc
	global_load_dword v8, v[5:6], off
	s_mov_b64 s[26:27], 0
.LBB2_75:                               ; =>This Inner Loop Header: Depth=1
	s_waitcnt vmcnt(0)
	v_add_f32_e32 v7, v8, v12
	global_atomic_cmpswap v7, v[5:6], v[7:8], off glc
	s_waitcnt vmcnt(0)
	v_cmp_eq_u32_e32 vcc, v7, v8
	s_or_b64 s[26:27], vcc, s[26:27]
	v_mov_b32_e32 v8, v7
	s_andn2_b64 exec, exec, s[26:27]
	s_cbranch_execnz .LBB2_75
; %bb.76:
	s_or_b64 exec, exec, s[26:27]
                                        ; implicit-def: $vgpr12
.LBB2_77:
	s_andn2_saveexec_b64 s[0:1], s[0:1]
; %bb.78:
	v_subrev_u32_e32 v5, s33, v4
	v_mov_b32_e32 v6, 0x1000
	v_lshl_add_u32 v5, v5, 2, v6
	ds_add_f32 v5, v12
.LBB2_79:
	s_or_b64 exec, exec, s[16:17]
.LBB2_80:
	s_andn2_saveexec_b64 s[0:1], s[14:15]
; %bb.81:
	ds_read_b32 v11, v9
; %bb.82:
	s_or_b64 exec, exec, s[0:1]
	v_ashrrev_i32_e32 v5, 31, v4
	v_lshlrev_b64 v[4:5], 2, v[4:5]
	v_mov_b32_e32 v6, s19
	v_add_co_u32_e32 v4, vcc, s18, v4
	v_addc_co_u32_e32 v5, vcc, v6, v5, vcc
	global_load_dword v4, v[4:5], off
	v_cndmask_b32_e64 v5, 0, 1, s[2:3]
	v_add_u32_e32 v6, 0x100, v1
	v_mov_b32_e32 v7, s22
	v_cmp_ne_u32_e64 s[0:1], 1, v5
	s_andn2_b64 vcc, exec, s[2:3]
	s_waitcnt vmcnt(0) lgkmcnt(0)
	v_mul_f32_e32 v4, v4, v11
	ds_write_b32 v9, v4
	v_mov_b32_e32 v4, s28
	s_cbranch_vccnz .LBB2_86
; %bb.83:
	s_mov_b64 s[14:15], 0
	v_mov_b32_e32 v7, s22
	v_mov_b32_e32 v4, s28
	;; [unrolled: 1-line block ×3, first 2 shown]
.LBB2_84:                               ; =>This Inner Loop Header: Depth=1
	v_add_u32_e32 v8, v4, v7
	v_lshrrev_b32_e32 v11, 31, v8
	v_add_u32_e32 v8, v8, v11
	v_ashrrev_i32_e32 v11, 1, v8
	v_ashrrev_i32_e32 v12, 31, v11
	v_lshlrev_b64 v[12:13], 2, v[11:12]
	v_add_co_u32_e32 v12, vcc, s12, v12
	v_addc_co_u32_e32 v13, vcc, v5, v13, vcc
	global_load_dword v8, v[12:13], off
	s_waitcnt vmcnt(0)
	v_subrev_u32_e32 v8, s24, v8
	v_cmp_lt_i32_e32 vcc, v6, v8
	v_cndmask_b32_e32 v4, v4, v11, vcc
	v_cndmask_b32_e32 v7, v11, v7, vcc
	v_add_u32_e32 v8, -1, v4
	v_cmp_ge_i32_e32 vcc, v7, v4
	v_cmp_eq_u32_e64 s[2:3], v7, v8
	s_or_b64 s[2:3], vcc, s[2:3]
	s_and_b64 s[2:3], exec, s[2:3]
	s_or_b64 s[14:15], s[2:3], s[14:15]
	s_andn2_b64 exec, exec, s[14:15]
	s_cbranch_execnz .LBB2_84
; %bb.85:
	s_or_b64 exec, exec, s[14:15]
.LBB2_86:
	v_ashrrev_i32_e32 v5, 31, v4
	v_lshlrev_b64 v[11:12], 2, v[4:5]
	v_mov_b32_e32 v5, s13
	v_add_co_u32_e32 v11, vcc, s12, v11
	v_addc_co_u32_e32 v12, vcc, v5, v12, vcc
	global_load_dword v5, v[11:12], off
	global_load_dword v8, v[2:3], off offset:1024
                                        ; implicit-def: $vgpr11
	s_waitcnt vmcnt(1)
	v_subrev_u32_e32 v5, s24, v5
	v_cmp_lt_i32_e32 vcc, v6, v5
	v_cndmask_b32_e32 v5, v4, v7, vcc
	s_waitcnt vmcnt(0)
	v_subrev_u32_e32 v4, s24, v8
	v_cmp_ne_u32_e32 vcc, v4, v5
	s_and_saveexec_b64 s[2:3], vcc
	s_xor_b64 s[14:15], exec, s[2:3]
	s_cbranch_execz .LBB2_95
; %bb.87:
	s_load_dword s2, s[10:11], 0x0
	ds_read_b32 v11, v9 offset:1024
	s_waitcnt lgkmcnt(0)
	s_sub_i32 s2, s2, s24
	v_cmp_gt_i32_e32 vcc, s2, v6
	s_and_saveexec_b64 s[16:17], vcc
	s_cbranch_execz .LBB2_94
; %bb.88:
	v_ashrrev_i32_e32 v6, 31, v5
	v_lshlrev_b64 v[5:6], 2, v[5:6]
	v_mov_b32_e32 v7, s19
	v_add_co_u32_e32 v5, vcc, s18, v5
	v_addc_co_u32_e32 v6, vcc, v7, v6, vcc
	global_load_dword v5, v[5:6], off
	v_cmp_gt_i32_e32 vcc, s33, v4
	v_cmp_le_i32_e64 s[2:3], s23, v4
	s_or_b64 s[2:3], vcc, s[2:3]
	s_waitcnt vmcnt(0)
	v_mul_f32_e32 v12, v11, v5
	s_and_saveexec_b64 s[26:27], s[2:3]
	s_xor_b64 s[2:3], exec, s[26:27]
	s_cbranch_execz .LBB2_92
; %bb.89:
	v_ashrrev_i32_e32 v5, 31, v4
	v_lshlrev_b64 v[5:6], 2, v[4:5]
	v_mov_b32_e32 v7, s21
	v_add_co_u32_e32 v5, vcc, s20, v5
	v_addc_co_u32_e32 v6, vcc, v7, v6, vcc
	global_load_dword v8, v[5:6], off
	s_mov_b64 s[26:27], 0
.LBB2_90:                               ; =>This Inner Loop Header: Depth=1
	s_waitcnt vmcnt(0)
	v_add_f32_e32 v7, v8, v12
	global_atomic_cmpswap v7, v[5:6], v[7:8], off glc
	s_waitcnt vmcnt(0)
	v_cmp_eq_u32_e32 vcc, v7, v8
	s_or_b64 s[26:27], vcc, s[26:27]
	v_mov_b32_e32 v8, v7
	s_andn2_b64 exec, exec, s[26:27]
	s_cbranch_execnz .LBB2_90
; %bb.91:
	s_or_b64 exec, exec, s[26:27]
                                        ; implicit-def: $vgpr12
.LBB2_92:
	s_andn2_saveexec_b64 s[2:3], s[2:3]
; %bb.93:
	v_subrev_u32_e32 v5, s33, v4
	v_mov_b32_e32 v6, 0x1000
	v_lshl_add_u32 v5, v5, 2, v6
	ds_add_f32 v5, v12
.LBB2_94:
	s_or_b64 exec, exec, s[16:17]
.LBB2_95:
	s_andn2_saveexec_b64 s[2:3], s[14:15]
; %bb.96:
	ds_read_b32 v11, v9 offset:1024
; %bb.97:
	s_or_b64 exec, exec, s[2:3]
	v_ashrrev_i32_e32 v5, 31, v4
	v_lshlrev_b64 v[4:5], 2, v[4:5]
	v_mov_b32_e32 v6, s19
	v_add_co_u32_e32 v4, vcc, s18, v4
	v_addc_co_u32_e32 v5, vcc, v6, v5, vcc
	global_load_dword v4, v[4:5], off
	v_add_u32_e32 v6, 0x200, v1
	s_and_b64 vcc, exec, s[0:1]
	v_mov_b32_e32 v1, s22
	s_waitcnt vmcnt(0) lgkmcnt(0)
	v_mul_f32_e32 v4, v4, v11
	ds_write_b32 v9, v4 offset:1024
	v_mov_b32_e32 v4, s28
	s_cbranch_vccnz .LBB2_101
; %bb.98:
	s_mov_b64 s[14:15], 0
	v_mov_b32_e32 v1, s22
	v_mov_b32_e32 v4, s28
	;; [unrolled: 1-line block ×3, first 2 shown]
.LBB2_99:                               ; =>This Inner Loop Header: Depth=1
	v_add_u32_e32 v7, v4, v1
	v_lshrrev_b32_e32 v8, 31, v7
	v_add_u32_e32 v7, v7, v8
	v_ashrrev_i32_e32 v7, 1, v7
	v_ashrrev_i32_e32 v8, 31, v7
	v_lshlrev_b64 v[11:12], 2, v[7:8]
	v_add_co_u32_e32 v11, vcc, s12, v11
	v_addc_co_u32_e32 v12, vcc, v5, v12, vcc
	global_load_dword v8, v[11:12], off
	s_waitcnt vmcnt(0)
	v_subrev_u32_e32 v8, s24, v8
	v_cmp_lt_i32_e32 vcc, v6, v8
	v_cndmask_b32_e32 v4, v4, v7, vcc
	v_cndmask_b32_e32 v1, v7, v1, vcc
	v_add_u32_e32 v7, -1, v4
	v_cmp_ge_i32_e32 vcc, v1, v4
	v_cmp_eq_u32_e64 s[2:3], v1, v7
	s_or_b64 s[2:3], vcc, s[2:3]
	s_and_b64 s[2:3], exec, s[2:3]
	s_or_b64 s[14:15], s[2:3], s[14:15]
	s_andn2_b64 exec, exec, s[14:15]
	s_cbranch_execnz .LBB2_99
; %bb.100:
	s_or_b64 exec, exec, s[14:15]
.LBB2_101:
	v_ashrrev_i32_e32 v5, 31, v4
	v_lshlrev_b64 v[7:8], 2, v[4:5]
	v_mov_b32_e32 v5, s13
	v_add_co_u32_e32 v7, vcc, s12, v7
	v_addc_co_u32_e32 v8, vcc, v5, v8, vcc
	global_load_dword v5, v[7:8], off
	global_load_dword v11, v[2:3], off offset:2048
	s_waitcnt vmcnt(1)
	v_subrev_u32_e32 v5, s24, v5
	v_cmp_lt_i32_e32 vcc, v6, v5
	v_cndmask_b32_e32 v5, v4, v1, vcc
	s_waitcnt vmcnt(0)
	v_subrev_u32_e32 v4, s24, v11
	v_cmp_ne_u32_e32 vcc, v4, v5
                                        ; implicit-def: $vgpr1
	s_and_saveexec_b64 s[2:3], vcc
	s_xor_b64 s[14:15], exec, s[2:3]
	s_cbranch_execz .LBB2_110
; %bb.102:
	s_load_dword s2, s[10:11], 0x0
	ds_read_b32 v1, v9 offset:2048
	s_waitcnt lgkmcnt(0)
	s_sub_i32 s2, s2, s24
	v_cmp_gt_i32_e32 vcc, s2, v6
	s_and_saveexec_b64 s[16:17], vcc
	s_cbranch_execz .LBB2_109
; %bb.103:
	v_ashrrev_i32_e32 v6, 31, v5
	v_lshlrev_b64 v[5:6], 2, v[5:6]
	v_mov_b32_e32 v7, s19
	v_add_co_u32_e32 v5, vcc, s18, v5
	v_addc_co_u32_e32 v6, vcc, v7, v6, vcc
	global_load_dword v5, v[5:6], off
	v_cmp_gt_i32_e32 vcc, s33, v4
	v_cmp_le_i32_e64 s[2:3], s23, v4
	s_or_b64 s[2:3], vcc, s[2:3]
	s_waitcnt vmcnt(0)
	v_mul_f32_e32 v11, v1, v5
	s_and_saveexec_b64 s[26:27], s[2:3]
	s_xor_b64 s[2:3], exec, s[26:27]
	s_cbranch_execz .LBB2_107
; %bb.104:
	v_ashrrev_i32_e32 v5, 31, v4
	v_lshlrev_b64 v[5:6], 2, v[4:5]
	v_mov_b32_e32 v7, s21
	v_add_co_u32_e32 v5, vcc, s20, v5
	v_addc_co_u32_e32 v6, vcc, v7, v6, vcc
	global_load_dword v8, v[5:6], off
	s_mov_b64 s[26:27], 0
.LBB2_105:                              ; =>This Inner Loop Header: Depth=1
	s_waitcnt vmcnt(0)
	v_add_f32_e32 v7, v8, v11
	global_atomic_cmpswap v7, v[5:6], v[7:8], off glc
	s_waitcnt vmcnt(0)
	v_cmp_eq_u32_e32 vcc, v7, v8
	s_or_b64 s[26:27], vcc, s[26:27]
	v_mov_b32_e32 v8, v7
	s_andn2_b64 exec, exec, s[26:27]
	s_cbranch_execnz .LBB2_105
; %bb.106:
	s_or_b64 exec, exec, s[26:27]
                                        ; implicit-def: $vgpr11
.LBB2_107:
	s_andn2_saveexec_b64 s[2:3], s[2:3]
; %bb.108:
	v_subrev_u32_e32 v5, s33, v4
	v_mov_b32_e32 v6, 0x1000
	v_lshl_add_u32 v5, v5, 2, v6
	ds_add_f32 v5, v11
.LBB2_109:
	s_or_b64 exec, exec, s[16:17]
.LBB2_110:
	s_andn2_saveexec_b64 s[2:3], s[14:15]
; %bb.111:
	ds_read_b32 v1, v9 offset:2048
; %bb.112:
	s_or_b64 exec, exec, s[2:3]
	v_ashrrev_i32_e32 v5, 31, v4
	v_lshlrev_b64 v[4:5], 2, v[4:5]
	v_mov_b32_e32 v6, s19
	v_add_co_u32_e32 v4, vcc, s18, v4
	v_addc_co_u32_e32 v5, vcc, v6, v5, vcc
	global_load_dword v4, v[4:5], off
	s_and_b64 vcc, exec, s[0:1]
	v_mov_b32_e32 v6, s22
	s_waitcnt vmcnt(0) lgkmcnt(0)
	v_mul_f32_e32 v1, v4, v1
	v_mov_b32_e32 v4, s28
	ds_write_b32 v9, v1 offset:2048
	s_cbranch_vccnz .LBB2_116
; %bb.113:
	s_mov_b64 s[2:3], 0
	v_mov_b32_e32 v6, s22
	v_mov_b32_e32 v4, s28
	;; [unrolled: 1-line block ×3, first 2 shown]
.LBB2_114:                              ; =>This Inner Loop Header: Depth=1
	v_add_u32_e32 v5, v4, v6
	v_lshrrev_b32_e32 v7, 31, v5
	v_add_u32_e32 v5, v5, v7
	v_ashrrev_i32_e32 v7, 1, v5
	v_ashrrev_i32_e32 v8, 31, v7
	v_lshlrev_b64 v[11:12], 2, v[7:8]
	v_add_co_u32_e32 v11, vcc, s12, v11
	v_addc_co_u32_e32 v12, vcc, v1, v12, vcc
	global_load_dword v5, v[11:12], off
	s_waitcnt vmcnt(0)
	v_subrev_u32_e32 v5, s24, v5
	v_cmp_lt_i32_e32 vcc, v10, v5
	v_cndmask_b32_e32 v4, v4, v7, vcc
	v_cndmask_b32_e32 v6, v7, v6, vcc
	v_add_u32_e32 v5, -1, v4
	v_cmp_ge_i32_e32 vcc, v6, v4
	v_cmp_eq_u32_e64 s[0:1], v6, v5
	s_or_b64 s[0:1], vcc, s[0:1]
	s_and_b64 s[0:1], exec, s[0:1]
	s_or_b64 s[2:3], s[0:1], s[2:3]
	s_andn2_b64 exec, exec, s[2:3]
	s_cbranch_execnz .LBB2_114
; %bb.115:
	s_or_b64 exec, exec, s[2:3]
.LBB2_116:
	v_ashrrev_i32_e32 v5, 31, v4
	v_lshlrev_b64 v[7:8], 2, v[4:5]
	v_mov_b32_e32 v1, s13
	v_add_co_u32_e32 v7, vcc, s12, v7
	v_addc_co_u32_e32 v8, vcc, v1, v8, vcc
	global_load_dword v1, v[7:8], off
	global_load_dword v5, v[2:3], off offset:3072
	s_waitcnt vmcnt(1)
	v_subrev_u32_e32 v1, s24, v1
	v_cmp_lt_i32_e32 vcc, v10, v1
	v_cndmask_b32_e32 v2, v4, v6, vcc
	s_waitcnt vmcnt(0)
	v_subrev_u32_e32 v1, s24, v5
	v_cmp_ne_u32_e32 vcc, v1, v2
                                        ; implicit-def: $vgpr6
	s_and_saveexec_b64 s[0:1], vcc
	s_xor_b64 s[2:3], exec, s[0:1]
	s_cbranch_execz .LBB2_125
; %bb.117:
	s_load_dword s0, s[10:11], 0x0
	ds_read_b32 v6, v9 offset:3072
	s_waitcnt lgkmcnt(0)
	s_sub_i32 s0, s0, s24
	v_cmp_gt_i32_e32 vcc, s0, v10
	s_and_saveexec_b64 s[10:11], vcc
	s_cbranch_execz .LBB2_124
; %bb.118:
	v_ashrrev_i32_e32 v3, 31, v2
	v_lshlrev_b64 v[2:3], 2, v[2:3]
	v_mov_b32_e32 v4, s19
	v_add_co_u32_e32 v2, vcc, s18, v2
	v_addc_co_u32_e32 v3, vcc, v4, v3, vcc
	global_load_dword v2, v[2:3], off
	v_cmp_gt_i32_e32 vcc, s33, v1
	v_cmp_le_i32_e64 s[0:1], s23, v1
	s_or_b64 s[0:1], vcc, s[0:1]
	s_waitcnt vmcnt(0)
	v_mul_f32_e32 v7, v6, v2
	s_and_saveexec_b64 s[14:15], s[0:1]
	s_xor_b64 s[0:1], exec, s[14:15]
	s_cbranch_execz .LBB2_122
; %bb.119:
	v_ashrrev_i32_e32 v2, 31, v1
	v_lshlrev_b64 v[2:3], 2, v[1:2]
	v_mov_b32_e32 v4, s21
	v_add_co_u32_e32 v2, vcc, s20, v2
	v_addc_co_u32_e32 v3, vcc, v4, v3, vcc
	global_load_dword v5, v[2:3], off
	s_mov_b64 s[14:15], 0
.LBB2_120:                              ; =>This Inner Loop Header: Depth=1
	s_waitcnt vmcnt(0)
	v_add_f32_e32 v4, v5, v7
	global_atomic_cmpswap v4, v[2:3], v[4:5], off glc
	s_waitcnt vmcnt(0)
	v_cmp_eq_u32_e32 vcc, v4, v5
	s_or_b64 s[14:15], vcc, s[14:15]
	v_mov_b32_e32 v5, v4
	s_andn2_b64 exec, exec, s[14:15]
	s_cbranch_execnz .LBB2_120
; %bb.121:
	s_or_b64 exec, exec, s[14:15]
                                        ; implicit-def: $vgpr7
.LBB2_122:
	s_andn2_saveexec_b64 s[0:1], s[0:1]
; %bb.123:
	v_subrev_u32_e32 v2, s33, v1
	v_mov_b32_e32 v3, 0x1000
	v_lshl_add_u32 v2, v2, 2, v3
	ds_add_f32 v2, v7
.LBB2_124:
	s_or_b64 exec, exec, s[10:11]
.LBB2_125:
	s_andn2_saveexec_b64 s[0:1], s[2:3]
; %bb.126:
	ds_read_b32 v6, v9 offset:3072
; %bb.127:
	s_or_b64 exec, exec, s[0:1]
	v_ashrrev_i32_e32 v2, 31, v1
	v_lshlrev_b64 v[1:2], 2, v[1:2]
	v_mov_b32_e32 v3, s19
	v_add_co_u32_e32 v1, vcc, s18, v1
	v_addc_co_u32_e32 v2, vcc, v3, v2, vcc
	global_load_dword v1, v[1:2], off
	s_waitcnt vmcnt(0) lgkmcnt(0)
	v_mul_f32_e32 v1, v1, v6
	ds_write_b32 v9, v1 offset:3072
.LBB2_128:
	s_or_b64 exec, exec, s[4:5]
	s_min_i32 s9, s23, s9
	s_sub_i32 s10, s9, s25
	v_cmp_gt_i32_e32 vcc, s10, v0
	s_waitcnt lgkmcnt(0)
	s_barrier
	s_and_saveexec_b64 s[0:1], vcc
	s_cbranch_execz .LBB2_133
; %bb.129:
	s_mov_b64 s[2:3], 0
	v_mov_b32_e32 v5, s21
	v_mov_b32_e32 v6, 0x1000
	;; [unrolled: 1-line block ×3, first 2 shown]
.LBB2_130:                              ; =>This Loop Header: Depth=1
                                        ;     Child Loop BB2_131 Depth 2
	v_add_u32_e32 v1, s33, v7
	v_ashrrev_i32_e32 v2, 31, v1
	v_lshlrev_b64 v[1:2], 2, v[1:2]
	v_lshl_add_u32 v3, v7, 2, v6
	v_add_co_u32_e32 v1, vcc, s20, v1
	v_addc_co_u32_e32 v2, vcc, v5, v2, vcc
	global_load_dword v4, v[1:2], off
	ds_read_b32 v8, v3
	s_mov_b64 s[4:5], 0
.LBB2_131:                              ;   Parent Loop BB2_130 Depth=1
                                        ; =>  This Inner Loop Header: Depth=2
	s_waitcnt vmcnt(0) lgkmcnt(0)
	v_add_f32_e32 v3, v4, v8
	global_atomic_cmpswap v3, v[1:2], v[3:4], off glc
	s_waitcnt vmcnt(0)
	v_cmp_eq_u32_e32 vcc, v3, v4
	s_or_b64 s[4:5], vcc, s[4:5]
	v_mov_b32_e32 v4, v3
	s_andn2_b64 exec, exec, s[4:5]
	s_cbranch_execnz .LBB2_131
; %bb.132:                              ;   in Loop: Header=BB2_130 Depth=1
	s_or_b64 exec, exec, s[4:5]
	v_add_u32_e32 v7, 0x100, v7
	v_cmp_le_i32_e32 vcc, s10, v7
	s_or_b64 s[2:3], vcc, s[2:3]
	s_andn2_b64 exec, exec, s[2:3]
	s_cbranch_execnz .LBB2_130
.LBB2_133:
	s_or_b64 exec, exec, s[0:1]
	s_mul_i32 s0, s8, s25
	s_sub_i32 s0, s31, s0
	s_add_i32 s1, s8, 1
	s_sub_i32 s2, s0, s25
	s_cmp_ge_u32 s0, s25
	s_cselect_b32 s1, s1, s8
	s_cselect_b32 s0, s2, s0
	s_add_i32 s2, s1, 1
	s_cmp_ge_u32 s0, s25
	s_cselect_b32 s0, s2, s1
	s_add_i32 s0, s0, -1
	s_ashr_i32 s1, s0, 1
	s_or_b32 s0, s1, s0
	s_ashr_i32 s1, s0, 2
	s_or_b32 s0, s1, s0
	;; [unrolled: 2-line block ×5, first 2 shown]
	s_add_i32 s0, s0, 1
	s_ashr_i32 s11, s0, 1
	v_add_u32_e32 v1, s22, v0
	s_cmp_gt_i32 s11, 1
	s_mov_b64 s[0:1], -1
	s_barrier
	s_cbranch_scc1 .LBB2_144
; %bb.134:
	v_cmp_gt_i32_e32 vcc, s23, v1
	s_and_saveexec_b64 s[0:1], vcc
	s_cbranch_execz .LBB2_143
; %bb.135:
	s_sub_i32 s2, s9, s23
	s_lshl_b32 s2, s2, 2
	s_add_i32 s14, s2, 0x1000
	s_lshl_b32 s2, s30, 2
	s_sub_i32 s15, 0, s2
	s_mov_b64 s[2:3], 0
	v_mov_b32_e32 v7, s13
	v_mov_b32_e32 v8, s21
	v_mov_b32_e32 v2, v1
.LBB2_136:                              ; =>This Loop Header: Depth=1
                                        ;     Child Loop BB2_138 Depth 2
                                        ;     Child Loop BB2_141 Depth 2
	v_ashrrev_i32_e32 v3, 31, v2
	v_lshlrev_b64 v[3:4], 2, v[2:3]
	v_mov_b32_e32 v10, 0
	v_add_co_u32_e32 v5, vcc, s12, v3
	v_addc_co_u32_e32 v6, vcc, v7, v4, vcc
	global_load_dwordx2 v[5:6], v[5:6], off
	s_waitcnt vmcnt(0)
	v_cmp_lt_i32_e32 vcc, v5, v6
	s_and_saveexec_b64 s[4:5], vcc
	s_cbranch_execz .LBB2_140
; %bb.137:                              ;   in Loop: Header=BB2_136 Depth=1
	v_subrev_u32_e32 v6, s30, v6
	v_subrev_u32_e32 v11, s30, v5
	v_lshl_add_u32 v5, v5, 2, s15
	v_mov_b32_e32 v10, 0
	s_mov_b64 s[8:9], 0
.LBB2_138:                              ;   Parent Loop BB2_136 Depth=1
                                        ; =>  This Inner Loop Header: Depth=2
	ds_read_b32 v12, v5
	v_add_u32_e32 v11, 1, v11
	v_cmp_ge_i32_e32 vcc, v11, v6
	v_add_u32_e32 v5, 4, v5
	s_or_b64 s[8:9], vcc, s[8:9]
	s_waitcnt lgkmcnt(0)
	v_add_f32_e32 v10, v10, v12
	s_andn2_b64 exec, exec, s[8:9]
	s_cbranch_execnz .LBB2_138
; %bb.139:                              ;   in Loop: Header=BB2_136 Depth=1
	s_or_b64 exec, exec, s[8:9]
.LBB2_140:                              ;   in Loop: Header=BB2_136 Depth=1
	s_or_b64 exec, exec, s[4:5]
	v_add_co_u32_e32 v3, vcc, s20, v3
	v_addc_co_u32_e32 v4, vcc, v8, v4, vcc
	global_load_dword v6, v[3:4], off
	v_lshl_add_u32 v5, v2, 2, s14
	ds_read_b32 v5, v5
	s_mov_b64 s[4:5], 0
	s_waitcnt lgkmcnt(0)
	v_add_f32_e32 v10, v10, v5
.LBB2_141:                              ;   Parent Loop BB2_136 Depth=1
                                        ; =>  This Inner Loop Header: Depth=2
	s_waitcnt vmcnt(0)
	v_add_f32_e32 v5, v6, v10
	global_atomic_cmpswap v5, v[3:4], v[5:6], off glc
	s_waitcnt vmcnt(0)
	v_cmp_eq_u32_e32 vcc, v5, v6
	s_or_b64 s[4:5], vcc, s[4:5]
	v_mov_b32_e32 v6, v5
	s_andn2_b64 exec, exec, s[4:5]
	s_cbranch_execnz .LBB2_141
; %bb.142:                              ;   in Loop: Header=BB2_136 Depth=1
	s_or_b64 exec, exec, s[4:5]
	v_add_u32_e32 v2, s31, v2
	v_cmp_le_i32_e32 vcc, s23, v2
	s_or_b64 s[2:3], vcc, s[2:3]
	s_andn2_b64 exec, exec, s[2:3]
	s_cbranch_execnz .LBB2_136
.LBB2_143:
	s_or_b64 exec, exec, s[0:1]
	s_mov_b64 s[0:1], 0
.LBB2_144:
	s_andn2_b64 vcc, exec, s[0:1]
	s_cbranch_vccnz .LBB2_158
; %bb.145:
	v_cvt_f32_u32_e32 v2, s11
	s_sub_i32 s0, 0, s11
	v_rcp_iflag_f32_e32 v2, v2
	v_mul_f32_e32 v2, 0x4f7ffffe, v2
	v_cvt_u32_f32_e32 v2, v2
	v_mul_lo_u32 v3, s0, v2
	v_mul_hi_u32 v3, v2, v3
	v_add_u32_e32 v2, v2, v3
	v_mul_hi_u32 v2, v0, v2
	v_mul_lo_u32 v3, v2, s11
	v_add_u32_e32 v4, 1, v2
	v_sub_u32_e32 v3, v0, v3
	v_cmp_le_u32_e32 vcc, s11, v3
	v_cndmask_b32_e32 v2, v2, v4, vcc
	v_subrev_u32_e32 v4, s11, v3
	v_cndmask_b32_e32 v3, v3, v4, vcc
	v_add_u32_e32 v4, 1, v2
	v_cmp_le_u32_e32 vcc, s11, v3
	v_cndmask_b32_e32 v4, v2, v4, vcc
	v_lshlrev_b32_e32 v2, 2, v4
	global_load_dwordx2 v[2:3], v2, s[6:7]
	v_cmp_gt_i32_e32 vcc, s25, v4
	v_mov_b32_e32 v4, 0
	s_and_saveexec_b64 s[0:1], vcc
	s_cbranch_execz .LBB2_153
; %bb.146:
	s_abs_i32 s4, s11
	v_cvt_f32_u32_e32 v4, s4
	s_sub_i32 s2, 0, s4
	s_waitcnt vmcnt(0)
	v_subrev_u32_e32 v5, s30, v3
	v_subrev_u32_e32 v2, s30, v2
	v_rcp_iflag_f32_e32 v4, v4
	v_sub_u32_e32 v8, v5, v2
	s_ashr_i32 s5, s11, 31
	v_mul_f32_e32 v4, 0x4f7ffffe, v4
	v_cvt_u32_f32_e32 v4, v4
	v_mul_lo_u32 v6, s2, v4
	v_mul_hi_u32 v3, v4, v6
	v_sub_u32_e32 v6, 0, v8
	v_max_i32_e32 v10, v8, v6
	v_ashrrev_i32_e32 v8, 31, v8
	v_add_u32_e32 v3, v4, v3
	v_mad_u64_u32 v[6:7], s[2:3], v10, v3, 0
	v_xor_b32_e32 v8, s5, v8
	s_add_i32 s2, s11, -1
	v_mul_lo_u32 v3, v7, s4
	v_add_u32_e32 v11, 1, v7
	v_and_b32_e32 v6, s2, v0
	v_mov_b32_e32 v4, 0
	v_sub_u32_e32 v3, v10, v3
	v_cmp_le_u32_e32 vcc, s4, v3
	v_subrev_u32_e32 v10, s4, v3
	v_cndmask_b32_e32 v7, v7, v11, vcc
	v_cndmask_b32_e32 v3, v3, v10, vcc
	v_add_u32_e32 v10, 1, v7
	v_cmp_le_u32_e32 vcc, s4, v3
	v_cndmask_b32_e32 v3, v7, v10, vcc
	v_xor_b32_e32 v3, v3, v8
	v_sub_u32_e32 v3, v3, v8
	v_cmp_lt_i32_e32 vcc, 0, v3
	v_lshlrev_b32_e32 v7, 2, v6
	s_and_saveexec_b64 s[2:3], vcc
	s_cbranch_execz .LBB2_150
; %bb.147:
	v_lshl_add_u32 v8, v2, 2, v7
	s_lshl_b32 s6, s11, 2
	v_mov_b32_e32 v4, 0
	s_mov_b64 s[4:5], 0
	v_mov_b32_e32 v10, v3
.LBB2_148:                              ; =>This Inner Loop Header: Depth=1
	ds_read_b32 v11, v8
	v_add_u32_e32 v10, -1, v10
	v_cmp_eq_u32_e32 vcc, 0, v10
	v_add_u32_e32 v8, s6, v8
	s_or_b64 s[4:5], vcc, s[4:5]
	s_waitcnt lgkmcnt(0)
	v_add_f32_e32 v4, v4, v11
	s_andn2_b64 exec, exec, s[4:5]
	s_cbranch_execnz .LBB2_148
; %bb.149:
	s_or_b64 exec, exec, s[4:5]
.LBB2_150:
	s_or_b64 exec, exec, s[2:3]
	v_mad_u64_u32 v[2:3], s[2:3], v3, s11, v[2:3]
	v_sub_u32_e32 v3, v5, v2
	v_cmp_lt_i32_e32 vcc, v6, v3
	s_and_saveexec_b64 s[2:3], vcc
	s_cbranch_execz .LBB2_152
; %bb.151:
	v_lshl_add_u32 v2, v2, 2, v7
	ds_read_b32 v2, v2
	s_waitcnt lgkmcnt(0)
	v_add_f32_e32 v4, v4, v2
.LBB2_152:
	s_or_b64 exec, exec, s[2:3]
.LBB2_153:
	s_or_b64 exec, exec, s[0:1]
	v_cmp_gt_i32_e32 vcc, s25, v0
	s_waitcnt vmcnt(0)
	s_barrier
	ds_write_b32 v9, v4
	s_waitcnt lgkmcnt(0)
	s_barrier
	s_and_saveexec_b64 s[0:1], vcc
	s_cbranch_execz .LBB2_158
; %bb.154:
	v_mul_lo_u32 v2, s11, v0
	v_mov_b32_e32 v3, 0
	v_lshlrev_b32_e32 v2, 2, v2
.LBB2_155:                              ; =>This Inner Loop Header: Depth=1
	ds_read_b32 v4, v2
	s_add_i32 s11, s11, -1
	v_add_u32_e32 v2, 4, v2
	s_cmp_eq_u32 s11, 0
	s_waitcnt lgkmcnt(0)
	v_add_f32_e32 v3, v3, v4
	s_cbranch_scc0 .LBB2_155
; %bb.156:
	v_ashrrev_i32_e32 v2, 31, v1
	v_lshlrev_b64 v[1:2], 2, v[1:2]
	v_mov_b32_e32 v4, s21
	v_add_co_u32_e32 v1, vcc, s20, v1
	v_addc_co_u32_e32 v2, vcc, v4, v2, vcc
	global_load_dword v4, v[1:2], off
	s_lshl_b32 s0, s10, 2
	s_addk_i32 s0, 0x1000
	v_lshl_add_u32 v0, v0, 2, s0
	ds_read_b32 v0, v0
	s_mov_b64 s[0:1], 0
	s_waitcnt lgkmcnt(0)
	v_add_f32_e32 v0, v3, v0
.LBB2_157:                              ; =>This Inner Loop Header: Depth=1
	s_waitcnt vmcnt(0)
	v_add_f32_e32 v3, v4, v0
	global_atomic_cmpswap v3, v[1:2], v[3:4], off glc
	s_waitcnt vmcnt(0)
	v_cmp_eq_u32_e32 vcc, v3, v4
	s_or_b64 s[0:1], vcc, s[0:1]
	v_mov_b32_e32 v4, v3
	s_andn2_b64 exec, exec, s[0:1]
	s_cbranch_execnz .LBB2_157
.LBB2_158:
	s_endpgm
	.section	.rodata,"a",@progbits
	.p2align	6, 0x0
	.amdhsa_kernel _ZN9rocsparseL27csrmvn_symm_adaptive_kernelIiiffffEEvbT_S1_PKS1_NS_24const_host_device_scalarIT4_EES3_PKT0_PKT1_PKT2_S6_PT3_21rocsparse_index_base_b
		.amdhsa_group_segment_fixed_size 4096
		.amdhsa_private_segment_fixed_size 0
		.amdhsa_kernarg_size 344
		.amdhsa_user_sgpr_count 6
		.amdhsa_user_sgpr_private_segment_buffer 1
		.amdhsa_user_sgpr_dispatch_ptr 0
		.amdhsa_user_sgpr_queue_ptr 0
		.amdhsa_user_sgpr_kernarg_segment_ptr 1
		.amdhsa_user_sgpr_dispatch_id 0
		.amdhsa_user_sgpr_flat_scratch_init 0
		.amdhsa_user_sgpr_private_segment_size 0
		.amdhsa_uses_dynamic_stack 0
		.amdhsa_system_sgpr_private_segment_wavefront_offset 0
		.amdhsa_system_sgpr_workgroup_id_x 1
		.amdhsa_system_sgpr_workgroup_id_y 0
		.amdhsa_system_sgpr_workgroup_id_z 0
		.amdhsa_system_sgpr_workgroup_info 0
		.amdhsa_system_vgpr_workitem_id 0
		.amdhsa_next_free_vgpr 16
		.amdhsa_next_free_sgpr 38
		.amdhsa_reserve_vcc 1
		.amdhsa_reserve_flat_scratch 0
		.amdhsa_float_round_mode_32 0
		.amdhsa_float_round_mode_16_64 0
		.amdhsa_float_denorm_mode_32 3
		.amdhsa_float_denorm_mode_16_64 3
		.amdhsa_dx10_clamp 1
		.amdhsa_ieee_mode 1
		.amdhsa_fp16_overflow 0
		.amdhsa_exception_fp_ieee_invalid_op 0
		.amdhsa_exception_fp_denorm_src 0
		.amdhsa_exception_fp_ieee_div_zero 0
		.amdhsa_exception_fp_ieee_overflow 0
		.amdhsa_exception_fp_ieee_underflow 0
		.amdhsa_exception_fp_ieee_inexact 0
		.amdhsa_exception_int_div_zero 0
	.end_amdhsa_kernel
	.section	.text._ZN9rocsparseL27csrmvn_symm_adaptive_kernelIiiffffEEvbT_S1_PKS1_NS_24const_host_device_scalarIT4_EES3_PKT0_PKT1_PKT2_S6_PT3_21rocsparse_index_base_b,"axG",@progbits,_ZN9rocsparseL27csrmvn_symm_adaptive_kernelIiiffffEEvbT_S1_PKS1_NS_24const_host_device_scalarIT4_EES3_PKT0_PKT1_PKT2_S6_PT3_21rocsparse_index_base_b,comdat
.Lfunc_end2:
	.size	_ZN9rocsparseL27csrmvn_symm_adaptive_kernelIiiffffEEvbT_S1_PKS1_NS_24const_host_device_scalarIT4_EES3_PKT0_PKT1_PKT2_S6_PT3_21rocsparse_index_base_b, .Lfunc_end2-_ZN9rocsparseL27csrmvn_symm_adaptive_kernelIiiffffEEvbT_S1_PKS1_NS_24const_host_device_scalarIT4_EES3_PKT0_PKT1_PKT2_S6_PT3_21rocsparse_index_base_b
                                        ; -- End function
	.set _ZN9rocsparseL27csrmvn_symm_adaptive_kernelIiiffffEEvbT_S1_PKS1_NS_24const_host_device_scalarIT4_EES3_PKT0_PKT1_PKT2_S6_PT3_21rocsparse_index_base_b.num_vgpr, 16
	.set _ZN9rocsparseL27csrmvn_symm_adaptive_kernelIiiffffEEvbT_S1_PKS1_NS_24const_host_device_scalarIT4_EES3_PKT0_PKT1_PKT2_S6_PT3_21rocsparse_index_base_b.num_agpr, 0
	.set _ZN9rocsparseL27csrmvn_symm_adaptive_kernelIiiffffEEvbT_S1_PKS1_NS_24const_host_device_scalarIT4_EES3_PKT0_PKT1_PKT2_S6_PT3_21rocsparse_index_base_b.numbered_sgpr, 38
	.set _ZN9rocsparseL27csrmvn_symm_adaptive_kernelIiiffffEEvbT_S1_PKS1_NS_24const_host_device_scalarIT4_EES3_PKT0_PKT1_PKT2_S6_PT3_21rocsparse_index_base_b.num_named_barrier, 0
	.set _ZN9rocsparseL27csrmvn_symm_adaptive_kernelIiiffffEEvbT_S1_PKS1_NS_24const_host_device_scalarIT4_EES3_PKT0_PKT1_PKT2_S6_PT3_21rocsparse_index_base_b.private_seg_size, 0
	.set _ZN9rocsparseL27csrmvn_symm_adaptive_kernelIiiffffEEvbT_S1_PKS1_NS_24const_host_device_scalarIT4_EES3_PKT0_PKT1_PKT2_S6_PT3_21rocsparse_index_base_b.uses_vcc, 1
	.set _ZN9rocsparseL27csrmvn_symm_adaptive_kernelIiiffffEEvbT_S1_PKS1_NS_24const_host_device_scalarIT4_EES3_PKT0_PKT1_PKT2_S6_PT3_21rocsparse_index_base_b.uses_flat_scratch, 0
	.set _ZN9rocsparseL27csrmvn_symm_adaptive_kernelIiiffffEEvbT_S1_PKS1_NS_24const_host_device_scalarIT4_EES3_PKT0_PKT1_PKT2_S6_PT3_21rocsparse_index_base_b.has_dyn_sized_stack, 0
	.set _ZN9rocsparseL27csrmvn_symm_adaptive_kernelIiiffffEEvbT_S1_PKS1_NS_24const_host_device_scalarIT4_EES3_PKT0_PKT1_PKT2_S6_PT3_21rocsparse_index_base_b.has_recursion, 0
	.set _ZN9rocsparseL27csrmvn_symm_adaptive_kernelIiiffffEEvbT_S1_PKS1_NS_24const_host_device_scalarIT4_EES3_PKT0_PKT1_PKT2_S6_PT3_21rocsparse_index_base_b.has_indirect_call, 0
	.section	.AMDGPU.csdata,"",@progbits
; Kernel info:
; codeLenInByte = 6028
; TotalNumSgprs: 42
; NumVgprs: 16
; ScratchSize: 0
; MemoryBound: 0
; FloatMode: 240
; IeeeMode: 1
; LDSByteSize: 4096 bytes/workgroup (compile time only)
; SGPRBlocks: 5
; VGPRBlocks: 3
; NumSGPRsForWavesPerEU: 42
; NumVGPRsForWavesPerEU: 16
; Occupancy: 10
; WaveLimiterHint : 1
; COMPUTE_PGM_RSRC2:SCRATCH_EN: 0
; COMPUTE_PGM_RSRC2:USER_SGPR: 6
; COMPUTE_PGM_RSRC2:TRAP_HANDLER: 0
; COMPUTE_PGM_RSRC2:TGID_X_EN: 1
; COMPUTE_PGM_RSRC2:TGID_Y_EN: 0
; COMPUTE_PGM_RSRC2:TGID_Z_EN: 0
; COMPUTE_PGM_RSRC2:TIDIG_COMP_CNT: 0
	.section	.text._ZL33csrmvn_symm_large_adaptive_kernelIiiffffEvbT_PKS0_N9rocsparse24const_host_device_scalarIT4_EES2_PKT0_PKT1_PKT2_S6_PT3_21rocsparse_index_base_b,"axG",@progbits,_ZL33csrmvn_symm_large_adaptive_kernelIiiffffEvbT_PKS0_N9rocsparse24const_host_device_scalarIT4_EES2_PKT0_PKT1_PKT2_S6_PT3_21rocsparse_index_base_b,comdat
	.globl	_ZL33csrmvn_symm_large_adaptive_kernelIiiffffEvbT_PKS0_N9rocsparse24const_host_device_scalarIT4_EES2_PKT0_PKT1_PKT2_S6_PT3_21rocsparse_index_base_b ; -- Begin function _ZL33csrmvn_symm_large_adaptive_kernelIiiffffEvbT_PKS0_N9rocsparse24const_host_device_scalarIT4_EES2_PKT0_PKT1_PKT2_S6_PT3_21rocsparse_index_base_b
	.p2align	8
	.type	_ZL33csrmvn_symm_large_adaptive_kernelIiiffffEvbT_PKS0_N9rocsparse24const_host_device_scalarIT4_EES2_PKT0_PKT1_PKT2_S6_PT3_21rocsparse_index_base_b,@function
_ZL33csrmvn_symm_large_adaptive_kernelIiiffffEvbT_PKS0_N9rocsparse24const_host_device_scalarIT4_EES2_PKT0_PKT1_PKT2_S6_PT3_21rocsparse_index_base_b: ; @_ZL33csrmvn_symm_large_adaptive_kernelIiiffffEvbT_PKS0_N9rocsparse24const_host_device_scalarIT4_EES2_PKT0_PKT1_PKT2_S6_PT3_21rocsparse_index_base_b
; %bb.0:
	s_load_dwordx2 s[10:11], s[4:5], 0x48
	s_load_dwordx2 s[20:21], s[4:5], 0x10
	;; [unrolled: 1-line block ×3, first 2 shown]
	s_waitcnt lgkmcnt(0)
	s_bitcmp1_b32 s11, 0
	s_cselect_b64 s[8:9], -1, 0
	s_xor_b64 s[2:3], s[8:9], -1
	s_and_b64 vcc, exec, s[8:9]
	s_cbranch_vccnz .LBB3_2
; %bb.1:
	s_load_dword s20, s[20:21], 0x0
.LBB3_2:
	s_andn2_b64 vcc, exec, s[2:3]
	s_cbranch_vccnz .LBB3_4
; %bb.3:
	s_load_dword s0, s[0:1], 0x0
.LBB3_4:
	s_waitcnt lgkmcnt(0)
	v_cmp_neq_f32_e64 s[2:3], s20, 0
	v_cmp_neq_f32_e64 s[0:1], s0, 1.0
	s_or_b64 s[0:1], s[2:3], s[0:1]
	s_andn2_b64 vcc, exec, s[0:1]
	s_cbranch_vccnz .LBB3_34
; %bb.5:
	s_load_dwordx2 s[0:1], s[4:5], 0x8
	s_ashr_i32 s7, s6, 31
	s_lshl_b64 s[2:3], s[6:7], 2
	v_lshlrev_b32_e32 v6, 2, v0
	v_mov_b32_e32 v7, 0
	s_waitcnt lgkmcnt(0)
	s_add_u32 s0, s0, s2
	s_addc_u32 s1, s1, s3
	ds_write2st64_b32 v6, v7, v7 offset1:4
	ds_write2st64_b32 v6, v7, v7 offset0:8 offset1:12
	s_waitcnt lgkmcnt(0)
	s_barrier
	s_load_dwordx2 s[22:23], s[0:1], 0x0
	s_load_dwordx8 s[12:19], s[4:5], 0x18
	s_load_dwordx2 s[24:25], s[4:5], 0x40
	v_subrev_u32_e32 v5, s10, v0
	s_waitcnt lgkmcnt(0)
	s_cmp_ge_i32 s22, s23
	s_cbranch_scc1 .LBB3_24
; %bb.6:
	v_cmp_gt_u32_e64 s[0:1], 64, v0
	v_cmp_gt_u32_e64 s[2:3], 16, v0
	;; [unrolled: 1-line block ×3, first 2 shown]
	v_cmp_eq_u32_e64 s[6:7], 0, v0
	s_mov_b32 s26, s22
	s_branch .LBB3_8
.LBB3_7:                                ;   in Loop: Header=BB3_8 Depth=1
	s_or_b64 exec, exec, s[8:9]
	s_add_i32 s26, s26, 1
	s_cmp_ge_i32 s26, s23
	s_cbranch_scc1 .LBB3_24
.LBB3_8:                                ; =>This Loop Header: Depth=1
                                        ;     Child Loop BB3_10 Depth 2
                                        ;     Child Loop BB3_23 Depth 2
	s_ashr_i32 s27, s26, 31
	s_lshl_b64 s[28:29], s[26:27], 2
	s_add_u32 s8, s12, s28
	s_addc_u32 s9, s13, s29
	s_load_dwordx2 s[30:31], s[8:9], 0x0
	v_mov_b32_e32 v8, 0
	s_waitcnt lgkmcnt(0)
	s_sub_i32 s11, s31, s10
	v_add_u32_e32 v0, s30, v5
	v_cmp_gt_i32_e32 vcc, s11, v0
	s_and_saveexec_b64 s[30:31], vcc
	s_cbranch_execz .LBB3_12
; %bb.9:                                ;   in Loop: Header=BB3_8 Depth=1
	v_ashrrev_i32_e32 v1, 31, v0
	v_lshlrev_b64 v[3:4], 2, v[0:1]
	v_mov_b32_e32 v2, s15
	v_add_co_u32_e32 v1, vcc, s14, v3
	v_addc_co_u32_e32 v2, vcc, v2, v4, vcc
	v_mov_b32_e32 v8, s17
	v_add_co_u32_e32 v3, vcc, s16, v3
	v_addc_co_u32_e32 v4, vcc, v8, v4, vcc
	v_mov_b32_e32 v8, 0
	s_mov_b64 s[34:35], 0
.LBB3_10:                               ;   Parent Loop BB3_8 Depth=1
                                        ; =>  This Inner Loop Header: Depth=2
	global_load_dword v9, v[1:2], off
	global_load_dword v11, v[3:4], off
	v_mov_b32_e32 v12, s19
	v_add_u32_e32 v0, 0x100, v0
	v_cmp_le_i32_e64 s[8:9], s11, v0
	s_or_b64 s[34:35], s[8:9], s[34:35]
	s_waitcnt vmcnt(1)
	v_subrev_u32_e32 v9, s10, v9
	v_ashrrev_i32_e32 v10, 31, v9
	v_lshlrev_b64 v[9:10], 2, v[9:10]
	v_add_co_u32_e32 v9, vcc, s18, v9
	v_addc_co_u32_e32 v10, vcc, v12, v10, vcc
	global_load_dword v9, v[9:10], off
	v_add_co_u32_e32 v1, vcc, 0x400, v1
	v_addc_co_u32_e32 v2, vcc, 0, v2, vcc
	v_add_co_u32_e32 v3, vcc, 0x400, v3
	v_addc_co_u32_e32 v4, vcc, 0, v4, vcc
	s_waitcnt vmcnt(0)
	v_fmac_f32_e32 v8, v11, v9
	s_andn2_b64 exec, exec, s[34:35]
	s_cbranch_execnz .LBB3_10
; %bb.11:                               ;   in Loop: Header=BB3_8 Depth=1
	s_or_b64 exec, exec, s[34:35]
.LBB3_12:                               ;   in Loop: Header=BB3_8 Depth=1
	s_or_b64 exec, exec, s[30:31]
	ds_write_b32 v6, v8
	s_waitcnt lgkmcnt(0)
	s_barrier
	ds_read2st64_b32 v[0:1], v6 offset1:4
	ds_read2st64_b32 v[2:3], v6 offset0:8 offset1:12
	s_waitcnt lgkmcnt(0)
	v_add_f32_e32 v1, v1, v2
	v_add_f32_e32 v1, v1, v3
	;; [unrolled: 1-line block ×3, first 2 shown]
	ds_write_b32 v6, v0
	s_waitcnt lgkmcnt(0)
	s_barrier
	s_and_saveexec_b64 s[8:9], s[0:1]
	s_cbranch_execz .LBB3_14
; %bb.13:                               ;   in Loop: Header=BB3_8 Depth=1
	ds_read2st64_b32 v[0:1], v6 offset1:1
	ds_read2st64_b32 v[2:3], v6 offset0:2 offset1:3
	s_waitcnt lgkmcnt(0)
	v_add_f32_e32 v1, v1, v2
	v_add_f32_e32 v1, v1, v3
	;; [unrolled: 1-line block ×3, first 2 shown]
	ds_write_b32 v6, v0
.LBB3_14:                               ;   in Loop: Header=BB3_8 Depth=1
	s_or_b64 exec, exec, s[8:9]
	s_waitcnt lgkmcnt(0)
	s_barrier
	s_and_saveexec_b64 s[8:9], s[2:3]
	s_cbranch_execz .LBB3_16
; %bb.15:                               ;   in Loop: Header=BB3_8 Depth=1
	ds_read2_b32 v[0:1], v6 offset1:16
	ds_read2_b32 v[2:3], v6 offset0:32 offset1:48
	s_waitcnt lgkmcnt(0)
	v_add_f32_e32 v1, v1, v2
	v_add_f32_e32 v1, v1, v3
	;; [unrolled: 1-line block ×3, first 2 shown]
	ds_write_b32 v6, v0
.LBB3_16:                               ;   in Loop: Header=BB3_8 Depth=1
	s_or_b64 exec, exec, s[8:9]
	s_waitcnt lgkmcnt(0)
	s_barrier
	s_and_saveexec_b64 s[8:9], s[4:5]
	s_cbranch_execz .LBB3_18
; %bb.17:                               ;   in Loop: Header=BB3_8 Depth=1
	ds_read2_b32 v[0:1], v6 offset1:4
	ds_read2_b32 v[2:3], v6 offset0:8 offset1:12
	s_waitcnt lgkmcnt(0)
	v_add_f32_e32 v1, v1, v2
	v_add_f32_e32 v1, v1, v3
	;; [unrolled: 1-line block ×3, first 2 shown]
	ds_write_b32 v6, v0
.LBB3_18:                               ;   in Loop: Header=BB3_8 Depth=1
	s_or_b64 exec, exec, s[8:9]
	s_waitcnt lgkmcnt(0)
	s_barrier
	s_and_saveexec_b64 s[8:9], s[6:7]
	s_cbranch_execz .LBB3_20
; %bb.19:                               ;   in Loop: Header=BB3_8 Depth=1
	ds_read2_b32 v[0:1], v7 offset0:1 offset1:2
	ds_read_b32 v2, v7 offset:12
	ds_read_b32 v3, v6
	s_waitcnt lgkmcnt(2)
	v_add_f32_e32 v0, v0, v1
	s_waitcnt lgkmcnt(1)
	v_add_f32_e32 v0, v0, v2
	s_waitcnt lgkmcnt(0)
	v_add_f32_e32 v0, v3, v0
	ds_write_b32 v6, v0
.LBB3_20:                               ;   in Loop: Header=BB3_8 Depth=1
	s_or_b64 exec, exec, s[8:9]
	s_waitcnt lgkmcnt(0)
	s_barrier
	s_and_saveexec_b64 s[8:9], s[6:7]
	s_cbranch_execz .LBB3_7
; %bb.21:                               ;   in Loop: Header=BB3_8 Depth=1
	s_mov_b64 s[30:31], exec
	v_mbcnt_lo_u32_b32 v0, s30, 0
	v_mbcnt_hi_u32_b32 v0, s31, v0
	v_cmp_eq_u32_e32 vcc, 0, v0
	s_and_b64 s[34:35], exec, vcc
	s_mov_b64 exec, s[34:35]
	s_cbranch_execz .LBB3_7
; %bb.22:                               ;   in Loop: Header=BB3_8 Depth=1
	s_add_u32 s28, s24, s28
	s_addc_u32 s29, s25, s29
	global_load_dword v1, v7, s[28:29]
	ds_read_b32 v0, v7
	s_bcnt1_i32_b64 s11, s[30:31]
	v_cvt_f32_ubyte0_e32 v2, s11
	s_mov_b64 s[30:31], 0
	s_waitcnt lgkmcnt(0)
	v_mul_f32_e32 v0, s20, v0
	v_mul_f32_e32 v2, v0, v2
.LBB3_23:                               ;   Parent Loop BB3_8 Depth=1
                                        ; =>  This Inner Loop Header: Depth=2
	s_waitcnt vmcnt(0)
	v_add_f32_e32 v0, v1, v2
	global_atomic_cmpswap v0, v7, v[0:1], s[28:29] glc
	s_waitcnt vmcnt(0)
	v_cmp_eq_u32_e32 vcc, v0, v1
	s_or_b64 s[30:31], vcc, s[30:31]
	v_mov_b32_e32 v1, v0
	s_andn2_b64 exec, exec, s[30:31]
	s_cbranch_execnz .LBB3_23
	s_branch .LBB3_7
.LBB3_24:
	s_ashr_i32 s1, s22, 31
	s_mov_b32 s0, s22
	s_lshl_b64 s[0:1], s[0:1], 2
	s_add_u32 s0, s12, s0
	s_addc_u32 s1, s13, s1
	s_ashr_i32 s3, s23, 31
	s_mov_b32 s2, s23
	s_lshl_b64 s[2:3], s[2:3], 2
	s_add_u32 s2, s12, s2
	s_addc_u32 s3, s13, s3
	s_load_dword s4, s[2:3], 0x0
	s_load_dword s5, s[0:1], 0x0
	s_waitcnt lgkmcnt(0)
	s_sub_i32 s8, s4, s10
	v_add_u32_e32 v0, s5, v5
	v_cmp_gt_i32_e32 vcc, s8, v0
	s_and_saveexec_b64 s[0:1], vcc
	s_cbranch_execz .LBB3_34
; %bb.25:
	s_add_i32 s9, s23, -1
	s_cmp_lt_i32 s22, s9
	s_cselect_b64 s[0:1], -1, 0
	s_add_i32 s2, s23, -2
	s_cmp_lg_u32 s22, s2
	s_cselect_b64 s[2:3], -1, 0
	s_and_b64 s[0:1], s[0:1], s[2:3]
	v_cndmask_b32_e64 v1, 0, 1, s[0:1]
	s_mov_b64 s[4:5], 0
	v_cmp_ne_u32_e64 s[0:1], 1, v1
	v_mov_b32_e32 v7, s13
	v_mov_b32_e32 v8, s15
	s_branch .LBB3_27
.LBB3_26:                               ;   in Loop: Header=BB3_27 Depth=1
	s_or_b64 exec, exec, s[2:3]
	v_add_u32_e32 v0, 0x100, v0
	v_cmp_le_i32_e32 vcc, s8, v0
	s_or_b64 s[4:5], vcc, s[4:5]
	s_andn2_b64 exec, exec, s[4:5]
	s_cbranch_execz .LBB3_34
.LBB3_27:                               ; =>This Loop Header: Depth=1
                                        ;     Child Loop BB3_29 Depth 2
                                        ;     Child Loop BB3_33 Depth 2
	s_and_b64 vcc, exec, s[0:1]
	v_mov_b32_e32 v5, s22
	v_mov_b32_e32 v2, s9
	s_cbranch_vccnz .LBB3_31
; %bb.28:                               ;   in Loop: Header=BB3_27 Depth=1
	s_mov_b64 s[6:7], 0
	v_mov_b32_e32 v5, s22
	v_mov_b32_e32 v2, s9
.LBB3_29:                               ;   Parent Loop BB3_27 Depth=1
                                        ; =>  This Inner Loop Header: Depth=2
	v_add_u32_e32 v1, v2, v5
	v_lshrrev_b32_e32 v3, 31, v1
	v_add_u32_e32 v1, v1, v3
	v_ashrrev_i32_e32 v3, 1, v1
	v_ashrrev_i32_e32 v4, 31, v3
	v_lshlrev_b64 v[9:10], 2, v[3:4]
	v_mov_b32_e32 v6, s13
	v_add_co_u32_e32 v9, vcc, s12, v9
	v_addc_co_u32_e32 v10, vcc, v6, v10, vcc
	global_load_dword v1, v[9:10], off
	s_waitcnt vmcnt(0)
	v_subrev_u32_e32 v1, s10, v1
	v_cmp_lt_i32_e32 vcc, v0, v1
	v_cndmask_b32_e32 v2, v2, v3, vcc
	v_cndmask_b32_e32 v5, v3, v5, vcc
	v_add_u32_e32 v1, -1, v2
	v_cmp_ge_i32_e32 vcc, v5, v2
	v_cmp_eq_u32_e64 s[2:3], v5, v1
	s_or_b64 s[2:3], vcc, s[2:3]
	s_and_b64 s[2:3], exec, s[2:3]
	s_or_b64 s[6:7], s[2:3], s[6:7]
	s_andn2_b64 exec, exec, s[6:7]
	s_cbranch_execnz .LBB3_29
; %bb.30:                               ;   in Loop: Header=BB3_27 Depth=1
	s_or_b64 exec, exec, s[6:7]
.LBB3_31:                               ;   in Loop: Header=BB3_27 Depth=1
	v_ashrrev_i32_e32 v3, 31, v2
	v_lshlrev_b64 v[3:4], 2, v[2:3]
	v_ashrrev_i32_e32 v1, 31, v0
	v_add_co_u32_e32 v3, vcc, s12, v3
	v_addc_co_u32_e32 v4, vcc, v7, v4, vcc
	global_load_dword v6, v[3:4], off
	v_lshlrev_b64 v[3:4], 2, v[0:1]
	v_add_co_u32_e32 v9, vcc, s14, v3
	v_addc_co_u32_e32 v10, vcc, v8, v4, vcc
	global_load_dword v9, v[9:10], off
	s_waitcnt vmcnt(1)
	v_subrev_u32_e32 v1, s10, v6
	v_cmp_lt_i32_e32 vcc, v0, v1
	v_cndmask_b32_e32 v1, v2, v5, vcc
	s_waitcnt vmcnt(0)
	v_subrev_u32_e32 v5, s10, v9
	v_cmp_ne_u32_e32 vcc, v5, v1
	s_and_saveexec_b64 s[2:3], vcc
	s_cbranch_execz .LBB3_26
; %bb.32:                               ;   in Loop: Header=BB3_27 Depth=1
	v_mov_b32_e32 v10, s17
	v_add_co_u32_e32 v2, vcc, s16, v3
	v_addc_co_u32_e32 v3, vcc, v10, v4, vcc
	global_load_dword v3, v[2:3], off
	v_ashrrev_i32_e32 v2, 31, v1
	v_lshlrev_b64 v[1:2], 2, v[1:2]
	v_ashrrev_i32_e32 v6, 31, v5
	v_lshlrev_b64 v[5:6], 2, v[5:6]
	v_mov_b32_e32 v4, s19
	v_add_co_u32_e32 v1, vcc, s18, v1
	v_addc_co_u32_e32 v2, vcc, v4, v2, vcc
	v_mov_b32_e32 v9, s25
	global_load_dword v10, v[1:2], off
	v_add_co_u32_e32 v1, vcc, s24, v5
	v_addc_co_u32_e32 v2, vcc, v9, v6, vcc
	global_load_dword v4, v[1:2], off
	s_mov_b64 s[6:7], 0
	s_waitcnt vmcnt(2)
	v_mul_f32_e32 v3, s20, v3
	s_waitcnt vmcnt(1)
	v_mul_f32_e32 v5, v3, v10
.LBB3_33:                               ;   Parent Loop BB3_27 Depth=1
                                        ; =>  This Inner Loop Header: Depth=2
	s_waitcnt vmcnt(0)
	v_add_f32_e32 v3, v4, v5
	global_atomic_cmpswap v3, v[1:2], v[3:4], off glc
	s_waitcnt vmcnt(0)
	v_cmp_eq_u32_e32 vcc, v3, v4
	s_or_b64 s[6:7], vcc, s[6:7]
	v_mov_b32_e32 v4, v3
	s_andn2_b64 exec, exec, s[6:7]
	s_cbranch_execnz .LBB3_33
	s_branch .LBB3_26
.LBB3_34:
	s_endpgm
	.section	.rodata,"a",@progbits
	.p2align	6, 0x0
	.amdhsa_kernel _ZL33csrmvn_symm_large_adaptive_kernelIiiffffEvbT_PKS0_N9rocsparse24const_host_device_scalarIT4_EES2_PKT0_PKT1_PKT2_S6_PT3_21rocsparse_index_base_b
		.amdhsa_group_segment_fixed_size 4096
		.amdhsa_private_segment_fixed_size 0
		.amdhsa_kernarg_size 80
		.amdhsa_user_sgpr_count 6
		.amdhsa_user_sgpr_private_segment_buffer 1
		.amdhsa_user_sgpr_dispatch_ptr 0
		.amdhsa_user_sgpr_queue_ptr 0
		.amdhsa_user_sgpr_kernarg_segment_ptr 1
		.amdhsa_user_sgpr_dispatch_id 0
		.amdhsa_user_sgpr_flat_scratch_init 0
		.amdhsa_user_sgpr_private_segment_size 0
		.amdhsa_uses_dynamic_stack 0
		.amdhsa_system_sgpr_private_segment_wavefront_offset 0
		.amdhsa_system_sgpr_workgroup_id_x 1
		.amdhsa_system_sgpr_workgroup_id_y 0
		.amdhsa_system_sgpr_workgroup_id_z 0
		.amdhsa_system_sgpr_workgroup_info 0
		.amdhsa_system_vgpr_workitem_id 0
		.amdhsa_next_free_vgpr 13
		.amdhsa_next_free_sgpr 36
		.amdhsa_reserve_vcc 1
		.amdhsa_reserve_flat_scratch 0
		.amdhsa_float_round_mode_32 0
		.amdhsa_float_round_mode_16_64 0
		.amdhsa_float_denorm_mode_32 3
		.amdhsa_float_denorm_mode_16_64 3
		.amdhsa_dx10_clamp 1
		.amdhsa_ieee_mode 1
		.amdhsa_fp16_overflow 0
		.amdhsa_exception_fp_ieee_invalid_op 0
		.amdhsa_exception_fp_denorm_src 0
		.amdhsa_exception_fp_ieee_div_zero 0
		.amdhsa_exception_fp_ieee_overflow 0
		.amdhsa_exception_fp_ieee_underflow 0
		.amdhsa_exception_fp_ieee_inexact 0
		.amdhsa_exception_int_div_zero 0
	.end_amdhsa_kernel
	.section	.text._ZL33csrmvn_symm_large_adaptive_kernelIiiffffEvbT_PKS0_N9rocsparse24const_host_device_scalarIT4_EES2_PKT0_PKT1_PKT2_S6_PT3_21rocsparse_index_base_b,"axG",@progbits,_ZL33csrmvn_symm_large_adaptive_kernelIiiffffEvbT_PKS0_N9rocsparse24const_host_device_scalarIT4_EES2_PKT0_PKT1_PKT2_S6_PT3_21rocsparse_index_base_b,comdat
.Lfunc_end3:
	.size	_ZL33csrmvn_symm_large_adaptive_kernelIiiffffEvbT_PKS0_N9rocsparse24const_host_device_scalarIT4_EES2_PKT0_PKT1_PKT2_S6_PT3_21rocsparse_index_base_b, .Lfunc_end3-_ZL33csrmvn_symm_large_adaptive_kernelIiiffffEvbT_PKS0_N9rocsparse24const_host_device_scalarIT4_EES2_PKT0_PKT1_PKT2_S6_PT3_21rocsparse_index_base_b
                                        ; -- End function
	.set _ZL33csrmvn_symm_large_adaptive_kernelIiiffffEvbT_PKS0_N9rocsparse24const_host_device_scalarIT4_EES2_PKT0_PKT1_PKT2_S6_PT3_21rocsparse_index_base_b.num_vgpr, 13
	.set _ZL33csrmvn_symm_large_adaptive_kernelIiiffffEvbT_PKS0_N9rocsparse24const_host_device_scalarIT4_EES2_PKT0_PKT1_PKT2_S6_PT3_21rocsparse_index_base_b.num_agpr, 0
	.set _ZL33csrmvn_symm_large_adaptive_kernelIiiffffEvbT_PKS0_N9rocsparse24const_host_device_scalarIT4_EES2_PKT0_PKT1_PKT2_S6_PT3_21rocsparse_index_base_b.numbered_sgpr, 36
	.set _ZL33csrmvn_symm_large_adaptive_kernelIiiffffEvbT_PKS0_N9rocsparse24const_host_device_scalarIT4_EES2_PKT0_PKT1_PKT2_S6_PT3_21rocsparse_index_base_b.num_named_barrier, 0
	.set _ZL33csrmvn_symm_large_adaptive_kernelIiiffffEvbT_PKS0_N9rocsparse24const_host_device_scalarIT4_EES2_PKT0_PKT1_PKT2_S6_PT3_21rocsparse_index_base_b.private_seg_size, 0
	.set _ZL33csrmvn_symm_large_adaptive_kernelIiiffffEvbT_PKS0_N9rocsparse24const_host_device_scalarIT4_EES2_PKT0_PKT1_PKT2_S6_PT3_21rocsparse_index_base_b.uses_vcc, 1
	.set _ZL33csrmvn_symm_large_adaptive_kernelIiiffffEvbT_PKS0_N9rocsparse24const_host_device_scalarIT4_EES2_PKT0_PKT1_PKT2_S6_PT3_21rocsparse_index_base_b.uses_flat_scratch, 0
	.set _ZL33csrmvn_symm_large_adaptive_kernelIiiffffEvbT_PKS0_N9rocsparse24const_host_device_scalarIT4_EES2_PKT0_PKT1_PKT2_S6_PT3_21rocsparse_index_base_b.has_dyn_sized_stack, 0
	.set _ZL33csrmvn_symm_large_adaptive_kernelIiiffffEvbT_PKS0_N9rocsparse24const_host_device_scalarIT4_EES2_PKT0_PKT1_PKT2_S6_PT3_21rocsparse_index_base_b.has_recursion, 0
	.set _ZL33csrmvn_symm_large_adaptive_kernelIiiffffEvbT_PKS0_N9rocsparse24const_host_device_scalarIT4_EES2_PKT0_PKT1_PKT2_S6_PT3_21rocsparse_index_base_b.has_indirect_call, 0
	.section	.AMDGPU.csdata,"",@progbits
; Kernel info:
; codeLenInByte = 1484
; TotalNumSgprs: 40
; NumVgprs: 13
; ScratchSize: 0
; MemoryBound: 0
; FloatMode: 240
; IeeeMode: 1
; LDSByteSize: 4096 bytes/workgroup (compile time only)
; SGPRBlocks: 4
; VGPRBlocks: 3
; NumSGPRsForWavesPerEU: 40
; NumVGPRsForWavesPerEU: 13
; Occupancy: 10
; WaveLimiterHint : 1
; COMPUTE_PGM_RSRC2:SCRATCH_EN: 0
; COMPUTE_PGM_RSRC2:USER_SGPR: 6
; COMPUTE_PGM_RSRC2:TRAP_HANDLER: 0
; COMPUTE_PGM_RSRC2:TGID_X_EN: 1
; COMPUTE_PGM_RSRC2:TGID_Y_EN: 0
; COMPUTE_PGM_RSRC2:TGID_Z_EN: 0
; COMPUTE_PGM_RSRC2:TIDIG_COMP_CNT: 0
	.section	.text._ZN9rocsparseL22csrmvn_adaptive_kernelIliffffEEvbT_PKS1_PjPKT0_NS_24const_host_device_scalarIT4_EES3_S7_PKT1_PKT2_SA_PT3_21rocsparse_index_base_b,"axG",@progbits,_ZN9rocsparseL22csrmvn_adaptive_kernelIliffffEEvbT_PKS1_PjPKT0_NS_24const_host_device_scalarIT4_EES3_S7_PKT1_PKT2_SA_PT3_21rocsparse_index_base_b,comdat
	.globl	_ZN9rocsparseL22csrmvn_adaptive_kernelIliffffEEvbT_PKS1_PjPKT0_NS_24const_host_device_scalarIT4_EES3_S7_PKT1_PKT2_SA_PT3_21rocsparse_index_base_b ; -- Begin function _ZN9rocsparseL22csrmvn_adaptive_kernelIliffffEEvbT_PKS1_PjPKT0_NS_24const_host_device_scalarIT4_EES3_S7_PKT1_PKT2_SA_PT3_21rocsparse_index_base_b
	.p2align	8
	.type	_ZN9rocsparseL22csrmvn_adaptive_kernelIliffffEEvbT_PKS1_PjPKT0_NS_24const_host_device_scalarIT4_EES3_S7_PKT1_PKT2_SA_PT3_21rocsparse_index_base_b,@function
_ZN9rocsparseL22csrmvn_adaptive_kernelIliffffEEvbT_PKS1_PjPKT0_NS_24const_host_device_scalarIT4_EES3_S7_PKT1_PKT2_SA_PT3_21rocsparse_index_base_b: ; @_ZN9rocsparseL22csrmvn_adaptive_kernelIliffffEEvbT_PKS1_PjPKT0_NS_24const_host_device_scalarIT4_EES3_S7_PKT1_PKT2_SA_PT3_21rocsparse_index_base_b
; %bb.0:
	s_load_dwordx2 s[48:49], s[4:5], 0x60
	s_load_dwordx2 s[46:47], s[4:5], 0x28
	;; [unrolled: 1-line block ×3, first 2 shown]
	s_waitcnt lgkmcnt(0)
	s_bitcmp1_b32 s49, 0
	s_cselect_b64 s[2:3], -1, 0
	s_xor_b64 s[0:1], s[2:3], -1
	s_and_b64 vcc, exec, s[2:3]
	s_cbranch_vccnz .LBB4_2
; %bb.1:
	s_load_dword s46, s[46:47], 0x0
.LBB4_2:
	s_andn2_b64 vcc, exec, s[0:1]
	s_cbranch_vccnz .LBB4_4
; %bb.3:
	s_load_dword s34, s[34:35], 0x0
.LBB4_4:
	s_waitcnt lgkmcnt(0)
	v_cmp_neq_f32_e64 s[0:1], s46, 0
	v_cmp_neq_f32_e64 s[2:3], s34, 1.0
	s_or_b64 s[0:1], s[0:1], s[2:3]
	s_andn2_b64 vcc, exec, s[0:1]
	s_cbranch_vccnz .LBB4_116
; %bb.5:
	s_load_dwordx2 s[0:1], s[4:5], 0x10
	s_load_dwordx2 s[8:9], s[4:5], 0x20
	s_ashr_i32 s7, s6, 31
	s_lshl_b64 s[2:3], s[6:7], 3
	s_waitcnt lgkmcnt(0)
	s_add_u32 s0, s0, s2
	s_addc_u32 s1, s1, s3
	s_load_dwordx4 s[36:39], s[0:1], 0x0
	s_load_dwordx2 s[40:41], s[4:5], 0x58
	s_load_dwordx8 s[24:31], s[4:5], 0x30
	s_lshl_b64 s[50:51], s[6:7], 2
	s_waitcnt lgkmcnt(0)
	s_sub_i32 s2, s38, s36
	s_add_u32 s0, s8, s50
	s_addc_u32 s1, s9, s51
	s_lshl_b64 s[8:9], s[36:37], 3
	s_add_u32 s42, s24, s8
	s_addc_u32 s43, s25, s9
	s_load_dword s33, s[0:1], 0x0
	s_load_dwordx2 s[44:45], s[42:43], 0x0
	s_cmp_lt_i32 s2, 2
	s_mov_b64 s[0:1], -1
	s_cbranch_scc0 .LBB4_72
; %bb.6:
	s_cmp_lg_u32 s2, 1
	s_cselect_b64 s[0:1], -1, 0
	s_waitcnt lgkmcnt(0)
	s_cmp_lg_u32 s33, 0
	s_cselect_b64 s[2:3], -1, 0
	s_or_b64 s[2:3], s[0:1], s[2:3]
	s_mov_b64 s[0:1], -1
	s_and_b64 vcc, exec, s[2:3]
	s_cbranch_vccnz .LBB4_35
; %bb.7:
	v_mov_b32_e32 v1, s36
	v_mov_b32_e32 v2, s37
	v_cmp_le_i64_e32 vcc, s[38:39], v[1:2]
	s_cbranch_vccnz .LBB4_34
; %bb.8:
	v_subrev_co_u32_e32 v10, vcc, s48, v0
	v_cmp_neq_f32_e64 s[20:21], s34, 0
	v_subb_co_u32_e64 v11, s[0:1], 0, 0, vcc
	v_cndmask_b32_e64 v1, 0, 1, s[20:21]
	s_movk_i32 s0, 0x80
	v_cmp_ne_u32_e64 s[20:21], 1, v1
	v_mov_b32_e32 v1, s38
	v_mov_b32_e32 v9, 0
	v_lshlrev_b32_e32 v12, 2, v0
	v_cmp_gt_u32_e64 s[0:1], s0, v0
	v_cmp_gt_u32_e64 s[2:3], 64, v0
	;; [unrolled: 1-line block ×7, first 2 shown]
	v_cmp_eq_u32_e64 s[18:19], 0, v0
	v_mov_b32_e32 v2, s39
	s_movk_i32 s7, 0x100
	s_mov_b64 s[52:53], s[36:37]
	s_branch .LBB4_11
.LBB4_9:                                ;   in Loop: Header=BB4_11 Depth=1
	s_lshl_b64 s[54:55], s[52:53], 2
	s_add_u32 s54, s40, s54
	s_addc_u32 s55, s41, s55
	s_waitcnt lgkmcnt(0)
	global_store_dword v9, v3, s[54:55]
.LBB4_10:                               ;   in Loop: Header=BB4_11 Depth=1
	s_or_b64 exec, exec, s[22:23]
	s_add_u32 s52, s52, 1
	s_addc_u32 s53, s53, 0
	v_cmp_ge_i64_e32 vcc, s[52:53], v[1:2]
	s_cbranch_vccnz .LBB4_34
.LBB4_11:                               ; =>This Loop Header: Depth=1
                                        ;     Child Loop BB4_13 Depth 2
	s_lshl_b64 s[22:23], s[52:53], 3
	s_add_u32 s22, s24, s22
	s_addc_u32 s23, s25, s23
	s_load_dwordx4 s[56:59], s[22:23], 0x0
	v_mov_b32_e32 v13, 0
	s_waitcnt lgkmcnt(0)
	s_sub_u32 s54, s58, s48
	v_mov_b32_e32 v4, s57
	v_add_co_u32_e32 v3, vcc, s56, v10
	s_subb_u32 s55, s59, 0
	v_addc_co_u32_e32 v4, vcc, v4, v11, vcc
	v_cmp_gt_i64_e32 vcc, s[54:55], v[3:4]
	s_and_saveexec_b64 s[56:57], vcc
	s_cbranch_execz .LBB4_15
; %bb.12:                               ;   in Loop: Header=BB4_11 Depth=1
	v_lshlrev_b64 v[7:8], 2, v[3:4]
	v_mov_b32_e32 v6, s29
	v_add_co_u32_e32 v5, vcc, s28, v7
	v_addc_co_u32_e32 v6, vcc, v6, v8, vcc
	v_mov_b32_e32 v13, s27
	v_add_co_u32_e32 v7, vcc, s26, v7
	v_addc_co_u32_e32 v8, vcc, v13, v8, vcc
	v_mov_b32_e32 v13, 0
	s_mov_b64 s[58:59], 0
.LBB4_13:                               ;   Parent Loop BB4_11 Depth=1
                                        ; =>  This Inner Loop Header: Depth=2
	global_load_dword v14, v[7:8], off
	global_load_dword v16, v[5:6], off
	v_mov_b32_e32 v17, s31
	s_waitcnt vmcnt(1)
	v_subrev_u32_e32 v14, s48, v14
	v_ashrrev_i32_e32 v15, 31, v14
	v_lshlrev_b64 v[14:15], 2, v[14:15]
	v_add_co_u32_e32 v14, vcc, s30, v14
	v_addc_co_u32_e32 v15, vcc, v17, v15, vcc
	global_load_dword v14, v[14:15], off
	v_add_co_u32_e32 v3, vcc, s7, v3
	v_addc_co_u32_e32 v4, vcc, 0, v4, vcc
	v_add_co_u32_e32 v5, vcc, 0x400, v5
	v_addc_co_u32_e32 v6, vcc, 0, v6, vcc
	v_cmp_le_i64_e64 s[22:23], s[54:55], v[3:4]
	v_add_co_u32_e32 v7, vcc, 0x400, v7
	s_waitcnt vmcnt(1)
	v_mul_f32_e32 v15, s46, v16
	v_addc_co_u32_e32 v8, vcc, 0, v8, vcc
	s_or_b64 s[58:59], s[22:23], s[58:59]
	s_waitcnt vmcnt(0)
	v_fmac_f32_e32 v13, v15, v14
	s_andn2_b64 exec, exec, s[58:59]
	s_cbranch_execnz .LBB4_13
; %bb.14:                               ;   in Loop: Header=BB4_11 Depth=1
	s_or_b64 exec, exec, s[58:59]
.LBB4_15:                               ;   in Loop: Header=BB4_11 Depth=1
	s_or_b64 exec, exec, s[56:57]
	ds_write_b32 v12, v13
	s_waitcnt vmcnt(0) lgkmcnt(0)
	s_barrier
	s_and_saveexec_b64 s[22:23], s[0:1]
	s_cbranch_execz .LBB4_17
; %bb.16:                               ;   in Loop: Header=BB4_11 Depth=1
	ds_read2st64_b32 v[3:4], v12 offset1:2
	s_waitcnt lgkmcnt(0)
	v_add_f32_e32 v3, v3, v4
	ds_write_b32 v12, v3
.LBB4_17:                               ;   in Loop: Header=BB4_11 Depth=1
	s_or_b64 exec, exec, s[22:23]
	s_waitcnt lgkmcnt(0)
	s_barrier
	s_and_saveexec_b64 s[22:23], s[2:3]
	s_cbranch_execz .LBB4_19
; %bb.18:                               ;   in Loop: Header=BB4_11 Depth=1
	ds_read2st64_b32 v[3:4], v12 offset1:1
	s_waitcnt lgkmcnt(0)
	v_add_f32_e32 v3, v3, v4
	ds_write_b32 v12, v3
.LBB4_19:                               ;   in Loop: Header=BB4_11 Depth=1
	s_or_b64 exec, exec, s[22:23]
	s_waitcnt lgkmcnt(0)
	s_barrier
	s_and_saveexec_b64 s[22:23], s[8:9]
	s_cbranch_execz .LBB4_21
; %bb.20:                               ;   in Loop: Header=BB4_11 Depth=1
	ds_read2_b32 v[3:4], v12 offset1:32
	s_waitcnt lgkmcnt(0)
	v_add_f32_e32 v3, v3, v4
	ds_write_b32 v12, v3
.LBB4_21:                               ;   in Loop: Header=BB4_11 Depth=1
	s_or_b64 exec, exec, s[22:23]
	s_waitcnt lgkmcnt(0)
	s_barrier
	s_and_saveexec_b64 s[22:23], s[10:11]
	s_cbranch_execz .LBB4_23
; %bb.22:                               ;   in Loop: Header=BB4_11 Depth=1
	ds_read2_b32 v[3:4], v12 offset1:16
	s_waitcnt lgkmcnt(0)
	v_add_f32_e32 v3, v3, v4
	ds_write_b32 v12, v3
.LBB4_23:                               ;   in Loop: Header=BB4_11 Depth=1
	;; [unrolled: 11-line block ×5, first 2 shown]
	s_or_b64 exec, exec, s[22:23]
	s_waitcnt lgkmcnt(0)
	s_barrier
	s_and_saveexec_b64 s[22:23], s[18:19]
	s_cbranch_execz .LBB4_31
; %bb.30:                               ;   in Loop: Header=BB4_11 Depth=1
	ds_read_b64 v[3:4], v9
	s_waitcnt lgkmcnt(0)
	v_add_f32_e32 v3, v3, v4
	ds_write_b32 v9, v3
.LBB4_31:                               ;   in Loop: Header=BB4_11 Depth=1
	s_or_b64 exec, exec, s[22:23]
	s_waitcnt lgkmcnt(0)
	s_barrier
	s_and_saveexec_b64 s[22:23], s[18:19]
	s_cbranch_execz .LBB4_10
; %bb.32:                               ;   in Loop: Header=BB4_11 Depth=1
	ds_read_b32 v3, v9
	s_and_b64 vcc, exec, s[20:21]
	s_cbranch_vccnz .LBB4_9
; %bb.33:                               ;   in Loop: Header=BB4_11 Depth=1
	s_lshl_b64 s[54:55], s[52:53], 2
	s_add_u32 s54, s40, s54
	s_addc_u32 s55, s41, s55
	global_load_dword v4, v9, s[54:55]
	s_waitcnt vmcnt(0) lgkmcnt(0)
	v_fmac_f32_e32 v3, s34, v4
	s_branch .LBB4_9
.LBB4_34:
	s_mov_b64 s[0:1], 0
.LBB4_35:
	s_andn2_b64 vcc, exec, s[0:1]
	s_cbranch_vccnz .LBB4_71
; %bb.36:
	s_load_dwordx2 s[8:9], s[4:5], 0x18
	s_sub_i32 s6, s6, s33
	v_mov_b32_e32 v8, 0
	v_or_b32_e32 v1, s33, v0
	v_cmp_eq_u32_e32 vcc, 0, v1
	s_waitcnt lgkmcnt(0)
	s_add_u32 s2, s8, s50
	s_addc_u32 s3, s9, s51
	global_load_dword v7, v8, s[2:3]
	s_and_saveexec_b64 s[0:1], vcc
	s_cbranch_execz .LBB4_40
; %bb.37:
	s_lshl_b64 s[12:13], s[36:37], 2
	s_add_u32 s12, s40, s12
	s_addc_u32 s13, s41, s13
	v_mov_b32_e32 v3, 0
	global_load_dword v1, v3, s[12:13]
	s_mov_b64 s[10:11], exec
	v_mbcnt_lo_u32_b32 v4, s10, 0
	v_mbcnt_hi_u32_b32 v4, s11, v4
	v_add_f32_e64 v2, s34, -1.0
	v_cmp_eq_u32_e32 vcc, 0, v4
	s_waitcnt vmcnt(0) expcnt(0) lgkmcnt(0)
	s_and_saveexec_b64 s[12:13], vcc
	s_cbranch_execz .LBB4_39
; %bb.38:
	s_ashr_i32 s7, s6, 31
	s_lshl_b64 s[14:15], s[6:7], 2
	s_add_u32 s14, s8, s14
	s_addc_u32 s15, s9, s15
	s_bcnt1_i32_b64 s7, s[10:11]
	s_and_b32 s7, s7, 1
	v_mov_b32_e32 v4, s7
	global_atomic_xor v3, v4, s[14:15]
.LBB4_39:
	s_or_b64 exec, exec, s[12:13]
	v_mul_f32_e32 v8, v2, v1
.LBB4_40:
	s_or_b64 exec, exec, s[0:1]
	s_load_dwordx2 s[0:1], s[42:43], 0x8
	s_sub_u32 s11, s44, s48
	s_mul_i32 s7, s33, 0xc00
	s_subb_u32 s12, s45, 0
	s_mul_hi_i32 s10, s33, 0xc00
	s_add_u32 s7, s11, s7
	s_addc_u32 s12, s12, s10
	s_waitcnt lgkmcnt(0)
	s_sub_u32 s0, s0, s48
	v_mov_b32_e32 v2, s12
	v_add_co_u32_e32 v1, vcc, s7, v0
	s_subb_u32 s1, s1, 0
	v_addc_co_u32_e32 v2, vcc, 0, v2, vcc
	v_cmp_gt_i64_e32 vcc, s[0:1], v[1:2]
	s_and_saveexec_b64 s[10:11], vcc
	s_cbranch_execz .LBB4_44
; %bb.41:
	s_add_u32 s14, s7, 0xc00
	v_mov_b32_e32 v4, s1
	s_addc_u32 s15, s12, 0
	v_mov_b32_e32 v3, s0
	v_cmp_lt_i64_e32 vcc, s[14:15], v[3:4]
	v_lshlrev_b64 v[5:6], 2, v[1:2]
	s_and_b64 s[12:13], vcc, exec
	v_mov_b32_e32 v4, s29
	v_add_co_u32_e32 v3, vcc, s28, v5
	v_addc_co_u32_e32 v4, vcc, v4, v6, vcc
	v_mov_b32_e32 v9, s27
	v_add_co_u32_e32 v5, vcc, s26, v5
	s_cselect_b32 s13, s15, s1
	s_cselect_b32 s12, s14, s0
	v_addc_co_u32_e32 v6, vcc, v9, v6, vcc
	s_mov_b64 s[14:15], 0
	v_mov_b32_e32 v9, s31
	s_movk_i32 s7, 0x100
.LBB4_42:                               ; =>This Inner Loop Header: Depth=1
	global_load_dword v10, v[5:6], off
	global_load_dword v12, v[3:4], off
	s_waitcnt vmcnt(1)
	v_subrev_u32_e32 v10, s48, v10
	v_ashrrev_i32_e32 v11, 31, v10
	v_lshlrev_b64 v[10:11], 2, v[10:11]
	v_add_co_u32_e32 v10, vcc, s30, v10
	v_addc_co_u32_e32 v11, vcc, v9, v11, vcc
	global_load_dword v10, v[10:11], off
	v_add_co_u32_e32 v1, vcc, s7, v1
	v_addc_co_u32_e32 v2, vcc, 0, v2, vcc
	v_add_co_u32_e32 v3, vcc, 0x400, v3
	v_addc_co_u32_e32 v4, vcc, 0, v4, vcc
	v_cmp_le_i64_e64 s[0:1], s[12:13], v[1:2]
	v_add_co_u32_e32 v5, vcc, 0x400, v5
	s_waitcnt vmcnt(1)
	v_mul_f32_e32 v11, s46, v12
	v_addc_co_u32_e32 v6, vcc, 0, v6, vcc
	s_or_b64 s[14:15], s[0:1], s[14:15]
	s_waitcnt vmcnt(0)
	v_fmac_f32_e32 v8, v11, v10
	s_andn2_b64 exec, exec, s[14:15]
	s_cbranch_execnz .LBB4_42
; %bb.43:
	s_or_b64 exec, exec, s[14:15]
.LBB4_44:
	s_or_b64 exec, exec, s[10:11]
	s_movk_i32 s0, 0x80
	v_lshlrev_b32_e32 v1, 2, v0
	v_cmp_gt_u32_e32 vcc, s0, v0
	ds_write_b32 v1, v8
	s_waitcnt vmcnt(0) lgkmcnt(0)
	s_barrier
	s_and_saveexec_b64 s[0:1], vcc
	s_cbranch_execz .LBB4_46
; %bb.45:
	ds_read2st64_b32 v[2:3], v1 offset1:2
	s_waitcnt lgkmcnt(0)
	v_add_f32_e32 v2, v2, v3
	ds_write_b32 v1, v2
.LBB4_46:
	s_or_b64 exec, exec, s[0:1]
	v_cmp_gt_u32_e32 vcc, 64, v0
	s_waitcnt lgkmcnt(0)
	s_barrier
	s_and_saveexec_b64 s[0:1], vcc
	s_cbranch_execz .LBB4_48
; %bb.47:
	ds_read2st64_b32 v[2:3], v1 offset1:1
	s_waitcnt lgkmcnt(0)
	v_add_f32_e32 v2, v2, v3
	ds_write_b32 v1, v2
.LBB4_48:
	s_or_b64 exec, exec, s[0:1]
	v_cmp_gt_u32_e32 vcc, 32, v0
	s_waitcnt lgkmcnt(0)
	s_barrier
	s_and_saveexec_b64 s[0:1], vcc
	s_cbranch_execz .LBB4_50
; %bb.49:
	ds_read2_b32 v[2:3], v1 offset1:32
	s_waitcnt lgkmcnt(0)
	v_add_f32_e32 v2, v2, v3
	ds_write_b32 v1, v2
.LBB4_50:
	s_or_b64 exec, exec, s[0:1]
	v_cmp_gt_u32_e32 vcc, 16, v0
	s_waitcnt lgkmcnt(0)
	s_barrier
	s_and_saveexec_b64 s[0:1], vcc
	s_cbranch_execz .LBB4_52
; %bb.51:
	ds_read2_b32 v[2:3], v1 offset1:16
	s_waitcnt lgkmcnt(0)
	v_add_f32_e32 v2, v2, v3
	ds_write_b32 v1, v2
.LBB4_52:
	s_or_b64 exec, exec, s[0:1]
	v_cmp_gt_u32_e32 vcc, 8, v0
	s_waitcnt lgkmcnt(0)
	s_barrier
	s_and_saveexec_b64 s[0:1], vcc
	s_cbranch_execz .LBB4_54
; %bb.53:
	ds_read2_b32 v[2:3], v1 offset1:8
	s_waitcnt lgkmcnt(0)
	v_add_f32_e32 v2, v2, v3
	ds_write_b32 v1, v2
.LBB4_54:
	s_or_b64 exec, exec, s[0:1]
	v_cmp_gt_u32_e32 vcc, 4, v0
	s_waitcnt lgkmcnt(0)
	s_barrier
	s_and_saveexec_b64 s[0:1], vcc
	s_cbranch_execz .LBB4_56
; %bb.55:
	ds_read2_b32 v[2:3], v1 offset1:4
	s_waitcnt lgkmcnt(0)
	v_add_f32_e32 v2, v2, v3
	ds_write_b32 v1, v2
.LBB4_56:
	s_or_b64 exec, exec, s[0:1]
	v_cmp_gt_u32_e32 vcc, 2, v0
	s_waitcnt lgkmcnt(0)
	s_barrier
	s_and_saveexec_b64 s[0:1], vcc
	s_cbranch_execz .LBB4_58
; %bb.57:
	ds_read2_b32 v[2:3], v1 offset1:2
	s_waitcnt lgkmcnt(0)
	v_add_f32_e32 v2, v2, v3
	ds_write_b32 v1, v2
.LBB4_58:
	s_or_b64 exec, exec, s[0:1]
	v_cmp_eq_u32_e32 vcc, 0, v0
	s_waitcnt lgkmcnt(0)
	s_barrier
	s_and_saveexec_b64 s[0:1], vcc
	s_cbranch_execz .LBB4_60
; %bb.59:
	v_mov_b32_e32 v3, 0
	ds_read_b64 v[1:2], v3
	s_waitcnt lgkmcnt(0)
	v_add_f32_e32 v1, v1, v2
	ds_write_b32 v3, v1
.LBB4_60:
	s_or_b64 exec, exec, s[0:1]
	s_waitcnt lgkmcnt(0)
	s_barrier
	s_and_saveexec_b64 s[0:1], vcc
	s_cbranch_execz .LBB4_70
; %bb.61:
	s_cmp_eq_u32 s33, 0
	s_cbranch_scc1 .LBB4_67
; %bb.62:
	s_ashr_i32 s7, s6, 31
	s_lshl_b64 s[6:7], s[6:7], 2
	s_add_u32 s6, s8, s6
	s_addc_u32 s7, s9, s7
	v_mov_b32_e32 v1, 0
	s_branch .LBB4_64
.LBB4_63:                               ;   in Loop: Header=BB4_64 Depth=1
	s_or_b64 exec, exec, s[8:9]
	s_waitcnt vmcnt(0)
	v_readfirstlane_b32 s8, v2
	v_cmp_eq_u32_e32 vcc, s8, v7
	s_cbranch_vccz .LBB4_66
.LBB4_64:                               ; =>This Inner Loop Header: Depth=1
	v_mbcnt_lo_u32_b32 v2, exec_lo, 0
	v_mbcnt_hi_u32_b32 v2, exec_hi, v2
	v_cmp_eq_u32_e32 vcc, 0, v2
                                        ; implicit-def: $vgpr2
	s_and_saveexec_b64 s[8:9], vcc
	s_cbranch_execz .LBB4_63
; %bb.65:                               ;   in Loop: Header=BB4_64 Depth=1
	global_load_dword v2, v1, s[6:7] glc
	s_branch .LBB4_63
.LBB4_66:
	v_mov_b32_e32 v1, 0
	global_load_ushort v2, v1, s[2:3]
	s_waitcnt vmcnt(0)
	v_xor_b32_e32 v2, 1, v2
	global_store_short v1, v2, s[2:3]
.LBB4_67:
	s_mov_b64 s[6:7], exec
	v_mbcnt_lo_u32_b32 v1, s6, 0
	v_mbcnt_hi_u32_b32 v1, s7, v1
	v_cmp_eq_u32_e32 vcc, 0, v1
	s_and_b64 s[2:3], exec, vcc
	s_mov_b64 exec, s[2:3]
	s_cbranch_execz .LBB4_70
; %bb.68:
	s_lshl_b64 s[2:3], s[36:37], 2
	s_add_u32 s2, s40, s2
	s_addc_u32 s3, s41, s3
	v_mov_b32_e32 v3, 0
	global_load_dword v2, v3, s[2:3]
	ds_read_b32 v1, v3
	s_bcnt1_i32_b64 s6, s[6:7]
	v_cvt_f32_ubyte0_e32 v4, s6
	s_mov_b64 s[6:7], 0
	s_waitcnt lgkmcnt(0)
	v_mul_f32_e32 v4, v1, v4
.LBB4_69:                               ; =>This Inner Loop Header: Depth=1
	s_waitcnt vmcnt(0)
	v_add_f32_e32 v1, v2, v4
	global_atomic_cmpswap v1, v3, v[1:2], s[2:3] glc
	s_waitcnt vmcnt(0)
	v_cmp_eq_u32_e32 vcc, v1, v2
	s_or_b64 s[6:7], vcc, s[6:7]
	v_mov_b32_e32 v2, v1
	s_andn2_b64 exec, exec, s[6:7]
	s_cbranch_execnz .LBB4_69
.LBB4_70:
	s_or_b64 exec, exec, s[0:1]
.LBB4_71:
	s_mov_b64 s[0:1], 0
.LBB4_72:
	s_andn2_b64 vcc, exec, s[0:1]
	s_cbranch_vccnz .LBB4_116
; %bb.73:
	s_load_dwordx2 s[0:1], s[4:5], 0x8
	v_subrev_co_u32_e32 v1, vcc, s48, v0
	v_subb_co_u32_e64 v2, s[2:3], 0, 0, vcc
	s_waitcnt lgkmcnt(0)
	v_mov_b32_e32 v3, s45
	v_add_co_u32_e32 v1, vcc, s44, v1
	v_addc_co_u32_e32 v2, vcc, v3, v2, vcc
	v_add_co_u32_e32 v3, vcc, 0x300, v1
	v_addc_co_u32_e32 v4, vcc, 0, v2, vcc
	v_cmp_le_i64_e32 vcc, s[0:1], v[3:4]
	s_and_saveexec_b64 s[0:1], vcc
	s_xor_b64 s[2:3], exec, s[0:1]
	s_cbranch_execz .LBB4_78
; %bb.74:
	s_lshl_b64 s[0:1], s[38:39], 3
	s_add_u32 s0, s24, s0
	s_addc_u32 s1, s25, s1
	s_load_dwordx2 s[0:1], s[0:1], 0x0
	s_waitcnt lgkmcnt(0)
	s_sub_u32 s4, s0, s48
	s_subb_u32 s5, s1, 0
	v_cmp_gt_i64_e32 vcc, s[4:5], v[1:2]
	s_and_saveexec_b64 s[6:7], vcc
	s_cbranch_execz .LBB4_77
; %bb.75:
	v_lshlrev_b64 v[5:6], 2, v[1:2]
	v_mov_b32_e32 v4, s29
	v_add_co_u32_e32 v3, vcc, s28, v5
	v_addc_co_u32_e32 v4, vcc, v4, v6, vcc
	v_mov_b32_e32 v8, s27
	v_add_co_u32_e32 v5, vcc, s26, v5
	v_lshlrev_b32_e32 v7, 2, v0
	v_addc_co_u32_e32 v6, vcc, v8, v6, vcc
	s_mov_b64 s[8:9], 0
	v_mov_b32_e32 v8, s31
	s_movk_i32 s10, 0x100
.LBB4_76:                               ; =>This Inner Loop Header: Depth=1
	global_load_dword v9, v[5:6], off
	global_load_dword v11, v[3:4], off
	s_waitcnt vmcnt(1)
	v_subrev_u32_e32 v9, s48, v9
	v_ashrrev_i32_e32 v10, 31, v9
	v_lshlrev_b64 v[9:10], 2, v[9:10]
	v_add_co_u32_e32 v9, vcc, s30, v9
	v_addc_co_u32_e32 v10, vcc, v8, v10, vcc
	global_load_dword v9, v[9:10], off
	v_add_co_u32_e32 v1, vcc, s10, v1
	v_addc_co_u32_e32 v2, vcc, 0, v2, vcc
	v_add_co_u32_e32 v3, vcc, 0x400, v3
	v_addc_co_u32_e32 v4, vcc, 0, v4, vcc
	v_cmp_le_i64_e64 s[0:1], s[4:5], v[1:2]
	s_waitcnt vmcnt(1)
	v_mul_f32_e32 v10, s46, v11
	v_add_co_u32_e32 v5, vcc, 0x400, v5
	v_addc_co_u32_e32 v6, vcc, 0, v6, vcc
	s_or_b64 s[8:9], s[0:1], s[8:9]
	s_waitcnt vmcnt(0)
	v_mul_f32_e32 v9, v10, v9
	ds_write_b32 v7, v9
	v_add_u32_e32 v7, 0x400, v7
	s_andn2_b64 exec, exec, s[8:9]
	s_cbranch_execnz .LBB4_76
.LBB4_77:
	s_or_b64 exec, exec, s[6:7]
                                        ; implicit-def: $vgpr1_vgpr2
.LBB4_78:
	s_or_saveexec_b64 s[0:1], s[2:3]
	v_lshlrev_b32_e32 v7, 2, v0
	s_xor_b64 exec, exec, s[0:1]
	s_cbranch_execz .LBB4_80
; %bb.79:
	v_lshlrev_b64 v[1:2], 2, v[1:2]
	v_mov_b32_e32 v4, s27
	v_add_co_u32_e32 v3, vcc, s26, v1
	v_addc_co_u32_e32 v4, vcc, v4, v2, vcc
	global_load_dword v5, v[3:4], off
	global_load_dword v6, v[3:4], off offset:1024
	global_load_dword v8, v[3:4], off offset:2048
	;; [unrolled: 1-line block ×3, first 2 shown]
	v_mov_b32_e32 v3, s29
	v_add_co_u32_e32 v1, vcc, s28, v1
	v_addc_co_u32_e32 v2, vcc, v3, v2, vcc
	global_load_dword v14, v[1:2], off
	global_load_dword v15, v[1:2], off offset:1024
	global_load_dword v16, v[1:2], off offset:2048
	;; [unrolled: 1-line block ×3, first 2 shown]
	v_mov_b32_e32 v10, s31
	v_mov_b32_e32 v11, s31
	;; [unrolled: 1-line block ×4, first 2 shown]
	s_waitcnt vmcnt(7)
	v_subrev_u32_e32 v1, s48, v5
	v_ashrrev_i32_e32 v2, 31, v1
	s_waitcnt vmcnt(6)
	v_subrev_u32_e32 v3, s48, v6
	v_lshlrev_b64 v[1:2], 2, v[1:2]
	v_ashrrev_i32_e32 v4, 31, v3
	s_waitcnt vmcnt(5)
	v_subrev_u32_e32 v5, s48, v8
	v_lshlrev_b64 v[3:4], 2, v[3:4]
	v_add_co_u32_e32 v1, vcc, s30, v1
	v_ashrrev_i32_e32 v6, 31, v5
	v_addc_co_u32_e32 v2, vcc, v10, v2, vcc
	s_waitcnt vmcnt(4)
	v_subrev_u32_e32 v8, s48, v9
	v_lshlrev_b64 v[5:6], 2, v[5:6]
	v_add_co_u32_e32 v3, vcc, s30, v3
	v_ashrrev_i32_e32 v9, 31, v8
	v_addc_co_u32_e32 v4, vcc, v11, v4, vcc
	v_lshlrev_b64 v[8:9], 2, v[8:9]
	v_add_co_u32_e32 v5, vcc, s30, v5
	v_addc_co_u32_e32 v6, vcc, v12, v6, vcc
	v_add_co_u32_e32 v8, vcc, s30, v8
	v_addc_co_u32_e32 v9, vcc, v13, v9, vcc
	global_load_dword v10, v[1:2], off
	global_load_dword v11, v[3:4], off
	;; [unrolled: 1-line block ×4, first 2 shown]
	s_waitcnt vmcnt(7)
	v_mul_f32_e32 v1, s46, v14
	s_waitcnt vmcnt(6)
	v_mul_f32_e32 v2, s46, v15
	;; [unrolled: 2-line block ×8, first 2 shown]
	ds_write2st64_b32 v7, v1, v2 offset1:4
	ds_write2st64_b32 v7, v3, v4 offset0:8 offset1:12
.LBB4_80:
	s_or_b64 exec, exec, s[0:1]
	s_cmp_lt_i32 s33, 2
	s_mov_b64 s[0:1], -1
	s_waitcnt vmcnt(0) lgkmcnt(0)
	s_barrier
	s_cbranch_scc0 .LBB4_91
; %bb.81:
	v_mov_b32_e32 v1, s37
	v_add_co_u32_e32 v5, vcc, s36, v0
	v_addc_co_u32_e32 v6, vcc, 0, v1, vcc
	v_cmp_gt_i64_e32 vcc, s[38:39], v[5:6]
	s_and_saveexec_b64 s[2:3], vcc
	s_cbranch_execz .LBB4_90
; %bb.82:
	s_lshl_b32 s0, s44, 2
	v_cmp_neq_f32_e64 s[4:5], s34, 0
	s_sub_i32 s10, 0, s0
	s_mov_b64 s[6:7], 0
	v_mov_b32_e32 v8, s25
	v_mov_b32_e32 v9, s41
	s_branch .LBB4_84
.LBB4_83:                               ;   in Loop: Header=BB4_84 Depth=1
	v_add_co_u32_e32 v5, vcc, 0x100, v5
	v_addc_co_u32_e32 v6, vcc, 0, v6, vcc
	v_cmp_le_i64_e32 vcc, s[38:39], v[5:6]
	v_add_co_u32_e64 v1, s[0:1], s40, v1
	v_addc_co_u32_e64 v2, s[0:1], v9, v2, s[0:1]
	s_or_b64 s[6:7], vcc, s[6:7]
	global_store_dword v[1:2], v3, off
	s_andn2_b64 exec, exec, s[6:7]
	s_cbranch_execz .LBB4_90
.LBB4_84:                               ; =>This Loop Header: Depth=1
                                        ;     Child Loop BB4_86 Depth 2
	v_lshlrev_b64 v[1:2], 3, v[5:6]
	v_add_co_u32_e32 v1, vcc, s24, v1
	v_addc_co_u32_e32 v2, vcc, v8, v2, vcc
	global_load_dwordx4 v[1:4], v[1:2], off
	s_waitcnt vmcnt(0)
	v_subrev_u32_e32 v2, s44, v1
	v_subrev_u32_e32 v4, s44, v3
	v_cmp_lt_i32_e32 vcc, v2, v4
	v_mov_b32_e32 v3, 0
	s_and_saveexec_b64 s[0:1], vcc
	s_cbranch_execz .LBB4_88
; %bb.85:                               ;   in Loop: Header=BB4_84 Depth=1
	v_lshl_add_u32 v1, v1, 2, s10
	v_mov_b32_e32 v3, 0
	s_mov_b64 s[8:9], 0
.LBB4_86:                               ;   Parent Loop BB4_84 Depth=1
                                        ; =>  This Inner Loop Header: Depth=2
	ds_read_b32 v10, v1
	v_add_u32_e32 v2, 1, v2
	v_cmp_ge_i32_e32 vcc, v2, v4
	v_add_u32_e32 v1, 4, v1
	s_or_b64 s[8:9], vcc, s[8:9]
	s_waitcnt lgkmcnt(0)
	v_add_f32_e32 v3, v3, v10
	s_andn2_b64 exec, exec, s[8:9]
	s_cbranch_execnz .LBB4_86
; %bb.87:                               ;   in Loop: Header=BB4_84 Depth=1
	s_or_b64 exec, exec, s[8:9]
.LBB4_88:                               ;   in Loop: Header=BB4_84 Depth=1
	s_or_b64 exec, exec, s[0:1]
	v_lshlrev_b64 v[1:2], 2, v[5:6]
	s_and_b64 vcc, exec, s[4:5]
	s_cbranch_vccz .LBB4_83
; %bb.89:                               ;   in Loop: Header=BB4_84 Depth=1
	v_mov_b32_e32 v4, s41
	v_add_co_u32_e32 v10, vcc, s40, v1
	v_addc_co_u32_e32 v11, vcc, v4, v2, vcc
	global_load_dword v4, v[10:11], off
	s_waitcnt vmcnt(0)
	v_fmac_f32_e32 v3, s34, v4
	s_branch .LBB4_83
.LBB4_90:
	s_or_b64 exec, exec, s[2:3]
	s_mov_b64 s[0:1], 0
.LBB4_91:
	s_andn2_b64 vcc, exec, s[0:1]
	s_cbranch_vccnz .LBB4_116
; %bb.92:
	s_flbit_i32_b32 s0, s33
	s_xor_b32 s0, s0, 31
	v_lshrrev_b32_e32 v4, s0, v0
	v_mov_b32_e32 v2, s37
	v_add_co_u32_e32 v1, vcc, s36, v4
	v_addc_co_u32_e32 v2, vcc, 0, v2, vcc
	s_add_i32 s2, s33, -1
	v_cmp_le_i64_e32 vcc, s[38:39], v[1:2]
	v_cmp_gt_i64_e64 s[0:1], s[38:39], v[1:2]
	v_mov_b32_e32 v3, 0
	v_and_b32_e32 v0, s2, v0
	s_and_saveexec_b64 s[2:3], s[0:1]
	s_cbranch_execz .LBB4_98
; %bb.93:
	v_lshlrev_b32_e32 v3, 3, v4
	global_load_dword v4, v3, s[42:43] offset:8
	global_load_dword v5, v3, s[42:43]
	s_waitcnt vmcnt(1)
	v_subrev_u32_e32 v4, s44, v4
	s_waitcnt vmcnt(0)
	v_subrev_u32_e32 v3, s44, v5
	v_add_u32_e32 v5, v0, v3
	v_cmp_lt_i32_e64 s[0:1], v5, v4
	v_mov_b32_e32 v3, 0
	s_and_saveexec_b64 s[4:5], s[0:1]
	s_cbranch_execz .LBB4_97
; %bb.94:
	v_lshlrev_b32_e32 v6, 2, v5
	s_lshl_b32 s8, s33, 2
	v_mov_b32_e32 v3, 0
	s_mov_b64 s[6:7], 0
.LBB4_95:                               ; =>This Inner Loop Header: Depth=1
	ds_read_b32 v8, v6
	v_add_u32_e32 v5, s33, v5
	v_cmp_ge_i32_e64 s[0:1], v5, v4
	v_add_u32_e32 v6, s8, v6
	s_or_b64 s[6:7], s[0:1], s[6:7]
	s_waitcnt lgkmcnt(0)
	v_add_f32_e32 v3, v3, v8
	s_andn2_b64 exec, exec, s[6:7]
	s_cbranch_execnz .LBB4_95
; %bb.96:
	s_or_b64 exec, exec, s[6:7]
.LBB4_97:
	s_or_b64 exec, exec, s[4:5]
.LBB4_98:
	s_or_b64 exec, exec, s[2:3]
	s_cmpk_lt_u32 s33, 0x81
	s_waitcnt vmcnt(0)
	s_barrier
	ds_write_b32 v7, v3
	s_waitcnt lgkmcnt(0)
	s_barrier
	s_cbranch_scc1 .LBB4_100
; %bb.99:
	ds_read_b32 v4, v7 offset:512
	s_waitcnt lgkmcnt(0)
	s_barrier
	v_add_f32_e32 v3, v3, v4
	ds_write_b32 v7, v3
.LBB4_100:
	s_cmpk_lt_u32 s33, 0x41
	s_waitcnt lgkmcnt(0)
	s_barrier
	s_cbranch_scc1 .LBB4_102
; %bb.101:
	ds_read_b32 v4, v7 offset:256
	s_waitcnt lgkmcnt(0)
	s_barrier
	v_add_f32_e32 v3, v3, v4
	ds_write_b32 v7, v3
.LBB4_102:
	s_cmp_lt_u32 s33, 33
	s_waitcnt lgkmcnt(0)
	s_barrier
	s_cbranch_scc1 .LBB4_104
; %bb.103:
	ds_read_b32 v4, v7 offset:128
	s_waitcnt lgkmcnt(0)
	s_barrier
	v_add_f32_e32 v3, v3, v4
	ds_write_b32 v7, v3
.LBB4_104:
	s_cmp_lt_u32 s33, 17
	;; [unrolled: 11-line block ×4, first 2 shown]
	s_waitcnt lgkmcnt(0)
	s_barrier
	s_cbranch_scc1 .LBB4_110
; %bb.109:
	ds_read_b32 v4, v7 offset:16
	s_waitcnt lgkmcnt(0)
	s_barrier
	v_add_f32_e32 v3, v3, v4
	ds_write_b32 v7, v3
.LBB4_110:
	s_cmp_eq_u32 s33, 2
	s_waitcnt lgkmcnt(0)
	s_barrier
	s_cbranch_scc1 .LBB4_112
; %bb.111:
	ds_read_b32 v4, v7 offset:8
	s_waitcnt lgkmcnt(0)
	s_barrier
	v_add_f32_e32 v3, v3, v4
	ds_write_b32 v7, v3
.LBB4_112:
	s_waitcnt lgkmcnt(0)
	s_barrier
	ds_read_b32 v4, v7 offset:4
	v_cmp_eq_u32_e64 s[0:1], 0, v0
	s_xor_b64 s[2:3], vcc, -1
	s_and_b64 s[0:1], s[0:1], s[2:3]
	s_waitcnt lgkmcnt(0)
	v_add_f32_e32 v3, v3, v4
	s_barrier
	ds_write_b32 v7, v3
	s_and_saveexec_b64 s[2:3], s[0:1]
	s_cbranch_execz .LBB4_116
; %bb.113:
	v_cmp_eq_f32_e64 s[0:1], s34, 0
	v_lshlrev_b64 v[0:1], 2, v[1:2]
	s_and_b64 vcc, exec, s[0:1]
	s_cbranch_vccnz .LBB4_115
; %bb.114:
	v_mov_b32_e32 v2, s41
	v_add_co_u32_e32 v4, vcc, s40, v0
	v_addc_co_u32_e32 v5, vcc, v2, v1, vcc
	global_load_dword v2, v[4:5], off
	s_waitcnt vmcnt(0)
	v_fmac_f32_e32 v3, s34, v2
.LBB4_115:
	v_mov_b32_e32 v2, s41
	v_add_co_u32_e32 v0, vcc, s40, v0
	v_addc_co_u32_e32 v1, vcc, v2, v1, vcc
	global_store_dword v[0:1], v3, off
.LBB4_116:
	s_endpgm
	.section	.rodata,"a",@progbits
	.p2align	6, 0x0
	.amdhsa_kernel _ZN9rocsparseL22csrmvn_adaptive_kernelIliffffEEvbT_PKS1_PjPKT0_NS_24const_host_device_scalarIT4_EES3_S7_PKT1_PKT2_SA_PT3_21rocsparse_index_base_b
		.amdhsa_group_segment_fixed_size 4096
		.amdhsa_private_segment_fixed_size 0
		.amdhsa_kernarg_size 104
		.amdhsa_user_sgpr_count 6
		.amdhsa_user_sgpr_private_segment_buffer 1
		.amdhsa_user_sgpr_dispatch_ptr 0
		.amdhsa_user_sgpr_queue_ptr 0
		.amdhsa_user_sgpr_kernarg_segment_ptr 1
		.amdhsa_user_sgpr_dispatch_id 0
		.amdhsa_user_sgpr_flat_scratch_init 0
		.amdhsa_user_sgpr_private_segment_size 0
		.amdhsa_uses_dynamic_stack 0
		.amdhsa_system_sgpr_private_segment_wavefront_offset 0
		.amdhsa_system_sgpr_workgroup_id_x 1
		.amdhsa_system_sgpr_workgroup_id_y 0
		.amdhsa_system_sgpr_workgroup_id_z 0
		.amdhsa_system_sgpr_workgroup_info 0
		.amdhsa_system_vgpr_workitem_id 0
		.amdhsa_next_free_vgpr 18
		.amdhsa_next_free_sgpr 60
		.amdhsa_reserve_vcc 1
		.amdhsa_reserve_flat_scratch 0
		.amdhsa_float_round_mode_32 0
		.amdhsa_float_round_mode_16_64 0
		.amdhsa_float_denorm_mode_32 3
		.amdhsa_float_denorm_mode_16_64 3
		.amdhsa_dx10_clamp 1
		.amdhsa_ieee_mode 1
		.amdhsa_fp16_overflow 0
		.amdhsa_exception_fp_ieee_invalid_op 0
		.amdhsa_exception_fp_denorm_src 0
		.amdhsa_exception_fp_ieee_div_zero 0
		.amdhsa_exception_fp_ieee_overflow 0
		.amdhsa_exception_fp_ieee_underflow 0
		.amdhsa_exception_fp_ieee_inexact 0
		.amdhsa_exception_int_div_zero 0
	.end_amdhsa_kernel
	.section	.text._ZN9rocsparseL22csrmvn_adaptive_kernelIliffffEEvbT_PKS1_PjPKT0_NS_24const_host_device_scalarIT4_EES3_S7_PKT1_PKT2_SA_PT3_21rocsparse_index_base_b,"axG",@progbits,_ZN9rocsparseL22csrmvn_adaptive_kernelIliffffEEvbT_PKS1_PjPKT0_NS_24const_host_device_scalarIT4_EES3_S7_PKT1_PKT2_SA_PT3_21rocsparse_index_base_b,comdat
.Lfunc_end4:
	.size	_ZN9rocsparseL22csrmvn_adaptive_kernelIliffffEEvbT_PKS1_PjPKT0_NS_24const_host_device_scalarIT4_EES3_S7_PKT1_PKT2_SA_PT3_21rocsparse_index_base_b, .Lfunc_end4-_ZN9rocsparseL22csrmvn_adaptive_kernelIliffffEEvbT_PKS1_PjPKT0_NS_24const_host_device_scalarIT4_EES3_S7_PKT1_PKT2_SA_PT3_21rocsparse_index_base_b
                                        ; -- End function
	.set _ZN9rocsparseL22csrmvn_adaptive_kernelIliffffEEvbT_PKS1_PjPKT0_NS_24const_host_device_scalarIT4_EES3_S7_PKT1_PKT2_SA_PT3_21rocsparse_index_base_b.num_vgpr, 18
	.set _ZN9rocsparseL22csrmvn_adaptive_kernelIliffffEEvbT_PKS1_PjPKT0_NS_24const_host_device_scalarIT4_EES3_S7_PKT1_PKT2_SA_PT3_21rocsparse_index_base_b.num_agpr, 0
	.set _ZN9rocsparseL22csrmvn_adaptive_kernelIliffffEEvbT_PKS1_PjPKT0_NS_24const_host_device_scalarIT4_EES3_S7_PKT1_PKT2_SA_PT3_21rocsparse_index_base_b.numbered_sgpr, 60
	.set _ZN9rocsparseL22csrmvn_adaptive_kernelIliffffEEvbT_PKS1_PjPKT0_NS_24const_host_device_scalarIT4_EES3_S7_PKT1_PKT2_SA_PT3_21rocsparse_index_base_b.num_named_barrier, 0
	.set _ZN9rocsparseL22csrmvn_adaptive_kernelIliffffEEvbT_PKS1_PjPKT0_NS_24const_host_device_scalarIT4_EES3_S7_PKT1_PKT2_SA_PT3_21rocsparse_index_base_b.private_seg_size, 0
	.set _ZN9rocsparseL22csrmvn_adaptive_kernelIliffffEEvbT_PKS1_PjPKT0_NS_24const_host_device_scalarIT4_EES3_S7_PKT1_PKT2_SA_PT3_21rocsparse_index_base_b.uses_vcc, 1
	.set _ZN9rocsparseL22csrmvn_adaptive_kernelIliffffEEvbT_PKS1_PjPKT0_NS_24const_host_device_scalarIT4_EES3_S7_PKT1_PKT2_SA_PT3_21rocsparse_index_base_b.uses_flat_scratch, 0
	.set _ZN9rocsparseL22csrmvn_adaptive_kernelIliffffEEvbT_PKS1_PjPKT0_NS_24const_host_device_scalarIT4_EES3_S7_PKT1_PKT2_SA_PT3_21rocsparse_index_base_b.has_dyn_sized_stack, 0
	.set _ZN9rocsparseL22csrmvn_adaptive_kernelIliffffEEvbT_PKS1_PjPKT0_NS_24const_host_device_scalarIT4_EES3_S7_PKT1_PKT2_SA_PT3_21rocsparse_index_base_b.has_recursion, 0
	.set _ZN9rocsparseL22csrmvn_adaptive_kernelIliffffEEvbT_PKS1_PjPKT0_NS_24const_host_device_scalarIT4_EES3_S7_PKT1_PKT2_SA_PT3_21rocsparse_index_base_b.has_indirect_call, 0
	.section	.AMDGPU.csdata,"",@progbits
; Kernel info:
; codeLenInByte = 3864
; TotalNumSgprs: 64
; NumVgprs: 18
; ScratchSize: 0
; MemoryBound: 0
; FloatMode: 240
; IeeeMode: 1
; LDSByteSize: 4096 bytes/workgroup (compile time only)
; SGPRBlocks: 7
; VGPRBlocks: 4
; NumSGPRsForWavesPerEU: 64
; NumVGPRsForWavesPerEU: 18
; Occupancy: 10
; WaveLimiterHint : 1
; COMPUTE_PGM_RSRC2:SCRATCH_EN: 0
; COMPUTE_PGM_RSRC2:USER_SGPR: 6
; COMPUTE_PGM_RSRC2:TRAP_HANDLER: 0
; COMPUTE_PGM_RSRC2:TGID_X_EN: 1
; COMPUTE_PGM_RSRC2:TGID_Y_EN: 0
; COMPUTE_PGM_RSRC2:TGID_Z_EN: 0
; COMPUTE_PGM_RSRC2:TIDIG_COMP_CNT: 0
	.section	.text._ZN9rocsparseL27csrmvn_symm_adaptive_kernelIliffffEEvbT_S1_PKS1_NS_24const_host_device_scalarIT4_EES3_PKT0_PKT1_PKT2_S6_PT3_21rocsparse_index_base_b,"axG",@progbits,_ZN9rocsparseL27csrmvn_symm_adaptive_kernelIliffffEEvbT_S1_PKS1_NS_24const_host_device_scalarIT4_EES3_PKT0_PKT1_PKT2_S6_PT3_21rocsparse_index_base_b,comdat
	.globl	_ZN9rocsparseL27csrmvn_symm_adaptive_kernelIliffffEEvbT_S1_PKS1_NS_24const_host_device_scalarIT4_EES3_PKT0_PKT1_PKT2_S6_PT3_21rocsparse_index_base_b ; -- Begin function _ZN9rocsparseL27csrmvn_symm_adaptive_kernelIliffffEEvbT_S1_PKS1_NS_24const_host_device_scalarIT4_EES3_PKT0_PKT1_PKT2_S6_PT3_21rocsparse_index_base_b
	.p2align	8
	.type	_ZN9rocsparseL27csrmvn_symm_adaptive_kernelIliffffEEvbT_S1_PKS1_NS_24const_host_device_scalarIT4_EES3_PKT0_PKT1_PKT2_S6_PT3_21rocsparse_index_base_b,@function
_ZN9rocsparseL27csrmvn_symm_adaptive_kernelIliffffEEvbT_S1_PKS1_NS_24const_host_device_scalarIT4_EES3_PKT0_PKT1_PKT2_S6_PT3_21rocsparse_index_base_b: ; @_ZN9rocsparseL27csrmvn_symm_adaptive_kernelIliffffEEvbT_S1_PKS1_NS_24const_host_device_scalarIT4_EES3_PKT0_PKT1_PKT2_S6_PT3_21rocsparse_index_base_b
; %bb.0:
	s_load_dwordx2 s[30:31], s[4:5], 0x58
	s_load_dwordx2 s[38:39], s[4:5], 0x20
	;; [unrolled: 1-line block ×3, first 2 shown]
	s_waitcnt lgkmcnt(0)
	s_bitcmp1_b32 s31, 0
	s_cselect_b64 s[8:9], -1, 0
	s_xor_b64 s[2:3], s[8:9], -1
	s_and_b64 vcc, exec, s[8:9]
	s_cbranch_vccnz .LBB5_2
; %bb.1:
	s_load_dword s38, s[38:39], 0x0
.LBB5_2:
	s_andn2_b64 vcc, exec, s[2:3]
	s_cbranch_vccnz .LBB5_4
; %bb.3:
	s_load_dword s0, s[0:1], 0x0
.LBB5_4:
	s_waitcnt lgkmcnt(0)
	v_cmp_neq_f32_e64 s[2:3], s38, 0
	v_cmp_neq_f32_e64 s[0:1], s0, 1.0
	s_or_b64 s[0:1], s[2:3], s[0:1]
	s_andn2_b64 vcc, exec, s[0:1]
	s_cbranch_vccnz .LBB5_154
; %bb.5:
	s_load_dwordx2 s[0:1], s[4:5], 0x18
	s_ashr_i32 s7, s6, 31
	s_lshl_b64 s[2:3], s[6:7], 3
	v_lshlrev_b32_e32 v15, 2, v0
	v_mov_b32_e32 v1, 0
	s_waitcnt lgkmcnt(0)
	s_add_u32 s0, s0, s2
	s_addc_u32 s1, s1, s3
	ds_write2st64_b32 v15, v1, v1 offset1:4
	ds_write2st64_b32 v15, v1, v1 offset0:8 offset1:12
	s_waitcnt lgkmcnt(0)
	s_barrier
	s_load_dwordx4 s[24:27], s[0:1], 0x0
	s_load_dwordx8 s[16:23], s[4:5], 0x28
	s_load_dwordx2 s[14:15], s[4:5], 0x50
	s_mov_b64 s[0:1], -1
	s_waitcnt lgkmcnt(0)
	s_sub_u32 s28, s26, s24
	s_subb_u32 s29, s27, s25
	v_cmp_gt_i64_e64 s[2:3], s[28:29], 2
	s_and_b64 vcc, exec, s[2:3]
	s_cbranch_vccnz .LBB5_38
; %bb.6:
	v_mov_b32_e32 v1, s24
	v_mov_b32_e32 v2, s25
	v_cmp_le_i64_e32 vcc, s[26:27], v[1:2]
	v_subrev_co_u32_e64 v9, s[0:1], s30, v0
	v_subb_co_u32_e64 v10, s[0:1], 0, 0, s[0:1]
	s_cbranch_vccnz .LBB5_27
; %bb.7:
	s_movk_i32 s31, 0x100
	v_mov_b32_e32 v1, s26
	v_cmp_gt_u32_e64 s[0:1], s31, v0
	v_cmp_gt_u32_e64 s[2:3], 64, v0
	v_cmp_gt_u32_e64 s[6:7], 16, v0
	v_cmp_gt_u32_e64 s[8:9], 4, v0
	v_cmp_eq_u32_e64 s[10:11], 0, v0
	v_mov_b32_e32 v11, 0
	v_mov_b32_e32 v2, s27
	s_mov_b64 s[34:35], s[24:25]
	s_branch .LBB5_9
.LBB5_8:                                ;   in Loop: Header=BB5_9 Depth=1
	s_or_b64 exec, exec, s[12:13]
	s_add_u32 s34, s34, 1
	s_addc_u32 s35, s35, 0
	v_cmp_ge_i64_e32 vcc, s[34:35], v[1:2]
	s_cbranch_vccnz .LBB5_27
.LBB5_9:                                ; =>This Loop Header: Depth=1
                                        ;     Child Loop BB5_11 Depth 2
                                        ;     Child Loop BB5_26 Depth 2
	s_lshl_b64 s[12:13], s[34:35], 3
	s_add_u32 s12, s16, s12
	s_addc_u32 s13, s17, s13
	s_load_dwordx4 s[40:43], s[12:13], 0x0
	v_mov_b32_e32 v12, 0
	s_waitcnt lgkmcnt(0)
	s_sub_u32 s36, s42, s30
	v_mov_b32_e32 v4, s41
	v_add_co_u32_e32 v3, vcc, s40, v9
	s_subb_u32 s37, s43, 0
	v_addc_co_u32_e32 v4, vcc, v4, v10, vcc
	v_cmp_gt_i64_e32 vcc, s[36:37], v[3:4]
	s_and_saveexec_b64 s[40:41], vcc
	s_cbranch_execz .LBB5_13
; %bb.10:                               ;   in Loop: Header=BB5_9 Depth=1
	v_lshlrev_b64 v[7:8], 2, v[3:4]
	v_mov_b32_e32 v6, s19
	v_add_co_u32_e32 v5, vcc, s18, v7
	v_addc_co_u32_e32 v6, vcc, v6, v8, vcc
	v_mov_b32_e32 v12, s21
	v_add_co_u32_e32 v7, vcc, s20, v7
	v_addc_co_u32_e32 v8, vcc, v12, v8, vcc
	v_mov_b32_e32 v12, 0
	s_mov_b64 s[42:43], 0
.LBB5_11:                               ;   Parent Loop BB5_9 Depth=1
                                        ; =>  This Inner Loop Header: Depth=2
	global_load_dword v13, v[5:6], off
	global_load_dword v16, v[7:8], off
	v_mov_b32_e32 v17, s23
	s_waitcnt vmcnt(1)
	v_subrev_u32_e32 v13, s30, v13
	v_ashrrev_i32_e32 v14, 31, v13
	v_lshlrev_b64 v[13:14], 2, v[13:14]
	v_add_co_u32_e32 v13, vcc, s22, v13
	v_addc_co_u32_e32 v14, vcc, v17, v14, vcc
	global_load_dword v13, v[13:14], off
	v_add_co_u32_e32 v3, vcc, s31, v3
	v_addc_co_u32_e32 v4, vcc, 0, v4, vcc
	v_add_co_u32_e32 v5, vcc, 0x400, v5
	v_addc_co_u32_e32 v6, vcc, 0, v6, vcc
	v_cmp_le_i64_e64 s[12:13], s[36:37], v[3:4]
	v_add_co_u32_e32 v7, vcc, 0x400, v7
	v_addc_co_u32_e32 v8, vcc, 0, v8, vcc
	s_or_b64 s[42:43], s[12:13], s[42:43]
	s_waitcnt vmcnt(0)
	v_fmac_f32_e32 v12, v16, v13
	s_andn2_b64 exec, exec, s[42:43]
	s_cbranch_execnz .LBB5_11
; %bb.12:                               ;   in Loop: Header=BB5_9 Depth=1
	s_or_b64 exec, exec, s[42:43]
.LBB5_13:                               ;   in Loop: Header=BB5_9 Depth=1
	s_or_b64 exec, exec, s[40:41]
	ds_write_b32 v15, v12
	s_waitcnt lgkmcnt(0)
	s_barrier
	s_and_saveexec_b64 s[12:13], s[0:1]
	s_cbranch_execz .LBB5_15
; %bb.14:                               ;   in Loop: Header=BB5_9 Depth=1
	ds_read2st64_b32 v[3:4], v15 offset1:4
	ds_read2st64_b32 v[5:6], v15 offset0:8 offset1:12
	s_waitcnt lgkmcnt(0)
	v_add_f32_e32 v4, v4, v5
	v_add_f32_e32 v4, v4, v6
	;; [unrolled: 1-line block ×3, first 2 shown]
	ds_write_b32 v15, v3
.LBB5_15:                               ;   in Loop: Header=BB5_9 Depth=1
	s_or_b64 exec, exec, s[12:13]
	s_waitcnt lgkmcnt(0)
	s_barrier
	s_and_saveexec_b64 s[12:13], s[2:3]
	s_cbranch_execz .LBB5_17
; %bb.16:                               ;   in Loop: Header=BB5_9 Depth=1
	ds_read2st64_b32 v[3:4], v15 offset1:1
	ds_read2st64_b32 v[5:6], v15 offset0:2 offset1:3
	s_waitcnt lgkmcnt(0)
	v_add_f32_e32 v4, v4, v5
	v_add_f32_e32 v4, v4, v6
	;; [unrolled: 1-line block ×3, first 2 shown]
	ds_write_b32 v15, v3
.LBB5_17:                               ;   in Loop: Header=BB5_9 Depth=1
	s_or_b64 exec, exec, s[12:13]
	s_waitcnt lgkmcnt(0)
	s_barrier
	s_and_saveexec_b64 s[12:13], s[6:7]
	s_cbranch_execz .LBB5_19
; %bb.18:                               ;   in Loop: Header=BB5_9 Depth=1
	ds_read2_b32 v[3:4], v15 offset1:16
	ds_read2_b32 v[5:6], v15 offset0:32 offset1:48
	s_waitcnt lgkmcnt(0)
	v_add_f32_e32 v4, v4, v5
	v_add_f32_e32 v4, v4, v6
	;; [unrolled: 1-line block ×3, first 2 shown]
	ds_write_b32 v15, v3
.LBB5_19:                               ;   in Loop: Header=BB5_9 Depth=1
	s_or_b64 exec, exec, s[12:13]
	s_waitcnt lgkmcnt(0)
	s_barrier
	s_and_saveexec_b64 s[12:13], s[8:9]
	s_cbranch_execz .LBB5_21
; %bb.20:                               ;   in Loop: Header=BB5_9 Depth=1
	ds_read2_b32 v[3:4], v15 offset1:4
	ds_read2_b32 v[5:6], v15 offset0:8 offset1:12
	s_waitcnt lgkmcnt(0)
	v_add_f32_e32 v4, v4, v5
	v_add_f32_e32 v4, v4, v6
	;; [unrolled: 1-line block ×3, first 2 shown]
	ds_write_b32 v15, v3
.LBB5_21:                               ;   in Loop: Header=BB5_9 Depth=1
	s_or_b64 exec, exec, s[12:13]
	s_waitcnt lgkmcnt(0)
	s_barrier
	s_and_saveexec_b64 s[12:13], s[10:11]
	s_cbranch_execz .LBB5_23
; %bb.22:                               ;   in Loop: Header=BB5_9 Depth=1
	ds_read2_b32 v[3:4], v11 offset0:1 offset1:2
	ds_read_b32 v5, v11 offset:12
	ds_read_b32 v6, v15
	s_waitcnt lgkmcnt(2)
	v_add_f32_e32 v3, v3, v4
	s_waitcnt lgkmcnt(1)
	v_add_f32_e32 v3, v3, v5
	;; [unrolled: 2-line block ×3, first 2 shown]
	ds_write_b32 v15, v3
.LBB5_23:                               ;   in Loop: Header=BB5_9 Depth=1
	s_or_b64 exec, exec, s[12:13]
	s_waitcnt lgkmcnt(0)
	s_barrier
	s_and_saveexec_b64 s[12:13], s[10:11]
	s_cbranch_execz .LBB5_8
; %bb.24:                               ;   in Loop: Header=BB5_9 Depth=1
	s_mov_b64 s[40:41], exec
	v_mbcnt_lo_u32_b32 v3, s40, 0
	v_mbcnt_hi_u32_b32 v3, s41, v3
	v_cmp_eq_u32_e32 vcc, 0, v3
	s_and_b64 s[36:37], exec, vcc
	s_mov_b64 exec, s[36:37]
	s_cbranch_execz .LBB5_8
; %bb.25:                               ;   in Loop: Header=BB5_9 Depth=1
	s_lshl_b64 s[36:37], s[34:35], 2
	s_add_u32 s36, s14, s36
	s_addc_u32 s37, s15, s37
	global_load_dword v4, v11, s[36:37]
	ds_read_b32 v3, v11
	s_bcnt1_i32_b64 s33, s[40:41]
	v_cvt_f32_ubyte0_e32 v5, s33
	s_mov_b64 s[40:41], 0
	s_waitcnt lgkmcnt(0)
	v_mul_f32_e32 v3, s38, v3
	v_mul_f32_e32 v5, v3, v5
.LBB5_26:                               ;   Parent Loop BB5_9 Depth=1
                                        ; =>  This Inner Loop Header: Depth=2
	s_waitcnt vmcnt(0)
	v_add_f32_e32 v3, v4, v5
	global_atomic_cmpswap v3, v11, v[3:4], s[36:37] glc
	s_waitcnt vmcnt(0)
	v_cmp_eq_u32_e32 vcc, v3, v4
	s_or_b64 s[40:41], vcc, s[40:41]
	v_mov_b32_e32 v4, v3
	s_andn2_b64 exec, exec, s[40:41]
	s_cbranch_execnz .LBB5_26
	s_branch .LBB5_8
.LBB5_27:
	s_lshl_b64 s[0:1], s[24:25], 3
	s_add_u32 s0, s16, s0
	s_addc_u32 s1, s17, s1
	s_lshl_b64 s[2:3], s[26:27], 3
	s_add_u32 s2, s16, s2
	s_addc_u32 s3, s17, s3
	s_load_dwordx2 s[8:9], s[0:1], 0x0
	s_load_dwordx2 s[6:7], s[2:3], 0x0
	s_waitcnt lgkmcnt(0)
	v_mov_b32_e32 v2, s9
	s_sub_u32 s6, s6, s30
	v_add_co_u32_e32 v1, vcc, s8, v9
	s_subb_u32 s7, s7, 0
	v_addc_co_u32_e32 v2, vcc, v2, v10, vcc
	v_cmp_gt_i64_e32 vcc, s[6:7], v[1:2]
	s_and_saveexec_b64 s[8:9], vcc
	s_cbranch_execz .LBB5_37
; %bb.28:
	s_add_u32 s10, s26, -1
	s_addc_u32 s11, s27, -1
	v_mov_b32_e32 v3, s10
	s_add_u32 s0, s26, -2
	v_mov_b32_e32 v4, s11
	s_addc_u32 s1, s27, -1
	v_cmp_lt_i64_e32 vcc, s[24:25], v[3:4]
	s_cmp_lg_u64 s[24:25], s[0:1]
	s_cselect_b64 s[0:1], -1, 0
	s_and_b64 s[0:1], vcc, s[0:1]
	v_cndmask_b32_e64 v3, 0, 1, s[0:1]
	s_mov_b64 s[12:13], 0
	v_cmp_ne_u32_e64 s[0:1], 1, v3
	v_mov_b32_e32 v11, s17
	v_mov_b32_e32 v12, s19
	s_branch .LBB5_30
.LBB5_29:                               ;   in Loop: Header=BB5_30 Depth=1
	s_or_b64 exec, exec, s[2:3]
	v_add_co_u32_e32 v1, vcc, 0x100, v1
	v_addc_co_u32_e32 v2, vcc, 0, v2, vcc
	v_cmp_le_i64_e32 vcc, s[6:7], v[1:2]
	s_or_b64 s[12:13], vcc, s[12:13]
	s_andn2_b64 exec, exec, s[12:13]
	s_cbranch_execz .LBB5_37
.LBB5_30:                               ; =>This Loop Header: Depth=1
                                        ;     Child Loop BB5_32 Depth 2
                                        ;     Child Loop BB5_36 Depth 2
	v_mov_b32_e32 v3, s24
	v_mov_b32_e32 v5, s10
	s_and_b64 vcc, exec, s[0:1]
	v_mov_b32_e32 v4, s25
	v_mov_b32_e32 v6, s11
	s_cbranch_vccnz .LBB5_34
; %bb.31:                               ;   in Loop: Header=BB5_30 Depth=1
	v_mov_b32_e32 v3, s24
	v_mov_b32_e32 v5, s10
	s_mov_b64 s[34:35], 0
	v_mov_b32_e32 v4, s25
	v_mov_b32_e32 v6, s11
.LBB5_32:                               ;   Parent Loop BB5_30 Depth=1
                                        ; =>  This Inner Loop Header: Depth=2
	v_add_co_u32_e32 v7, vcc, v5, v3
	v_addc_co_u32_e32 v8, vcc, v6, v4, vcc
	v_lshrrev_b32_e32 v9, 31, v8
	v_add_co_u32_e32 v7, vcc, v7, v9
	v_addc_co_u32_e32 v8, vcc, 0, v8, vcc
	v_ashrrev_i64 v[7:8], 1, v[7:8]
	v_mov_b32_e32 v13, s17
	v_lshlrev_b64 v[9:10], 3, v[7:8]
	v_add_co_u32_e32 v9, vcc, s16, v9
	v_addc_co_u32_e32 v10, vcc, v13, v10, vcc
	global_load_dwordx2 v[9:10], v[9:10], off
	s_waitcnt vmcnt(0)
	v_subrev_co_u32_e32 v9, vcc, s30, v9
	v_subbrev_co_u32_e32 v10, vcc, 0, v10, vcc
	v_cmp_lt_i64_e32 vcc, v[1:2], v[9:10]
	v_cndmask_b32_e32 v5, v5, v7, vcc
	v_cndmask_b32_e32 v6, v6, v8, vcc
	v_cndmask_b32_e32 v3, v7, v3, vcc
	v_add_co_u32_e64 v7, s[2:3], -1, v5
	v_cndmask_b32_e32 v4, v8, v4, vcc
	v_addc_co_u32_e64 v8, s[2:3], -1, v6, s[2:3]
	v_cmp_ge_i64_e32 vcc, v[3:4], v[5:6]
	v_cmp_eq_u64_e64 s[2:3], v[3:4], v[7:8]
	s_or_b64 s[2:3], vcc, s[2:3]
	s_and_b64 s[2:3], exec, s[2:3]
	s_or_b64 s[34:35], s[2:3], s[34:35]
	s_andn2_b64 exec, exec, s[34:35]
	s_cbranch_execnz .LBB5_32
; %bb.33:                               ;   in Loop: Header=BB5_30 Depth=1
	s_or_b64 exec, exec, s[34:35]
.LBB5_34:                               ;   in Loop: Header=BB5_30 Depth=1
	v_lshlrev_b64 v[7:8], 3, v[5:6]
	v_add_co_u32_e32 v7, vcc, s16, v7
	v_addc_co_u32_e32 v8, vcc, v11, v8, vcc
	global_load_dwordx2 v[9:10], v[7:8], off
	v_lshlrev_b64 v[7:8], 2, v[1:2]
	v_add_co_u32_e32 v13, vcc, s18, v7
	v_addc_co_u32_e32 v14, vcc, v12, v8, vcc
	global_load_dword v16, v[13:14], off
	s_waitcnt vmcnt(1)
	v_subrev_co_u32_e32 v13, vcc, s30, v9
	v_subbrev_co_u32_e32 v14, vcc, 0, v10, vcc
	v_cmp_lt_i64_e32 vcc, v[1:2], v[13:14]
	v_cndmask_b32_e32 v4, v6, v4, vcc
	s_waitcnt vmcnt(0)
	v_subrev_u32_e32 v9, s30, v16
	v_cndmask_b32_e32 v3, v5, v3, vcc
	v_ashrrev_i32_e32 v10, 31, v9
	v_cmp_ne_u64_e32 vcc, v[3:4], v[9:10]
	s_and_saveexec_b64 s[2:3], vcc
	s_cbranch_execz .LBB5_29
; %bb.35:                               ;   in Loop: Header=BB5_30 Depth=1
	v_lshlrev_b64 v[5:6], 2, v[9:10]
	v_mov_b32_e32 v10, s21
	v_add_co_u32_e32 v7, vcc, s20, v7
	v_lshlrev_b64 v[3:4], 2, v[3:4]
	v_addc_co_u32_e32 v8, vcc, v10, v8, vcc
	global_load_dword v7, v[7:8], off
	v_mov_b32_e32 v8, s23
	v_add_co_u32_e32 v3, vcc, s22, v3
	v_addc_co_u32_e32 v4, vcc, v8, v4, vcc
	v_mov_b32_e32 v9, s15
	global_load_dword v8, v[3:4], off
	v_add_co_u32_e32 v3, vcc, s14, v5
	v_addc_co_u32_e32 v4, vcc, v9, v6, vcc
	global_load_dword v6, v[3:4], off
	s_mov_b64 s[34:35], 0
	s_waitcnt vmcnt(2)
	v_mul_f32_e32 v5, s38, v7
	s_waitcnt vmcnt(1)
	v_mul_f32_e32 v7, v5, v8
.LBB5_36:                               ;   Parent Loop BB5_30 Depth=1
                                        ; =>  This Inner Loop Header: Depth=2
	s_waitcnt vmcnt(0)
	v_add_f32_e32 v5, v6, v7
	global_atomic_cmpswap v5, v[3:4], v[5:6], off glc
	s_waitcnt vmcnt(0)
	v_cmp_eq_u32_e32 vcc, v5, v6
	s_or_b64 s[34:35], vcc, s[34:35]
	v_mov_b32_e32 v6, v5
	s_andn2_b64 exec, exec, s[34:35]
	s_cbranch_execnz .LBB5_36
	s_branch .LBB5_29
.LBB5_37:
	s_or_b64 exec, exec, s[8:9]
	s_mov_b64 s[0:1], 0
.LBB5_38:
	s_and_b64 vcc, exec, s[0:1]
	s_cbranch_vccz .LBB5_154
; %bb.39:
	s_load_dword s0, s[4:5], 0x6c
	v_mov_b32_e32 v1, s28
	s_mov_b32 s13, 0
	v_mov_b32_e32 v2, s29
	s_mov_b64 s[36:37], 0
	s_waitcnt lgkmcnt(0)
	s_and_b32 s12, s0, 0xffff
	v_cmp_lt_u64_e32 vcc, s[12:13], v[1:2]
	s_cbranch_vccnz .LBB5_41
; %bb.40:
	v_cvt_f32_u32_e32 v1, s28
	s_sub_i32 s0, 0, s28
	v_rcp_iflag_f32_e32 v1, v1
	v_mul_f32_e32 v1, 0x4f7ffffe, v1
	v_cvt_u32_f32_e32 v1, v1
	v_readfirstlane_b32 s1, v1
	s_mul_i32 s0, s0, s1
	s_mul_hi_u32 s0, s1, s0
	s_add_i32 s1, s1, s0
	s_mul_hi_u32 s0, s12, s1
	s_mul_i32 s2, s0, s28
	s_sub_i32 s2, s12, s2
	s_add_i32 s1, s0, 1
	s_sub_i32 s3, s2, s28
	s_cmp_ge_u32 s2, s28
	s_cselect_b32 s0, s1, s0
	s_cselect_b32 s2, s3, s2
	s_add_i32 s1, s0, 1
	s_cmp_ge_u32 s2, s28
	s_cselect_b32 s36, s1, s0
.LBB5_41:
	s_lshl_b64 s[0:1], s[24:25], 3
	s_add_u32 s34, s16, s0
	s_addc_u32 s35, s17, s1
	s_load_dwordx2 s[6:7], s[34:35], 0x0
	s_load_dwordx4 s[8:11], s[4:5], 0x8
	v_subrev_co_u32_e32 v1, vcc, s30, v0
	v_subb_co_u32_e64 v3, s[0:1], 0, 0, vcc
	s_waitcnt lgkmcnt(0)
	v_mov_b32_e32 v4, s7
	v_add_co_u32_e32 v2, vcc, s6, v1
	v_addc_co_u32_e32 v3, vcc, v4, v3, vcc
	v_add_co_u32_e32 v4, vcc, 0x300, v2
	v_addc_co_u32_e32 v5, vcc, 0, v3, vcc
	v_cmp_le_i64_e64 s[0:1], s[8:9], v[4:5]
	v_mov_b32_e32 v1, 0
	s_and_saveexec_b64 s[2:3], s[0:1]
	s_xor_b64 s[2:3], exec, s[2:3]
	s_cbranch_execnz .LBB5_44
; %bb.42:
	s_or_saveexec_b64 s[2:3], s[2:3]
	v_lshlrev_b64 v[6:7], 2, v[2:3]
	s_xor_b64 exec, exec, s[2:3]
	s_cbranch_execnz .LBB5_48
.LBB5_43:
	s_or_b64 exec, exec, s[2:3]
	v_cmp_gt_i64_e32 vcc, s[10:11], v[0:1]
	s_and_saveexec_b64 s[2:3], vcc
	s_cbranch_execnz .LBB5_49
	s_branch .LBB5_51
.LBB5_44:
	s_lshl_b64 s[4:5], s[26:27], 3
	s_add_u32 s4, s16, s4
	s_addc_u32 s5, s17, s5
	s_load_dwordx2 s[4:5], s[4:5], 0x0
	s_waitcnt lgkmcnt(0)
	s_sub_u32 s4, s4, s6
	s_subb_u32 s5, s5, s7
	v_cmp_gt_i64_e32 vcc, s[4:5], v[0:1]
	s_and_saveexec_b64 s[8:9], vcc
	s_cbranch_execz .LBB5_47
; %bb.45:
	v_lshlrev_b64 v[6:7], 2, v[2:3]
	v_mov_b32_e32 v8, s21
	v_add_co_u32_e32 v6, vcc, s20, v6
	v_addc_co_u32_e32 v7, vcc, v8, v7, vcc
	v_mov_b32_e32 v9, v1
	s_mov_b64 s[40:41], 0
	v_mov_b32_e32 v10, v15
	v_mov_b32_e32 v8, v0
.LBB5_46:                               ; =>This Inner Loop Header: Depth=1
	global_load_dword v11, v[6:7], off
	v_add_co_u32_e32 v6, vcc, 0x400, v6
	v_addc_co_u32_e32 v7, vcc, 0, v7, vcc
	v_add_co_u32_e32 v8, vcc, 0x100, v8
	v_addc_co_u32_e32 v9, vcc, 0, v9, vcc
	v_cmp_le_i64_e32 vcc, s[4:5], v[8:9]
	s_or_b64 s[40:41], vcc, s[40:41]
	s_waitcnt vmcnt(0)
	v_mul_f32_e32 v11, s38, v11
	ds_write_b32 v10, v11
	v_add_u32_e32 v10, 0x400, v10
	s_andn2_b64 exec, exec, s[40:41]
	s_cbranch_execnz .LBB5_46
.LBB5_47:
	s_or_b64 exec, exec, s[8:9]
	s_or_saveexec_b64 s[2:3], s[2:3]
	v_lshlrev_b64 v[6:7], 2, v[2:3]
	s_xor_b64 exec, exec, s[2:3]
	s_cbranch_execz .LBB5_43
.LBB5_48:
	v_mov_b32_e32 v9, s21
	v_add_co_u32_e32 v8, vcc, s20, v6
	v_addc_co_u32_e32 v9, vcc, v9, v7, vcc
	global_load_dword v10, v[8:9], off
	global_load_dword v11, v[8:9], off offset:1024
	global_load_dword v12, v[8:9], off offset:2048
	;; [unrolled: 1-line block ×3, first 2 shown]
	s_waitcnt vmcnt(3)
	v_mul_f32_e32 v8, s38, v10
	s_waitcnt vmcnt(2)
	v_mul_f32_e32 v9, s38, v11
	;; [unrolled: 2-line block ×4, first 2 shown]
	ds_write2st64_b32 v15, v8, v9 offset1:4
	ds_write2st64_b32 v15, v10, v11 offset0:8 offset1:12
	s_or_b64 exec, exec, s[2:3]
	v_cmp_gt_i64_e32 vcc, s[10:11], v[0:1]
	s_and_saveexec_b64 s[2:3], vcc
	s_cbranch_execz .LBB5_51
.LBB5_49:
	v_mov_b32_e32 v8, 0x1000
	v_lshl_add_u32 v10, v0, 2, v8
	v_mov_b32_e32 v9, v1
	s_mov_b64 s[4:5], 0
	v_mov_b32_e32 v11, 0
	v_mov_b32_e32 v8, v0
.LBB5_50:                               ; =>This Inner Loop Header: Depth=1
	v_add_co_u32_e32 v8, vcc, 0x100, v8
	v_addc_co_u32_e32 v9, vcc, 0, v9, vcc
	v_cmp_le_i64_e32 vcc, s[10:11], v[8:9]
	ds_write_b32 v10, v11
	s_or_b64 s[4:5], vcc, s[4:5]
	v_add_u32_e32 v10, 0x400, v10
	s_andn2_b64 exec, exec, s[4:5]
	s_cbranch_execnz .LBB5_50
.LBB5_51:
	s_or_b64 exec, exec, s[2:3]
	v_mov_b32_e32 v8, s10
	v_mov_b32_e32 v9, s11
	s_sub_u32 s4, s26, s10
	v_cmp_ge_i64_e32 vcc, s[26:27], v[8:9]
	s_subb_u32 s5, s27, s11
	s_and_b64 s[2:3], vcc, exec
	s_cselect_b32 s9, s5, 0
	s_cselect_b32 s8, s4, 0
	s_waitcnt lgkmcnt(0)
	s_barrier
	s_and_saveexec_b64 s[2:3], s[0:1]
	s_xor_b64 s[20:21], exec, s[2:3]
	s_cbranch_execz .LBB5_70
; %bb.52:
	s_lshl_b64 s[0:1], s[26:27], 3
	s_add_u32 s0, s16, s0
	s_addc_u32 s1, s17, s1
	s_load_dwordx2 s[0:1], s[0:1], 0x0
	s_waitcnt lgkmcnt(0)
	s_sub_u32 s38, s0, s6
	s_subb_u32 s39, s1, s7
	v_cmp_gt_i64_e32 vcc, s[38:39], v[0:1]
	s_and_saveexec_b64 s[40:41], vcc
	s_cbranch_execz .LBB5_69
; %bb.53:
	s_add_u32 s42, s26, -1
	s_addc_u32 s43, s27, -1
	s_add_u32 s2, s26, -2
	s_addc_u32 s3, s27, -1
	s_cmp_lg_u64 s[24:25], s[2:3]
	s_cselect_b64 s[2:3], -1, 0
	s_sub_u32 s44, s0, s30
	v_cndmask_b32_e64 v4, 0, 1, s[2:3]
	s_subb_u32 s45, s1, 0
	s_mov_b64 s[46:47], 0
	v_cmp_ne_u32_e64 s[0:1], 1, v4
	v_mov_b32_e32 v11, s17
	v_mov_b32_e32 v12, s19
	;; [unrolled: 1-line block ×3, first 2 shown]
	s_mov_b64 s[48:49], 0
	s_branch .LBB5_56
.LBB5_54:                               ;   in Loop: Header=BB5_56 Depth=1
	s_or_b64 exec, exec, s[2:3]
.LBB5_55:                               ;   in Loop: Header=BB5_56 Depth=1
	s_or_b64 exec, exec, s[4:5]
	v_lshlrev_b64 v[4:5], 2, v[4:5]
	v_mov_b32_e32 v6, s23
	v_add_co_u32_e32 v4, vcc, s22, v4
	v_addc_co_u32_e32 v5, vcc, v6, v5, vcc
	global_load_dword v6, v[4:5], off
	s_add_u32 s48, s48, 0x100
	s_addc_u32 s49, s49, 0
	v_mov_b32_e32 v5, s49
	v_add_co_u32_e32 v4, vcc, s48, v0
	v_addc_co_u32_e32 v5, vcc, 0, v5, vcc
	v_cmp_le_i64_e32 vcc, s[38:39], v[4:5]
	v_lshlrev_b32_e32 v7, 2, v10
	s_or_b64 s[46:47], vcc, s[46:47]
	s_waitcnt vmcnt(0) lgkmcnt(0)
	v_mul_f32_e32 v4, v6, v14
	ds_write_b32 v7, v4
	s_andn2_b64 exec, exec, s[46:47]
	s_cbranch_execz .LBB5_69
.LBB5_56:                               ; =>This Loop Header: Depth=1
                                        ;     Child Loop BB5_58 Depth 2
                                        ;     Child Loop BB5_65 Depth 2
	v_mov_b32_e32 v4, s49
	v_add_co_u32_e32 v5, vcc, s48, v2
	v_addc_co_u32_e32 v6, vcc, v4, v3, vcc
	v_mov_b32_e32 v7, s24
	v_mov_b32_e32 v9, s42
	s_and_b64 vcc, exec, s[0:1]
	v_mov_b32_e32 v8, s25
	v_mov_b32_e32 v10, s43
	s_cbranch_vccnz .LBB5_60
; %bb.57:                               ;   in Loop: Header=BB5_56 Depth=1
	v_mov_b32_e32 v7, s24
	v_mov_b32_e32 v9, s42
	s_mov_b64 s[4:5], 0
	v_mov_b32_e32 v8, s25
	v_mov_b32_e32 v10, s43
.LBB5_58:                               ;   Parent Loop BB5_56 Depth=1
                                        ; =>  This Inner Loop Header: Depth=2
	v_add_co_u32_e32 v4, vcc, v9, v7
	v_addc_co_u32_e32 v14, vcc, v10, v8, vcc
	v_lshrrev_b32_e32 v16, 31, v14
	v_add_co_u32_e32 v16, vcc, v4, v16
	v_addc_co_u32_e32 v17, vcc, 0, v14, vcc
	v_ashrrev_i64 v[16:17], 1, v[16:17]
	v_mov_b32_e32 v20, s17
	v_lshlrev_b64 v[18:19], 3, v[16:17]
	v_add_co_u32_e32 v18, vcc, s16, v18
	v_addc_co_u32_e32 v19, vcc, v20, v19, vcc
	global_load_dwordx2 v[18:19], v[18:19], off
	s_waitcnt vmcnt(0)
	v_subrev_co_u32_e32 v18, vcc, s30, v18
	v_subbrev_co_u32_e32 v19, vcc, 0, v19, vcc
	v_cmp_lt_i64_e32 vcc, v[5:6], v[18:19]
	v_cndmask_b32_e32 v9, v9, v16, vcc
	v_cndmask_b32_e32 v10, v10, v17, vcc
	;; [unrolled: 1-line block ×3, first 2 shown]
	v_add_co_u32_e64 v16, s[2:3], -1, v9
	v_cndmask_b32_e32 v8, v17, v8, vcc
	v_addc_co_u32_e64 v17, s[2:3], -1, v10, s[2:3]
	v_cmp_ge_i64_e32 vcc, v[7:8], v[9:10]
	v_cmp_eq_u64_e64 s[2:3], v[7:8], v[16:17]
	s_or_b64 s[2:3], vcc, s[2:3]
	s_and_b64 s[2:3], exec, s[2:3]
	s_or_b64 s[4:5], s[2:3], s[4:5]
	s_andn2_b64 exec, exec, s[4:5]
	s_cbranch_execnz .LBB5_58
; %bb.59:                               ;   in Loop: Header=BB5_56 Depth=1
	s_or_b64 exec, exec, s[4:5]
.LBB5_60:                               ;   in Loop: Header=BB5_56 Depth=1
	v_lshlrev_b64 v[16:17], 3, v[9:10]
	v_lshlrev_b64 v[18:19], 2, v[5:6]
	v_add_co_u32_e32 v16, vcc, s16, v16
	v_addc_co_u32_e32 v17, vcc, v11, v17, vcc
	global_load_dwordx2 v[16:17], v[16:17], off
	v_add_co_u32_e32 v18, vcc, s18, v18
	v_addc_co_u32_e32 v19, vcc, v12, v19, vcc
	global_load_dword v4, v[18:19], off
	v_cmp_le_i64_e32 vcc, s[44:45], v[5:6]
                                        ; implicit-def: $vgpr14
	s_waitcnt vmcnt(1)
	v_subrev_co_u32_e64 v16, s[2:3], s30, v16
	v_subbrev_co_u32_e64 v17, s[2:3], 0, v17, s[2:3]
	v_cmp_lt_i64_e64 s[2:3], v[5:6], v[16:17]
	s_waitcnt vmcnt(0)
	v_subrev_u32_e32 v4, s30, v4
	v_cndmask_b32_e64 v8, v10, v8, s[2:3]
	v_ashrrev_i32_e32 v5, 31, v4
	v_cndmask_b32_e64 v7, v9, v7, s[2:3]
	v_cmp_eq_u64_e64 s[2:3], v[7:8], v[4:5]
	v_add_co_u32_e64 v10, s[4:5], s48, v0
	s_or_b64 s[2:3], s[2:3], vcc
	v_lshlrev_b32_e32 v16, 2, v10
	s_and_saveexec_b64 s[4:5], s[2:3]
	s_xor_b64 s[2:3], exec, s[4:5]
; %bb.61:                               ;   in Loop: Header=BB5_56 Depth=1
	ds_read_b32 v14, v16
                                        ; implicit-def: $vgpr16
                                        ; implicit-def: $vgpr7_vgpr8
; %bb.62:                               ;   in Loop: Header=BB5_56 Depth=1
	s_andn2_saveexec_b64 s[4:5], s[2:3]
	s_cbranch_execz .LBB5_55
; %bb.63:                               ;   in Loop: Header=BB5_56 Depth=1
	v_cmp_gt_i64_e32 vcc, s[8:9], v[4:5]
	v_cmp_le_i64_e64 s[2:3], s[26:27], v[4:5]
	v_lshlrev_b64 v[6:7], 2, v[7:8]
	s_or_b64 s[2:3], vcc, s[2:3]
                                        ; implicit-def: $vgpr14
	s_and_saveexec_b64 s[50:51], s[2:3]
	s_xor_b64 s[2:3], exec, s[50:51]
	s_cbranch_execz .LBB5_67
; %bb.64:                               ;   in Loop: Header=BB5_56 Depth=1
	v_lshlrev_b64 v[8:9], 2, v[4:5]
	v_mov_b32_e32 v17, s23
	v_add_co_u32_e32 v6, vcc, s22, v6
	v_addc_co_u32_e32 v7, vcc, v17, v7, vcc
	s_waitcnt lgkmcnt(0)
	v_mov_b32_e32 v14, s15
	global_load_dword v17, v[6:7], off
	v_add_co_u32_e32 v6, vcc, s14, v8
	v_addc_co_u32_e32 v7, vcc, v14, v9, vcc
	global_load_dword v9, v[6:7], off
	ds_read_b32 v14, v16
	s_mov_b64 s[50:51], 0
	s_waitcnt vmcnt(1) lgkmcnt(0)
	v_mul_f32_e32 v16, v14, v17
.LBB5_65:                               ;   Parent Loop BB5_56 Depth=1
                                        ; =>  This Inner Loop Header: Depth=2
	s_waitcnt vmcnt(0)
	v_add_f32_e32 v8, v9, v16
	global_atomic_cmpswap v8, v[6:7], v[8:9], off glc
	s_waitcnt vmcnt(0)
	v_cmp_eq_u32_e32 vcc, v8, v9
	s_or_b64 s[50:51], vcc, s[50:51]
	v_mov_b32_e32 v9, v8
	s_andn2_b64 exec, exec, s[50:51]
	s_cbranch_execnz .LBB5_65
; %bb.66:                               ;   in Loop: Header=BB5_56 Depth=1
	s_or_b64 exec, exec, s[50:51]
                                        ; implicit-def: $vgpr16
                                        ; implicit-def: $vgpr6_vgpr7
.LBB5_67:                               ;   in Loop: Header=BB5_56 Depth=1
	s_andn2_saveexec_b64 s[2:3], s[2:3]
	s_cbranch_execz .LBB5_54
; %bb.68:                               ;   in Loop: Header=BB5_56 Depth=1
	v_mov_b32_e32 v8, s23
	v_add_co_u32_e32 v6, vcc, s22, v6
	v_addc_co_u32_e32 v7, vcc, v8, v7, vcc
	global_load_dword v6, v[6:7], off
	s_waitcnt lgkmcnt(0)
	ds_read_b32 v14, v16
	v_subrev_u32_e32 v7, s8, v4
	v_lshl_add_u32 v7, v7, 2, v13
	s_waitcnt vmcnt(0) lgkmcnt(0)
	v_mul_f32_e32 v6, v14, v6
	ds_add_f32 v7, v6
	s_branch .LBB5_54
.LBB5_69:
	s_or_b64 exec, exec, s[40:41]
                                        ; implicit-def: $vgpr4_vgpr5
                                        ; implicit-def: $vgpr2
                                        ; implicit-def: $vgpr6_vgpr7
.LBB5_70:
	s_andn2_saveexec_b64 s[4:5], s[20:21]
	s_cbranch_execz .LBB5_120
; %bb.71:
	s_add_u32 s20, s26, -1
	s_addc_u32 s21, s27, -1
	s_add_u32 s0, s26, -2
	s_addc_u32 s1, s27, -1
	s_cmp_lg_u64 s[24:25], s[0:1]
	v_mov_b32_e32 v9, s24
	v_mov_b32_e32 v11, s20
	s_cselect_b64 s[2:3], -1, 0
	s_cmp_eq_u64 s[24:25], s[0:1]
	v_mov_b32_e32 v10, s25
	v_mov_b32_e32 v12, s21
	s_cbranch_scc1 .LBB5_75
; %bb.72:
	v_mov_b32_e32 v9, s24
	v_mov_b32_e32 v11, s20
	s_mov_b64 s[38:39], 0
	v_mov_b32_e32 v10, s25
	v_mov_b32_e32 v12, s21
	v_mov_b32_e32 v8, s17
.LBB5_73:                               ; =>This Inner Loop Header: Depth=1
	v_add_co_u32_e32 v13, vcc, v11, v9
	v_addc_co_u32_e32 v14, vcc, v12, v10, vcc
	v_lshrrev_b32_e32 v16, 31, v14
	v_add_co_u32_e32 v13, vcc, v13, v16
	v_addc_co_u32_e32 v14, vcc, 0, v14, vcc
	v_ashrrev_i64 v[13:14], 1, v[13:14]
	v_lshlrev_b64 v[16:17], 3, v[13:14]
	v_add_co_u32_e32 v16, vcc, s16, v16
	v_addc_co_u32_e32 v17, vcc, v8, v17, vcc
	global_load_dwordx2 v[16:17], v[16:17], off
	s_waitcnt vmcnt(0)
	v_subrev_co_u32_e32 v16, vcc, s30, v16
	v_subbrev_co_u32_e32 v17, vcc, 0, v17, vcc
	v_cmp_lt_i64_e32 vcc, v[2:3], v[16:17]
	v_cndmask_b32_e32 v11, v11, v13, vcc
	v_cndmask_b32_e32 v12, v12, v14, vcc
	;; [unrolled: 1-line block ×3, first 2 shown]
	v_add_co_u32_e64 v13, s[0:1], -1, v11
	v_cndmask_b32_e32 v10, v14, v10, vcc
	v_addc_co_u32_e64 v14, s[0:1], -1, v12, s[0:1]
	v_cmp_ge_i64_e32 vcc, v[9:10], v[11:12]
	v_cmp_eq_u64_e64 s[0:1], v[9:10], v[13:14]
	s_or_b64 s[0:1], vcc, s[0:1]
	s_and_b64 s[0:1], exec, s[0:1]
	s_or_b64 s[38:39], s[0:1], s[38:39]
	s_andn2_b64 exec, exec, s[38:39]
	s_cbranch_execnz .LBB5_73
; %bb.74:
	s_or_b64 exec, exec, s[38:39]
.LBB5_75:
	v_lshlrev_b64 v[13:14], 3, v[11:12]
	v_mov_b32_e32 v16, s19
	v_add_co_u32_e32 v6, vcc, s18, v6
	v_addc_co_u32_e32 v7, vcc, v16, v7, vcc
	v_mov_b32_e32 v8, s17
	v_add_co_u32_e32 v13, vcc, s16, v13
	v_addc_co_u32_e32 v14, vcc, v8, v14, vcc
	global_load_dwordx2 v[13:14], v[13:14], off
	s_lshl_b64 s[0:1], s[26:27], 3
	global_load_dword v16, v[6:7], off
	s_add_u32 s18, s16, s0
	s_addc_u32 s19, s17, s1
	s_waitcnt vmcnt(1)
	v_subrev_co_u32_e32 v13, vcc, s30, v13
	v_subbrev_co_u32_e32 v14, vcc, 0, v14, vcc
	v_cmp_lt_i64_e32 vcc, v[2:3], v[13:14]
	s_waitcnt vmcnt(0)
	v_subrev_u32_e32 v8, s30, v16
	v_cndmask_b32_e32 v12, v12, v10, vcc
	v_cndmask_b32_e32 v11, v11, v9, vcc
	v_ashrrev_i32_e32 v9, 31, v8
	v_cmp_ne_u64_e32 vcc, v[11:12], v[8:9]
	s_and_saveexec_b64 s[38:39], vcc
	s_cbranch_execz .LBB5_83
; %bb.76:
	s_load_dwordx2 s[0:1], s[18:19], 0x0
	s_waitcnt lgkmcnt(0)
	s_sub_u32 s0, s0, s30
	s_subb_u32 s1, s1, 0
	v_cmp_gt_i64_e32 vcc, s[0:1], v[2:3]
	s_and_b64 exec, exec, vcc
	s_cbranch_execz .LBB5_83
; %bb.77:
	v_cmp_gt_i64_e32 vcc, s[8:9], v[8:9]
	v_cmp_le_i64_e64 s[0:1], s[26:27], v[8:9]
	v_lshlrev_b64 v[10:11], 2, v[11:12]
	s_or_b64 s[0:1], vcc, s[0:1]
	s_and_saveexec_b64 s[40:41], s[0:1]
	s_xor_b64 s[0:1], exec, s[40:41]
	s_cbranch_execz .LBB5_81
; %bb.78:
	v_lshlrev_b64 v[12:13], 2, v[8:9]
	v_mov_b32_e32 v16, s23
	v_add_co_u32_e32 v10, vcc, s22, v10
	v_addc_co_u32_e32 v11, vcc, v16, v11, vcc
	v_mov_b32_e32 v14, s15
	global_load_dword v16, v[10:11], off
	v_add_co_u32_e32 v10, vcc, s14, v12
	v_addc_co_u32_e32 v11, vcc, v14, v13, vcc
	global_load_dword v13, v[10:11], off
	ds_read_b32 v12, v15
	s_mov_b64 s[40:41], 0
	s_waitcnt vmcnt(1) lgkmcnt(0)
	v_mul_f32_e32 v14, v12, v16
.LBB5_79:                               ; =>This Inner Loop Header: Depth=1
	s_waitcnt vmcnt(0)
	v_add_f32_e32 v12, v13, v14
	global_atomic_cmpswap v12, v[10:11], v[12:13], off glc
	s_waitcnt vmcnt(0)
	v_cmp_eq_u32_e32 vcc, v12, v13
	s_or_b64 s[40:41], vcc, s[40:41]
	v_mov_b32_e32 v13, v12
	s_andn2_b64 exec, exec, s[40:41]
	s_cbranch_execnz .LBB5_79
; %bb.80:
	s_or_b64 exec, exec, s[40:41]
                                        ; implicit-def: $vgpr10_vgpr11
.LBB5_81:
	s_andn2_saveexec_b64 s[0:1], s[0:1]
	s_cbranch_execz .LBB5_83
; %bb.82:
	v_mov_b32_e32 v12, s23
	v_add_co_u32_e32 v10, vcc, s22, v10
	v_addc_co_u32_e32 v11, vcc, v12, v11, vcc
	global_load_dword v10, v[10:11], off
	ds_read_b32 v11, v15
	v_subrev_u32_e32 v12, s8, v8
	v_mov_b32_e32 v13, 0x1000
	v_lshl_add_u32 v12, v12, 2, v13
	s_waitcnt vmcnt(0) lgkmcnt(0)
	v_mul_f32_e32 v10, v11, v10
	ds_add_f32 v12, v10
.LBB5_83:
	s_or_b64 exec, exec, s[38:39]
	v_lshlrev_b64 v[8:9], 2, v[8:9]
	v_mov_b32_e32 v10, s23
	v_add_co_u32_e32 v8, vcc, s22, v8
	v_addc_co_u32_e32 v9, vcc, v10, v9, vcc
	global_load_dword v10, v[8:9], off
	ds_read_b32 v13, v15
	v_add_co_u32_e32 v8, vcc, 0x100, v2
	v_cndmask_b32_e64 v14, 0, 1, s[2:3]
	v_mov_b32_e32 v11, s24
	v_addc_co_u32_e32 v9, vcc, 0, v3, vcc
	v_cmp_ne_u32_e64 s[0:1], 1, v14
	v_mov_b32_e32 v12, s25
	s_andn2_b64 vcc, exec, s[2:3]
	s_waitcnt vmcnt(0) lgkmcnt(0)
	v_mul_f32_e32 v10, v10, v13
	v_mov_b32_e32 v13, s20
	v_mov_b32_e32 v14, s21
	ds_write_b32 v15, v10
	s_cbranch_vccnz .LBB5_87
; %bb.84:
	v_mov_b32_e32 v11, s24
	v_mov_b32_e32 v13, s20
	s_mov_b64 s[38:39], 0
	v_mov_b32_e32 v12, s25
	v_mov_b32_e32 v14, s21
	;; [unrolled: 1-line block ×3, first 2 shown]
.LBB5_85:                               ; =>This Inner Loop Header: Depth=1
	v_add_co_u32_e32 v16, vcc, v13, v11
	v_addc_co_u32_e32 v17, vcc, v14, v12, vcc
	v_lshrrev_b32_e32 v18, 31, v17
	v_add_co_u32_e32 v16, vcc, v16, v18
	v_addc_co_u32_e32 v17, vcc, 0, v17, vcc
	v_ashrrev_i64 v[16:17], 1, v[16:17]
	v_lshlrev_b64 v[18:19], 3, v[16:17]
	v_add_co_u32_e32 v18, vcc, s16, v18
	v_addc_co_u32_e32 v19, vcc, v10, v19, vcc
	global_load_dwordx2 v[18:19], v[18:19], off
	s_waitcnt vmcnt(0)
	v_subrev_co_u32_e32 v18, vcc, s30, v18
	v_subbrev_co_u32_e32 v19, vcc, 0, v19, vcc
	v_cmp_lt_i64_e32 vcc, v[8:9], v[18:19]
	v_cndmask_b32_e32 v13, v13, v16, vcc
	v_cndmask_b32_e32 v14, v14, v17, vcc
	;; [unrolled: 1-line block ×3, first 2 shown]
	v_add_co_u32_e64 v16, s[2:3], -1, v13
	v_cndmask_b32_e32 v12, v17, v12, vcc
	v_addc_co_u32_e64 v17, s[2:3], -1, v14, s[2:3]
	v_cmp_ge_i64_e32 vcc, v[11:12], v[13:14]
	v_cmp_eq_u64_e64 s[2:3], v[11:12], v[16:17]
	s_or_b64 s[2:3], vcc, s[2:3]
	s_and_b64 s[2:3], exec, s[2:3]
	s_or_b64 s[38:39], s[2:3], s[38:39]
	s_andn2_b64 exec, exec, s[38:39]
	s_cbranch_execnz .LBB5_85
; %bb.86:
	s_or_b64 exec, exec, s[38:39]
.LBB5_87:
	v_lshlrev_b64 v[16:17], 3, v[13:14]
	v_mov_b32_e32 v10, s17
	v_add_co_u32_e32 v16, vcc, s16, v16
	v_addc_co_u32_e32 v17, vcc, v10, v17, vcc
	global_load_dwordx2 v[16:17], v[16:17], off
	s_waitcnt vmcnt(0)
	v_subrev_co_u32_e32 v16, vcc, s30, v16
	global_load_dword v18, v[6:7], off offset:1024
	v_subbrev_co_u32_e32 v17, vcc, 0, v17, vcc
	v_cmp_lt_i64_e32 vcc, v[8:9], v[16:17]
	v_cndmask_b32_e32 v14, v14, v12, vcc
	v_cndmask_b32_e32 v13, v13, v11, vcc
	s_waitcnt vmcnt(0)
	v_subrev_u32_e32 v10, s30, v18
	v_ashrrev_i32_e32 v11, 31, v10
	v_cmp_ne_u64_e32 vcc, v[13:14], v[10:11]
	s_and_saveexec_b64 s[38:39], vcc
	s_cbranch_execz .LBB5_95
; %bb.88:
	s_load_dwordx2 s[2:3], s[18:19], 0x0
	s_waitcnt lgkmcnt(0)
	s_sub_u32 s2, s2, s30
	s_subb_u32 s3, s3, 0
	v_cmp_gt_i64_e32 vcc, s[2:3], v[8:9]
	s_and_b64 exec, exec, vcc
	s_cbranch_execz .LBB5_95
; %bb.89:
	v_cmp_gt_i64_e32 vcc, s[8:9], v[10:11]
	v_cmp_le_i64_e64 s[2:3], s[26:27], v[10:11]
	v_lshlrev_b64 v[8:9], 2, v[13:14]
	s_or_b64 s[2:3], vcc, s[2:3]
	s_and_saveexec_b64 s[40:41], s[2:3]
	s_xor_b64 s[2:3], exec, s[40:41]
	s_cbranch_execz .LBB5_93
; %bb.90:
	v_lshlrev_b64 v[12:13], 2, v[10:11]
	v_mov_b32_e32 v16, s23
	v_add_co_u32_e32 v8, vcc, s22, v8
	v_addc_co_u32_e32 v9, vcc, v16, v9, vcc
	v_mov_b32_e32 v14, s15
	global_load_dword v16, v[8:9], off
	v_add_co_u32_e32 v8, vcc, s14, v12
	v_addc_co_u32_e32 v9, vcc, v14, v13, vcc
	global_load_dword v13, v[8:9], off
	ds_read_b32 v12, v15 offset:1024
	s_mov_b64 s[40:41], 0
	s_waitcnt vmcnt(1) lgkmcnt(0)
	v_mul_f32_e32 v14, v12, v16
.LBB5_91:                               ; =>This Inner Loop Header: Depth=1
	s_waitcnt vmcnt(0)
	v_add_f32_e32 v12, v13, v14
	global_atomic_cmpswap v12, v[8:9], v[12:13], off glc
	s_waitcnt vmcnt(0)
	v_cmp_eq_u32_e32 vcc, v12, v13
	s_or_b64 s[40:41], vcc, s[40:41]
	v_mov_b32_e32 v13, v12
	s_andn2_b64 exec, exec, s[40:41]
	s_cbranch_execnz .LBB5_91
; %bb.92:
	s_or_b64 exec, exec, s[40:41]
                                        ; implicit-def: $vgpr8_vgpr9
.LBB5_93:
	s_andn2_saveexec_b64 s[2:3], s[2:3]
	s_cbranch_execz .LBB5_95
; %bb.94:
	v_mov_b32_e32 v12, s23
	v_add_co_u32_e32 v8, vcc, s22, v8
	v_addc_co_u32_e32 v9, vcc, v12, v9, vcc
	global_load_dword v8, v[8:9], off
	ds_read_b32 v9, v15 offset:1024
	v_subrev_u32_e32 v12, s8, v10
	v_mov_b32_e32 v13, 0x1000
	v_lshl_add_u32 v12, v12, 2, v13
	s_waitcnt vmcnt(0) lgkmcnt(0)
	v_mul_f32_e32 v8, v9, v8
	ds_add_f32 v12, v8
.LBB5_95:
	s_or_b64 exec, exec, s[38:39]
	v_lshlrev_b64 v[8:9], 2, v[10:11]
	v_mov_b32_e32 v10, s23
	v_add_co_u32_e32 v8, vcc, s22, v8
	v_addc_co_u32_e32 v9, vcc, v10, v9, vcc
	global_load_dword v8, v[8:9], off
	ds_read_b32 v11, v15 offset:1024
	v_add_co_u32_e32 v2, vcc, 0x200, v2
	v_mov_b32_e32 v9, s24
	v_addc_co_u32_e32 v3, vcc, 0, v3, vcc
	v_mov_b32_e32 v10, s25
	s_and_b64 vcc, exec, s[0:1]
	s_waitcnt vmcnt(0) lgkmcnt(0)
	v_mul_f32_e32 v8, v8, v11
	v_mov_b32_e32 v11, s20
	v_mov_b32_e32 v12, s21
	ds_write_b32 v15, v8 offset:1024
	s_cbranch_vccnz .LBB5_99
; %bb.96:
	v_mov_b32_e32 v9, s24
	v_mov_b32_e32 v11, s20
	s_mov_b64 s[38:39], 0
	v_mov_b32_e32 v10, s25
	v_mov_b32_e32 v12, s21
	;; [unrolled: 1-line block ×3, first 2 shown]
.LBB5_97:                               ; =>This Inner Loop Header: Depth=1
	v_add_co_u32_e32 v13, vcc, v11, v9
	v_addc_co_u32_e32 v14, vcc, v12, v10, vcc
	v_lshrrev_b32_e32 v16, 31, v14
	v_add_co_u32_e32 v13, vcc, v13, v16
	v_addc_co_u32_e32 v14, vcc, 0, v14, vcc
	v_ashrrev_i64 v[13:14], 1, v[13:14]
	v_lshlrev_b64 v[16:17], 3, v[13:14]
	v_add_co_u32_e32 v16, vcc, s16, v16
	v_addc_co_u32_e32 v17, vcc, v8, v17, vcc
	global_load_dwordx2 v[16:17], v[16:17], off
	s_waitcnt vmcnt(0)
	v_subrev_co_u32_e32 v16, vcc, s30, v16
	v_subbrev_co_u32_e32 v17, vcc, 0, v17, vcc
	v_cmp_lt_i64_e32 vcc, v[2:3], v[16:17]
	v_cndmask_b32_e32 v11, v11, v13, vcc
	v_cndmask_b32_e32 v12, v12, v14, vcc
	;; [unrolled: 1-line block ×3, first 2 shown]
	v_add_co_u32_e64 v13, s[2:3], -1, v11
	v_cndmask_b32_e32 v10, v14, v10, vcc
	v_addc_co_u32_e64 v14, s[2:3], -1, v12, s[2:3]
	v_cmp_ge_i64_e32 vcc, v[9:10], v[11:12]
	v_cmp_eq_u64_e64 s[2:3], v[9:10], v[13:14]
	s_or_b64 s[2:3], vcc, s[2:3]
	s_and_b64 s[2:3], exec, s[2:3]
	s_or_b64 s[38:39], s[2:3], s[38:39]
	s_andn2_b64 exec, exec, s[38:39]
	s_cbranch_execnz .LBB5_97
; %bb.98:
	s_or_b64 exec, exec, s[38:39]
.LBB5_99:
	v_lshlrev_b64 v[13:14], 3, v[11:12]
	v_mov_b32_e32 v8, s17
	v_add_co_u32_e32 v13, vcc, s16, v13
	v_addc_co_u32_e32 v14, vcc, v8, v14, vcc
	global_load_dwordx2 v[13:14], v[13:14], off
	s_waitcnt vmcnt(0)
	v_subrev_co_u32_e32 v13, vcc, s30, v13
	global_load_dword v16, v[6:7], off offset:2048
	v_subbrev_co_u32_e32 v14, vcc, 0, v14, vcc
	v_cmp_lt_i64_e32 vcc, v[2:3], v[13:14]
	v_cndmask_b32_e32 v12, v12, v10, vcc
	v_cndmask_b32_e32 v11, v11, v9, vcc
	s_waitcnt vmcnt(0)
	v_subrev_u32_e32 v8, s30, v16
	v_ashrrev_i32_e32 v9, 31, v8
	v_cmp_ne_u64_e32 vcc, v[11:12], v[8:9]
	s_and_saveexec_b64 s[38:39], vcc
	s_cbranch_execz .LBB5_107
; %bb.100:
	s_load_dwordx2 s[2:3], s[18:19], 0x0
	s_waitcnt lgkmcnt(0)
	s_sub_u32 s2, s2, s30
	s_subb_u32 s3, s3, 0
	v_cmp_gt_i64_e32 vcc, s[2:3], v[2:3]
	s_and_b64 exec, exec, vcc
	s_cbranch_execz .LBB5_107
; %bb.101:
	v_cmp_gt_i64_e32 vcc, s[8:9], v[8:9]
	v_cmp_le_i64_e64 s[2:3], s[26:27], v[8:9]
	v_lshlrev_b64 v[2:3], 2, v[11:12]
	s_or_b64 s[2:3], vcc, s[2:3]
	s_and_saveexec_b64 s[40:41], s[2:3]
	s_xor_b64 s[2:3], exec, s[40:41]
	s_cbranch_execz .LBB5_105
; %bb.102:
	v_lshlrev_b64 v[10:11], 2, v[8:9]
	v_mov_b32_e32 v13, s23
	v_add_co_u32_e32 v2, vcc, s22, v2
	v_addc_co_u32_e32 v3, vcc, v13, v3, vcc
	v_mov_b32_e32 v12, s15
	global_load_dword v13, v[2:3], off
	v_add_co_u32_e32 v2, vcc, s14, v10
	v_addc_co_u32_e32 v3, vcc, v12, v11, vcc
	global_load_dword v11, v[2:3], off
	ds_read_b32 v10, v15 offset:2048
	s_mov_b64 s[40:41], 0
	s_waitcnt vmcnt(1) lgkmcnt(0)
	v_mul_f32_e32 v12, v10, v13
.LBB5_103:                              ; =>This Inner Loop Header: Depth=1
	s_waitcnt vmcnt(0)
	v_add_f32_e32 v10, v11, v12
	global_atomic_cmpswap v10, v[2:3], v[10:11], off glc
	s_waitcnt vmcnt(0)
	v_cmp_eq_u32_e32 vcc, v10, v11
	s_or_b64 s[40:41], vcc, s[40:41]
	v_mov_b32_e32 v11, v10
	s_andn2_b64 exec, exec, s[40:41]
	s_cbranch_execnz .LBB5_103
; %bb.104:
	s_or_b64 exec, exec, s[40:41]
                                        ; implicit-def: $vgpr2_vgpr3
.LBB5_105:
	s_andn2_saveexec_b64 s[2:3], s[2:3]
	s_cbranch_execz .LBB5_107
; %bb.106:
	v_mov_b32_e32 v10, s23
	v_add_co_u32_e32 v2, vcc, s22, v2
	v_addc_co_u32_e32 v3, vcc, v10, v3, vcc
	global_load_dword v2, v[2:3], off
	ds_read_b32 v3, v15 offset:2048
	v_subrev_u32_e32 v10, s8, v8
	v_mov_b32_e32 v11, 0x1000
	v_lshl_add_u32 v10, v10, 2, v11
	s_waitcnt vmcnt(0) lgkmcnt(0)
	v_mul_f32_e32 v2, v3, v2
	ds_add_f32 v10, v2
.LBB5_107:
	s_or_b64 exec, exec, s[38:39]
	v_lshlrev_b64 v[2:3], 2, v[8:9]
	v_mov_b32_e32 v8, s23
	v_add_co_u32_e32 v2, vcc, s22, v2
	v_addc_co_u32_e32 v3, vcc, v8, v3, vcc
	global_load_dword v2, v[2:3], off
	ds_read_b32 v3, v15 offset:2048
	v_mov_b32_e32 v8, s24
	v_mov_b32_e32 v10, s20
	s_and_b64 vcc, exec, s[0:1]
	v_mov_b32_e32 v9, s25
	v_mov_b32_e32 v11, s21
	s_waitcnt vmcnt(0) lgkmcnt(0)
	v_mul_f32_e32 v2, v2, v3
	ds_write_b32 v15, v2 offset:2048
	s_cbranch_vccnz .LBB5_111
; %bb.108:
	v_mov_b32_e32 v8, s24
	v_mov_b32_e32 v10, s20
	s_mov_b64 s[2:3], 0
	v_mov_b32_e32 v9, s25
	v_mov_b32_e32 v11, s21
	;; [unrolled: 1-line block ×3, first 2 shown]
.LBB5_109:                              ; =>This Inner Loop Header: Depth=1
	v_add_co_u32_e32 v3, vcc, v10, v8
	v_addc_co_u32_e32 v13, vcc, v11, v9, vcc
	v_lshrrev_b32_e32 v12, 31, v13
	v_add_co_u32_e32 v12, vcc, v3, v12
	v_addc_co_u32_e32 v13, vcc, 0, v13, vcc
	v_ashrrev_i64 v[12:13], 1, v[12:13]
	v_lshlrev_b64 v[16:17], 3, v[12:13]
	v_add_co_u32_e32 v16, vcc, s16, v16
	v_addc_co_u32_e32 v17, vcc, v2, v17, vcc
	global_load_dwordx2 v[16:17], v[16:17], off
	s_waitcnt vmcnt(0)
	v_subrev_co_u32_e32 v16, vcc, s30, v16
	v_subbrev_co_u32_e32 v17, vcc, 0, v17, vcc
	v_cmp_lt_i64_e32 vcc, v[4:5], v[16:17]
	v_cndmask_b32_e32 v10, v10, v12, vcc
	v_cndmask_b32_e32 v11, v11, v13, vcc
	;; [unrolled: 1-line block ×3, first 2 shown]
	v_add_co_u32_e64 v12, s[0:1], -1, v10
	v_cndmask_b32_e32 v9, v13, v9, vcc
	v_addc_co_u32_e64 v13, s[0:1], -1, v11, s[0:1]
	v_cmp_ge_i64_e32 vcc, v[8:9], v[10:11]
	v_cmp_eq_u64_e64 s[0:1], v[8:9], v[12:13]
	s_or_b64 s[0:1], vcc, s[0:1]
	s_and_b64 s[0:1], exec, s[0:1]
	s_or_b64 s[2:3], s[0:1], s[2:3]
	s_andn2_b64 exec, exec, s[2:3]
	s_cbranch_execnz .LBB5_109
; %bb.110:
	s_or_b64 exec, exec, s[2:3]
.LBB5_111:
	v_lshlrev_b64 v[2:3], 3, v[10:11]
	v_mov_b32_e32 v12, s17
	v_add_co_u32_e32 v2, vcc, s16, v2
	v_addc_co_u32_e32 v3, vcc, v12, v3, vcc
	global_load_dword v13, v[6:7], off offset:3072
	s_nop 0
	global_load_dwordx2 v[6:7], v[2:3], off
	s_waitcnt vmcnt(1)
	v_subrev_u32_e32 v2, s30, v13
	v_ashrrev_i32_e32 v3, 31, v2
	s_waitcnt vmcnt(0)
	v_subrev_co_u32_e32 v6, vcc, s30, v6
	v_subbrev_co_u32_e32 v7, vcc, 0, v7, vcc
	v_cmp_lt_i64_e32 vcc, v[4:5], v[6:7]
	v_cndmask_b32_e32 v7, v11, v9, vcc
	v_cndmask_b32_e32 v6, v10, v8, vcc
	v_cmp_ne_u64_e32 vcc, v[6:7], v[2:3]
	s_and_saveexec_b64 s[2:3], vcc
	s_cbranch_execz .LBB5_119
; %bb.112:
	s_load_dwordx2 s[0:1], s[18:19], 0x0
	s_waitcnt lgkmcnt(0)
	s_sub_u32 s0, s0, s30
	s_subb_u32 s1, s1, 0
	v_cmp_gt_i64_e32 vcc, s[0:1], v[4:5]
	s_and_b64 exec, exec, vcc
	s_cbranch_execz .LBB5_119
; %bb.113:
	v_cmp_gt_i64_e32 vcc, s[8:9], v[2:3]
	v_cmp_le_i64_e64 s[0:1], s[26:27], v[2:3]
	v_lshlrev_b64 v[4:5], 2, v[6:7]
	s_or_b64 s[0:1], vcc, s[0:1]
	s_and_saveexec_b64 s[18:19], s[0:1]
	s_xor_b64 s[0:1], exec, s[18:19]
	s_cbranch_execz .LBB5_117
; %bb.114:
	v_lshlrev_b64 v[6:7], 2, v[2:3]
	v_mov_b32_e32 v9, s23
	v_add_co_u32_e32 v4, vcc, s22, v4
	v_addc_co_u32_e32 v5, vcc, v9, v5, vcc
	v_mov_b32_e32 v8, s15
	global_load_dword v9, v[4:5], off
	v_add_co_u32_e32 v4, vcc, s14, v6
	v_addc_co_u32_e32 v5, vcc, v8, v7, vcc
	global_load_dword v7, v[4:5], off
	ds_read_b32 v6, v15 offset:3072
	s_mov_b64 s[18:19], 0
	s_waitcnt vmcnt(1) lgkmcnt(0)
	v_mul_f32_e32 v8, v6, v9
.LBB5_115:                              ; =>This Inner Loop Header: Depth=1
	s_waitcnt vmcnt(0)
	v_add_f32_e32 v6, v7, v8
	global_atomic_cmpswap v6, v[4:5], v[6:7], off glc
	s_waitcnt vmcnt(0)
	v_cmp_eq_u32_e32 vcc, v6, v7
	s_or_b64 s[18:19], vcc, s[18:19]
	v_mov_b32_e32 v7, v6
	s_andn2_b64 exec, exec, s[18:19]
	s_cbranch_execnz .LBB5_115
; %bb.116:
	s_or_b64 exec, exec, s[18:19]
                                        ; implicit-def: $vgpr4_vgpr5
.LBB5_117:
	s_andn2_saveexec_b64 s[0:1], s[0:1]
	s_cbranch_execz .LBB5_119
; %bb.118:
	v_mov_b32_e32 v6, s23
	v_add_co_u32_e32 v4, vcc, s22, v4
	v_addc_co_u32_e32 v5, vcc, v6, v5, vcc
	global_load_dword v4, v[4:5], off
	ds_read_b32 v5, v15 offset:3072
	v_subrev_u32_e32 v6, s8, v2
	v_mov_b32_e32 v7, 0x1000
	v_lshl_add_u32 v6, v6, 2, v7
	s_waitcnt vmcnt(0) lgkmcnt(0)
	v_mul_f32_e32 v4, v5, v4
	ds_add_f32 v6, v4
.LBB5_119:
	s_or_b64 exec, exec, s[2:3]
	v_lshlrev_b64 v[2:3], 2, v[2:3]
	v_mov_b32_e32 v4, s23
	v_add_co_u32_e32 v2, vcc, s22, v2
	v_addc_co_u32_e32 v3, vcc, v4, v3, vcc
	global_load_dword v2, v[2:3], off
	ds_read_b32 v3, v15 offset:3072
	s_waitcnt vmcnt(0) lgkmcnt(0)
	v_mul_f32_e32 v2, v2, v3
	ds_write_b32 v15, v2 offset:3072
.LBB5_120:
	s_or_b64 exec, exec, s[4:5]
	v_mov_b32_e32 v2, s10
	v_mov_b32_e32 v3, s11
	v_cmp_lt_i64_e32 vcc, s[26:27], v[2:3]
	s_waitcnt lgkmcnt(0)
	s_and_b64 s[0:1], vcc, exec
	s_cselect_b32 s10, s26, s10
	s_cselect_b32 s0, s27, s11
	s_sub_u32 s2, s10, s28
	s_subb_u32 s3, s0, s29
	v_cmp_gt_i64_e32 vcc, s[2:3], v[0:1]
	s_barrier
	s_and_saveexec_b64 s[0:1], vcc
	s_cbranch_execz .LBB5_125
; %bb.121:
	s_lshl_b64 s[4:5], s[8:9], 2
	s_add_u32 s11, s14, s4
	s_addc_u32 s8, s15, s5
	v_mov_b32_e32 v3, v1
	s_mov_b64 s[4:5], 0
	v_mov_b32_e32 v8, s8
	v_mov_b32_e32 v9, 0x1000
	;; [unrolled: 1-line block ×3, first 2 shown]
.LBB5_122:                              ; =>This Loop Header: Depth=1
                                        ;     Child Loop BB5_123 Depth 2
	v_lshlrev_b64 v[4:5], 2, v[2:3]
	v_lshl_add_u32 v6, v2, 2, v9
	v_add_co_u32_e32 v4, vcc, s11, v4
	v_addc_co_u32_e32 v5, vcc, v8, v5, vcc
	global_load_dword v7, v[4:5], off
	ds_read_b32 v10, v6
	s_mov_b64 s[8:9], 0
.LBB5_123:                              ;   Parent Loop BB5_122 Depth=1
                                        ; =>  This Inner Loop Header: Depth=2
	s_waitcnt vmcnt(0) lgkmcnt(0)
	v_add_f32_e32 v6, v7, v10
	global_atomic_cmpswap v6, v[4:5], v[6:7], off glc
	s_waitcnt vmcnt(0)
	v_cmp_eq_u32_e32 vcc, v6, v7
	s_or_b64 s[8:9], vcc, s[8:9]
	v_mov_b32_e32 v7, v6
	s_andn2_b64 exec, exec, s[8:9]
	s_cbranch_execnz .LBB5_123
; %bb.124:                              ;   in Loop: Header=BB5_122 Depth=1
	s_or_b64 exec, exec, s[8:9]
	v_add_co_u32_e32 v2, vcc, 0x100, v2
	v_addc_co_u32_e32 v3, vcc, 0, v3, vcc
	v_cmp_le_i64_e32 vcc, s[2:3], v[2:3]
	s_or_b64 s[4:5], vcc, s[4:5]
	s_andn2_b64 exec, exec, s[4:5]
	s_cbranch_execnz .LBB5_122
.LBB5_125:
	s_or_b64 exec, exec, s[0:1]
	s_add_i32 s0, s36, -1
	s_ashr_i32 s1, s0, 1
	s_or_b32 s0, s1, s0
	s_ashr_i32 s1, s0, 2
	s_or_b32 s0, s1, s0
	;; [unrolled: 2-line block ×5, first 2 shown]
	s_add_i32 s0, s0, 1
	s_ashr_i32 s3, s0, 1
	v_mov_b32_e32 v2, s25
	v_add_co_u32_e32 v6, vcc, s24, v0
	v_addc_co_u32_e32 v7, vcc, 0, v2, vcc
	s_cmp_gt_i32 s3, 1
	s_mov_b64 s[0:1], -1
	s_barrier
	s_cbranch_scc1 .LBB5_136
; %bb.126:
	v_cmp_gt_i64_e32 vcc, s[26:27], v[6:7]
	s_and_saveexec_b64 s[0:1], vcc
	s_cbranch_execz .LBB5_135
; %bb.127:
	s_sub_i32 s4, s10, s26
	s_lshl_b32 s4, s4, 2
	s_add_i32 s13, s4, 0x1000
	s_lshl_b32 s4, s6, 2
	v_mov_b32_e32 v9, v7
	s_sub_i32 s18, 0, s4
	s_mov_b64 s[4:5], 0
	v_mov_b32_e32 v12, s17
	v_mov_b32_e32 v13, s15
	;; [unrolled: 1-line block ×3, first 2 shown]
.LBB5_128:                              ; =>This Loop Header: Depth=1
                                        ;     Child Loop BB5_130 Depth 2
                                        ;     Child Loop BB5_133 Depth 2
	v_lshlrev_b64 v[2:3], 3, v[8:9]
	v_mov_b32_e32 v14, 0
	v_add_co_u32_e32 v2, vcc, s16, v2
	v_addc_co_u32_e32 v3, vcc, v12, v3, vcc
	global_load_dwordx4 v[2:5], v[2:3], off
	s_waitcnt vmcnt(0)
	v_cmp_lt_i64_e32 vcc, v[2:3], v[4:5]
	s_and_saveexec_b64 s[8:9], vcc
	s_cbranch_execz .LBB5_132
; %bb.129:                              ;   in Loop: Header=BB5_128 Depth=1
	v_mov_b32_e32 v10, s7
	v_subrev_co_u32_e32 v4, vcc, s6, v4
	v_subb_co_u32_e32 v5, vcc, v5, v10, vcc
	v_mov_b32_e32 v11, s7
	v_subrev_co_u32_e32 v10, vcc, s6, v2
	v_subb_co_u32_e32 v11, vcc, v3, v11, vcc
	v_lshl_add_u32 v2, v2, 2, s18
	v_mov_b32_e32 v14, 0
	s_mov_b64 s[10:11], 0
.LBB5_130:                              ;   Parent Loop BB5_128 Depth=1
                                        ; =>  This Inner Loop Header: Depth=2
	ds_read_b32 v3, v2
	v_add_co_u32_e32 v10, vcc, 1, v10
	v_addc_co_u32_e32 v11, vcc, 0, v11, vcc
	v_cmp_ge_i64_e32 vcc, v[10:11], v[4:5]
	v_add_u32_e32 v2, 4, v2
	s_or_b64 s[10:11], vcc, s[10:11]
	s_waitcnt lgkmcnt(0)
	v_add_f32_e32 v14, v14, v3
	s_andn2_b64 exec, exec, s[10:11]
	s_cbranch_execnz .LBB5_130
; %bb.131:                              ;   in Loop: Header=BB5_128 Depth=1
	s_or_b64 exec, exec, s[10:11]
.LBB5_132:                              ;   in Loop: Header=BB5_128 Depth=1
	s_or_b64 exec, exec, s[8:9]
	v_lshlrev_b64 v[2:3], 2, v[8:9]
	v_lshl_add_u32 v4, v8, 2, s13
	v_add_co_u32_e32 v2, vcc, s14, v2
	v_addc_co_u32_e32 v3, vcc, v13, v3, vcc
	global_load_dword v5, v[2:3], off
	ds_read_b32 v4, v4
	s_mov_b64 s[8:9], 0
	s_waitcnt lgkmcnt(0)
	v_add_f32_e32 v10, v14, v4
.LBB5_133:                              ;   Parent Loop BB5_128 Depth=1
                                        ; =>  This Inner Loop Header: Depth=2
	s_waitcnt vmcnt(0)
	v_add_f32_e32 v4, v5, v10
	global_atomic_cmpswap v4, v[2:3], v[4:5], off glc
	s_waitcnt vmcnt(0)
	v_cmp_eq_u32_e32 vcc, v4, v5
	s_or_b64 s[8:9], vcc, s[8:9]
	v_mov_b32_e32 v5, v4
	s_andn2_b64 exec, exec, s[8:9]
	s_cbranch_execnz .LBB5_133
; %bb.134:                              ;   in Loop: Header=BB5_128 Depth=1
	s_or_b64 exec, exec, s[8:9]
	v_add_co_u32_e32 v8, vcc, s12, v8
	v_addc_co_u32_e32 v9, vcc, 0, v9, vcc
	v_cmp_le_i64_e32 vcc, s[26:27], v[8:9]
	s_or_b64 s[4:5], vcc, s[4:5]
	s_andn2_b64 exec, exec, s[4:5]
	s_cbranch_execnz .LBB5_128
.LBB5_135:
	s_or_b64 exec, exec, s[0:1]
	s_mov_b64 s[0:1], 0
.LBB5_136:
	s_andn2_b64 vcc, exec, s[0:1]
	s_cbranch_vccnz .LBB5_154
; %bb.137:
	v_cvt_f32_u32_e32 v2, s3
	s_sub_i32 s8, 0, s3
	v_mov_b32_e32 v5, 0
	v_mov_b32_e32 v8, s35
	v_rcp_iflag_f32_e32 v2, v2
	v_mov_b32_e32 v13, s7
	v_mul_f32_e32 v2, 0x4f7ffffe, v2
	v_cvt_u32_f32_e32 v2, v2
	v_mul_lo_u32 v3, s8, v2
	v_mul_hi_u32 v3, v2, v3
	v_add_u32_e32 v2, v2, v3
	v_mul_hi_u32 v2, v0, v2
	v_mul_lo_u32 v3, v2, s3
	v_add_u32_e32 v4, 1, v2
	v_sub_u32_e32 v3, v0, v3
	v_cmp_le_u32_e32 vcc, s3, v3
	v_cndmask_b32_e32 v2, v2, v4, vcc
	v_subrev_u32_e32 v4, s3, v3
	v_cndmask_b32_e32 v3, v3, v4, vcc
	v_add_u32_e32 v4, 1, v2
	v_cmp_le_u32_e32 vcc, s3, v3
	v_cndmask_b32_e32 v4, v2, v4, vcc
	v_lshlrev_b64 v[2:3], 3, v[4:5]
	v_add_co_u32_e32 v2, vcc, s34, v2
	v_addc_co_u32_e32 v3, vcc, v8, v3, vcc
	global_load_dwordx4 v[8:11], v[2:3], off
	v_mov_b32_e32 v3, s7
	s_waitcnt vmcnt(0)
	v_subrev_co_u32_e32 v2, vcc, s6, v8
	v_subb_co_u32_e32 v3, vcc, v9, v3, vcc
	v_subrev_co_u32_e32 v12, vcc, s6, v10
	v_subb_co_u32_e32 v13, vcc, v11, v13, vcc
	v_sub_co_u32_e32 v11, vcc, v12, v2
	v_subb_co_u32_e32 v10, vcc, v13, v3, vcc
	v_mov_b32_e32 v9, v5
	v_cmp_ne_u64_e32 vcc, 0, v[9:10]
                                        ; implicit-def: $vgpr8_vgpr9
	s_and_saveexec_b64 s[0:1], vcc
	s_xor_b64 s[4:5], exec, s[0:1]
	s_cbranch_execz .LBB5_139
; %bb.138:
	s_add_u32 s0, s3, 0
	s_addc_u32 s1, 0, 0
	s_xor_b64 s[6:7], s[0:1], 0
	v_cvt_f32_u32_e32 v8, s6
	v_cvt_f32_u32_e32 v9, s7
	s_sub_u32 s9, 0, s6
	s_subb_u32 s10, 0, s7
	v_ashrrev_i32_e32 v14, 31, v10
	v_madmk_f32 v8, v9, 0x4f800000, v8
	v_rcp_f32_e32 v8, v8
	v_mul_f32_e32 v8, 0x5f7ffffc, v8
	v_mul_f32_e32 v9, 0x2f800000, v8
	v_trunc_f32_e32 v9, v9
	v_madmk_f32 v8, v9, 0xcf800000, v8
	v_cvt_u32_f32_e32 v9, v9
	v_cvt_u32_f32_e32 v8, v8
	v_readfirstlane_b32 s11, v9
	v_readfirstlane_b32 s0, v8
	s_mul_i32 s1, s9, s11
	s_mul_hi_u32 s13, s9, s0
	s_mul_i32 s12, s10, s0
	s_add_i32 s1, s13, s1
	s_mul_i32 s16, s9, s0
	s_add_i32 s1, s1, s12
	s_mul_i32 s13, s0, s1
	s_mul_hi_u32 s17, s0, s16
	s_mul_hi_u32 s12, s0, s1
	s_add_u32 s13, s17, s13
	s_addc_u32 s12, 0, s12
	s_mul_hi_u32 s18, s11, s16
	s_mul_i32 s16, s11, s16
	s_add_u32 s13, s13, s16
	s_mul_hi_u32 s17, s11, s1
	s_addc_u32 s12, s12, s18
	s_addc_u32 s13, s17, 0
	s_mul_i32 s1, s11, s1
	s_add_u32 s1, s12, s1
	s_addc_u32 s12, 0, s13
	s_add_u32 s13, s0, s1
	s_cselect_b64 s[0:1], -1, 0
	s_cmp_lg_u64 s[0:1], 0
	s_addc_u32 s11, s11, s12
	s_mul_i32 s0, s9, s11
	s_mul_hi_u32 s1, s9, s13
	s_add_i32 s0, s1, s0
	s_mul_i32 s10, s10, s13
	s_add_i32 s0, s0, s10
	s_mul_i32 s9, s9, s13
	s_mul_hi_u32 s10, s11, s9
	s_mul_i32 s12, s11, s9
	s_mul_i32 s17, s13, s0
	s_mul_hi_u32 s9, s13, s9
	s_mul_hi_u32 s16, s13, s0
	s_add_u32 s9, s9, s17
	s_addc_u32 s16, 0, s16
	s_add_u32 s9, s9, s12
	s_mul_hi_u32 s1, s11, s0
	s_addc_u32 s9, s16, s10
	s_addc_u32 s1, s1, 0
	s_mul_i32 s0, s11, s0
	s_add_u32 s0, s9, s0
	s_addc_u32 s9, 0, s1
	s_add_u32 s10, s13, s0
	s_cselect_b64 s[0:1], -1, 0
	s_cmp_lg_u64 s[0:1], 0
	v_add_co_u32_e32 v8, vcc, v11, v14
	s_addc_u32 s9, s11, s9
	v_xor_b32_e32 v16, v8, v14
	v_mad_u64_u32 v[8:9], s[0:1], v16, s9, 0
	v_mul_hi_u32 v11, v16, s10
	v_addc_co_u32_e32 v10, vcc, v10, v14, vcc
	v_xor_b32_e32 v17, v10, v14
	v_add_co_u32_e32 v18, vcc, v11, v8
	v_addc_co_u32_e32 v19, vcc, 0, v9, vcc
	v_mad_u64_u32 v[8:9], s[0:1], v17, s10, 0
	v_mad_u64_u32 v[10:11], s[0:1], v17, s9, 0
	v_add_co_u32_e32 v8, vcc, v18, v8
	v_addc_co_u32_e32 v8, vcc, v19, v9, vcc
	v_addc_co_u32_e32 v9, vcc, 0, v11, vcc
	v_add_co_u32_e32 v10, vcc, v8, v10
	v_addc_co_u32_e32 v11, vcc, 0, v9, vcc
	v_mul_lo_u32 v18, s7, v10
	v_mul_lo_u32 v19, s6, v11
	v_mad_u64_u32 v[8:9], s[0:1], s6, v10, 0
	v_add3_u32 v9, v9, v19, v18
	v_sub_u32_e32 v18, v17, v9
	v_mov_b32_e32 v19, s7
	v_sub_co_u32_e32 v8, vcc, v16, v8
	v_subb_co_u32_e64 v16, s[0:1], v18, v19, vcc
	v_subrev_co_u32_e64 v18, s[0:1], s6, v8
	v_subbrev_co_u32_e64 v16, s[0:1], 0, v16, s[0:1]
	v_cmp_le_u32_e64 s[0:1], s7, v16
	v_cndmask_b32_e64 v19, 0, -1, s[0:1]
	v_cmp_le_u32_e64 s[0:1], s6, v18
	v_cndmask_b32_e64 v18, 0, -1, s[0:1]
	v_cmp_eq_u32_e64 s[0:1], s7, v16
	v_cndmask_b32_e64 v16, v19, v18, s[0:1]
	v_add_co_u32_e64 v18, s[0:1], 2, v10
	v_subb_co_u32_e32 v9, vcc, v17, v9, vcc
	v_addc_co_u32_e64 v19, s[0:1], 0, v11, s[0:1]
	v_cmp_le_u32_e32 vcc, s7, v9
	v_add_co_u32_e64 v20, s[0:1], 1, v10
	v_cndmask_b32_e64 v17, 0, -1, vcc
	v_cmp_le_u32_e32 vcc, s6, v8
	v_addc_co_u32_e64 v21, s[0:1], 0, v11, s[0:1]
	v_cndmask_b32_e64 v8, 0, -1, vcc
	v_cmp_eq_u32_e32 vcc, s7, v9
	v_cmp_ne_u32_e64 s[0:1], 0, v16
	v_cndmask_b32_e32 v8, v17, v8, vcc
	v_cndmask_b32_e64 v16, v21, v19, s[0:1]
	v_cmp_ne_u32_e32 vcc, 0, v8
	v_cndmask_b32_e64 v9, v20, v18, s[0:1]
	v_cndmask_b32_e32 v8, v11, v16, vcc
	v_cndmask_b32_e32 v9, v10, v9, vcc
	v_xor_b32_e32 v10, v8, v14
	v_xor_b32_e32 v8, v9, v14
	v_sub_co_u32_e32 v8, vcc, v8, v14
	v_subb_co_u32_e32 v9, vcc, v10, v14, vcc
                                        ; implicit-def: $vgpr11
.LBB5_139:
	s_andn2_saveexec_b64 s[0:1], s[4:5]
	s_cbranch_execz .LBB5_141
; %bb.140:
	v_cvt_f32_u32_e32 v8, s3
	v_rcp_iflag_f32_e32 v8, v8
	v_mul_f32_e32 v8, 0x4f7ffffe, v8
	v_cvt_u32_f32_e32 v8, v8
	v_mul_lo_u32 v9, s8, v8
	v_mul_hi_u32 v9, v8, v9
	v_add_u32_e32 v8, v8, v9
	v_mul_hi_u32 v8, v11, v8
	v_mul_lo_u32 v9, v8, s3
	v_add_u32_e32 v10, 1, v8
	v_sub_u32_e32 v9, v11, v9
	v_subrev_u32_e32 v11, s3, v9
	v_cmp_le_u32_e32 vcc, s3, v9
	v_cndmask_b32_e32 v9, v9, v11, vcc
	v_cndmask_b32_e32 v8, v8, v10, vcc
	v_add_u32_e32 v10, 1, v8
	v_cmp_le_u32_e32 vcc, s3, v9
	v_cndmask_b32_e32 v8, v8, v10, vcc
	v_mov_b32_e32 v9, 0
.LBB5_141:
	s_or_b64 exec, exec, s[0:1]
	v_cmp_gt_i64_e32 vcc, s[28:29], v[4:5]
	v_mov_b32_e32 v14, 0
	s_and_saveexec_b64 s[0:1], vcc
	s_cbranch_execz .LBB5_149
; %bb.142:
	s_add_i32 s4, s3, -1
	v_and_b32_e32 v4, s4, v0
	v_cmp_lt_i64_e32 vcc, 0, v[8:9]
	s_mov_b64 s[4:5], 0
	v_mov_b32_e32 v14, 0
	v_lshlrev_b32_e32 v16, 2, v4
	s_and_saveexec_b64 s[6:7], vcc
	s_cbranch_execz .LBB5_146
; %bb.143:
	v_mov_b32_e32 v11, v9
	v_lshl_add_u32 v5, v2, 2, v16
	s_lshl_b32 s8, s3, 2
	v_mov_b32_e32 v14, 0
	v_mov_b32_e32 v10, v8
.LBB5_144:                              ; =>This Inner Loop Header: Depth=1
	ds_read_b32 v17, v5
	v_add_co_u32_e32 v10, vcc, -1, v10
	v_addc_co_u32_e32 v11, vcc, -1, v11, vcc
	v_cmp_eq_u64_e32 vcc, 0, v[10:11]
	v_add_u32_e32 v5, s8, v5
	s_or_b64 s[4:5], vcc, s[4:5]
	s_waitcnt lgkmcnt(0)
	v_add_f32_e32 v14, v14, v17
	s_andn2_b64 exec, exec, s[4:5]
	s_cbranch_execnz .LBB5_144
; %bb.145:
	s_or_b64 exec, exec, s[4:5]
.LBB5_146:
	s_or_b64 exec, exec, s[6:7]
	v_mad_u64_u32 v[2:3], s[4:5], v8, s3, v[2:3]
	v_mov_b32_e32 v5, 0
	v_mad_u64_u32 v[8:9], s[4:5], v9, s3, v[3:4]
	v_sub_co_u32_e32 v9, vcc, v12, v2
	v_subb_co_u32_e32 v10, vcc, v13, v8, vcc
	v_cmp_gt_i64_e32 vcc, v[9:10], v[4:5]
	s_and_saveexec_b64 s[4:5], vcc
	s_cbranch_execz .LBB5_148
; %bb.147:
	v_lshl_add_u32 v2, v2, 2, v16
	ds_read_b32 v2, v2
	s_waitcnt lgkmcnt(0)
	v_add_f32_e32 v14, v14, v2
.LBB5_148:
	s_or_b64 exec, exec, s[4:5]
.LBB5_149:
	s_or_b64 exec, exec, s[0:1]
	v_cmp_gt_i64_e32 vcc, s[28:29], v[0:1]
	s_barrier
	ds_write_b32 v15, v14
	s_waitcnt lgkmcnt(0)
	s_barrier
	s_and_saveexec_b64 s[0:1], vcc
	s_cbranch_execz .LBB5_154
; %bb.150:
	v_mul_lo_u32 v1, s3, v0
	v_mov_b32_e32 v3, 0
	v_lshlrev_b32_e32 v1, 2, v1
.LBB5_151:                              ; =>This Inner Loop Header: Depth=1
	ds_read_b32 v2, v1
	s_add_i32 s3, s3, -1
	v_add_u32_e32 v1, 4, v1
	s_cmp_eq_u32 s3, 0
	s_waitcnt lgkmcnt(0)
	v_add_f32_e32 v3, v3, v2
	s_cbranch_scc0 .LBB5_151
; %bb.152:
	v_lshlrev_b64 v[1:2], 2, v[6:7]
	v_mov_b32_e32 v4, s15
	v_add_co_u32_e32 v1, vcc, s14, v1
	v_addc_co_u32_e32 v2, vcc, v4, v2, vcc
	global_load_dword v4, v[1:2], off
	s_lshl_b32 s0, s2, 2
	s_addk_i32 s0, 0x1000
	v_lshl_add_u32 v0, v0, 2, s0
	ds_read_b32 v0, v0
	s_mov_b64 s[0:1], 0
	s_waitcnt lgkmcnt(0)
	v_add_f32_e32 v0, v3, v0
.LBB5_153:                              ; =>This Inner Loop Header: Depth=1
	s_waitcnt vmcnt(0)
	v_add_f32_e32 v3, v4, v0
	global_atomic_cmpswap v3, v[1:2], v[3:4], off glc
	s_waitcnt vmcnt(0)
	v_cmp_eq_u32_e32 vcc, v3, v4
	s_or_b64 s[0:1], vcc, s[0:1]
	v_mov_b32_e32 v4, v3
	s_andn2_b64 exec, exec, s[0:1]
	s_cbranch_execnz .LBB5_153
.LBB5_154:
	s_endpgm
	.section	.rodata,"a",@progbits
	.p2align	6, 0x0
	.amdhsa_kernel _ZN9rocsparseL27csrmvn_symm_adaptive_kernelIliffffEEvbT_S1_PKS1_NS_24const_host_device_scalarIT4_EES3_PKT0_PKT1_PKT2_S6_PT3_21rocsparse_index_base_b
		.amdhsa_group_segment_fixed_size 4096
		.amdhsa_private_segment_fixed_size 0
		.amdhsa_kernarg_size 352
		.amdhsa_user_sgpr_count 6
		.amdhsa_user_sgpr_private_segment_buffer 1
		.amdhsa_user_sgpr_dispatch_ptr 0
		.amdhsa_user_sgpr_queue_ptr 0
		.amdhsa_user_sgpr_kernarg_segment_ptr 1
		.amdhsa_user_sgpr_dispatch_id 0
		.amdhsa_user_sgpr_flat_scratch_init 0
		.amdhsa_user_sgpr_private_segment_size 0
		.amdhsa_uses_dynamic_stack 0
		.amdhsa_system_sgpr_private_segment_wavefront_offset 0
		.amdhsa_system_sgpr_workgroup_id_x 1
		.amdhsa_system_sgpr_workgroup_id_y 0
		.amdhsa_system_sgpr_workgroup_id_z 0
		.amdhsa_system_sgpr_workgroup_info 0
		.amdhsa_system_vgpr_workitem_id 0
		.amdhsa_next_free_vgpr 22
		.amdhsa_next_free_sgpr 52
		.amdhsa_reserve_vcc 1
		.amdhsa_reserve_flat_scratch 0
		.amdhsa_float_round_mode_32 0
		.amdhsa_float_round_mode_16_64 0
		.amdhsa_float_denorm_mode_32 3
		.amdhsa_float_denorm_mode_16_64 3
		.amdhsa_dx10_clamp 1
		.amdhsa_ieee_mode 1
		.amdhsa_fp16_overflow 0
		.amdhsa_exception_fp_ieee_invalid_op 0
		.amdhsa_exception_fp_denorm_src 0
		.amdhsa_exception_fp_ieee_div_zero 0
		.amdhsa_exception_fp_ieee_overflow 0
		.amdhsa_exception_fp_ieee_underflow 0
		.amdhsa_exception_fp_ieee_inexact 0
		.amdhsa_exception_int_div_zero 0
	.end_amdhsa_kernel
	.section	.text._ZN9rocsparseL27csrmvn_symm_adaptive_kernelIliffffEEvbT_S1_PKS1_NS_24const_host_device_scalarIT4_EES3_PKT0_PKT1_PKT2_S6_PT3_21rocsparse_index_base_b,"axG",@progbits,_ZN9rocsparseL27csrmvn_symm_adaptive_kernelIliffffEEvbT_S1_PKS1_NS_24const_host_device_scalarIT4_EES3_PKT0_PKT1_PKT2_S6_PT3_21rocsparse_index_base_b,comdat
.Lfunc_end5:
	.size	_ZN9rocsparseL27csrmvn_symm_adaptive_kernelIliffffEEvbT_S1_PKS1_NS_24const_host_device_scalarIT4_EES3_PKT0_PKT1_PKT2_S6_PT3_21rocsparse_index_base_b, .Lfunc_end5-_ZN9rocsparseL27csrmvn_symm_adaptive_kernelIliffffEEvbT_S1_PKS1_NS_24const_host_device_scalarIT4_EES3_PKT0_PKT1_PKT2_S6_PT3_21rocsparse_index_base_b
                                        ; -- End function
	.set _ZN9rocsparseL27csrmvn_symm_adaptive_kernelIliffffEEvbT_S1_PKS1_NS_24const_host_device_scalarIT4_EES3_PKT0_PKT1_PKT2_S6_PT3_21rocsparse_index_base_b.num_vgpr, 22
	.set _ZN9rocsparseL27csrmvn_symm_adaptive_kernelIliffffEEvbT_S1_PKS1_NS_24const_host_device_scalarIT4_EES3_PKT0_PKT1_PKT2_S6_PT3_21rocsparse_index_base_b.num_agpr, 0
	.set _ZN9rocsparseL27csrmvn_symm_adaptive_kernelIliffffEEvbT_S1_PKS1_NS_24const_host_device_scalarIT4_EES3_PKT0_PKT1_PKT2_S6_PT3_21rocsparse_index_base_b.numbered_sgpr, 52
	.set _ZN9rocsparseL27csrmvn_symm_adaptive_kernelIliffffEEvbT_S1_PKS1_NS_24const_host_device_scalarIT4_EES3_PKT0_PKT1_PKT2_S6_PT3_21rocsparse_index_base_b.num_named_barrier, 0
	.set _ZN9rocsparseL27csrmvn_symm_adaptive_kernelIliffffEEvbT_S1_PKS1_NS_24const_host_device_scalarIT4_EES3_PKT0_PKT1_PKT2_S6_PT3_21rocsparse_index_base_b.private_seg_size, 0
	.set _ZN9rocsparseL27csrmvn_symm_adaptive_kernelIliffffEEvbT_S1_PKS1_NS_24const_host_device_scalarIT4_EES3_PKT0_PKT1_PKT2_S6_PT3_21rocsparse_index_base_b.uses_vcc, 1
	.set _ZN9rocsparseL27csrmvn_symm_adaptive_kernelIliffffEEvbT_S1_PKS1_NS_24const_host_device_scalarIT4_EES3_PKT0_PKT1_PKT2_S6_PT3_21rocsparse_index_base_b.uses_flat_scratch, 0
	.set _ZN9rocsparseL27csrmvn_symm_adaptive_kernelIliffffEEvbT_S1_PKS1_NS_24const_host_device_scalarIT4_EES3_PKT0_PKT1_PKT2_S6_PT3_21rocsparse_index_base_b.has_dyn_sized_stack, 0
	.set _ZN9rocsparseL27csrmvn_symm_adaptive_kernelIliffffEEvbT_S1_PKS1_NS_24const_host_device_scalarIT4_EES3_PKT0_PKT1_PKT2_S6_PT3_21rocsparse_index_base_b.has_recursion, 0
	.set _ZN9rocsparseL27csrmvn_symm_adaptive_kernelIliffffEEvbT_S1_PKS1_NS_24const_host_device_scalarIT4_EES3_PKT0_PKT1_PKT2_S6_PT3_21rocsparse_index_base_b.has_indirect_call, 0
	.section	.AMDGPU.csdata,"",@progbits
; Kernel info:
; codeLenInByte = 7420
; TotalNumSgprs: 56
; NumVgprs: 22
; ScratchSize: 0
; MemoryBound: 0
; FloatMode: 240
; IeeeMode: 1
; LDSByteSize: 4096 bytes/workgroup (compile time only)
; SGPRBlocks: 6
; VGPRBlocks: 5
; NumSGPRsForWavesPerEU: 56
; NumVGPRsForWavesPerEU: 22
; Occupancy: 10
; WaveLimiterHint : 1
; COMPUTE_PGM_RSRC2:SCRATCH_EN: 0
; COMPUTE_PGM_RSRC2:USER_SGPR: 6
; COMPUTE_PGM_RSRC2:TRAP_HANDLER: 0
; COMPUTE_PGM_RSRC2:TGID_X_EN: 1
; COMPUTE_PGM_RSRC2:TGID_Y_EN: 0
; COMPUTE_PGM_RSRC2:TGID_Z_EN: 0
; COMPUTE_PGM_RSRC2:TIDIG_COMP_CNT: 0
	.section	.text._ZL33csrmvn_symm_large_adaptive_kernelIliffffEvbT_PKS0_N9rocsparse24const_host_device_scalarIT4_EES2_PKT0_PKT1_PKT2_S6_PT3_21rocsparse_index_base_b,"axG",@progbits,_ZL33csrmvn_symm_large_adaptive_kernelIliffffEvbT_PKS0_N9rocsparse24const_host_device_scalarIT4_EES2_PKT0_PKT1_PKT2_S6_PT3_21rocsparse_index_base_b,comdat
	.globl	_ZL33csrmvn_symm_large_adaptive_kernelIliffffEvbT_PKS0_N9rocsparse24const_host_device_scalarIT4_EES2_PKT0_PKT1_PKT2_S6_PT3_21rocsparse_index_base_b ; -- Begin function _ZL33csrmvn_symm_large_adaptive_kernelIliffffEvbT_PKS0_N9rocsparse24const_host_device_scalarIT4_EES2_PKT0_PKT1_PKT2_S6_PT3_21rocsparse_index_base_b
	.p2align	8
	.type	_ZL33csrmvn_symm_large_adaptive_kernelIliffffEvbT_PKS0_N9rocsparse24const_host_device_scalarIT4_EES2_PKT0_PKT1_PKT2_S6_PT3_21rocsparse_index_base_b,@function
_ZL33csrmvn_symm_large_adaptive_kernelIliffffEvbT_PKS0_N9rocsparse24const_host_device_scalarIT4_EES2_PKT0_PKT1_PKT2_S6_PT3_21rocsparse_index_base_b: ; @_ZL33csrmvn_symm_large_adaptive_kernelIliffffEvbT_PKS0_N9rocsparse24const_host_device_scalarIT4_EES2_PKT0_PKT1_PKT2_S6_PT3_21rocsparse_index_base_b
; %bb.0:
	s_load_dwordx2 s[10:11], s[4:5], 0x50
	s_load_dwordx2 s[24:25], s[4:5], 0x18
	;; [unrolled: 1-line block ×3, first 2 shown]
	s_waitcnt lgkmcnt(0)
	s_bitcmp1_b32 s11, 0
	s_cselect_b64 s[8:9], -1, 0
	s_xor_b64 s[2:3], s[8:9], -1
	s_and_b64 vcc, exec, s[8:9]
	s_cbranch_vccnz .LBB6_2
; %bb.1:
	s_load_dword s24, s[24:25], 0x0
.LBB6_2:
	s_andn2_b64 vcc, exec, s[2:3]
	s_cbranch_vccnz .LBB6_4
; %bb.3:
	s_load_dword s0, s[0:1], 0x0
.LBB6_4:
	s_waitcnt lgkmcnt(0)
	v_cmp_neq_f32_e64 s[2:3], s24, 0
	v_cmp_neq_f32_e64 s[0:1], s0, 1.0
	s_or_b64 s[0:1], s[2:3], s[0:1]
	s_andn2_b64 vcc, exec, s[0:1]
	s_cbranch_vccnz .LBB6_34
; %bb.5:
	s_load_dwordx2 s[0:1], s[4:5], 0x10
	s_ashr_i32 s7, s6, 31
	s_lshl_b64 s[2:3], s[6:7], 3
	v_lshlrev_b32_e32 v8, 2, v0
	v_mov_b32_e32 v9, 0
	s_waitcnt lgkmcnt(0)
	s_add_u32 s0, s0, s2
	s_addc_u32 s1, s1, s3
	ds_write2st64_b32 v8, v9, v9 offset1:4
	ds_write2st64_b32 v8, v9, v9 offset0:8 offset1:12
	s_waitcnt lgkmcnt(0)
	s_barrier
	s_load_dwordx4 s[20:23], s[0:1], 0x0
	s_load_dwordx8 s[12:19], s[4:5], 0x20
	s_load_dwordx2 s[26:27], s[4:5], 0x48
	v_subrev_co_u32_e64 v10, s[0:1], s10, v0
	s_waitcnt lgkmcnt(0)
	v_mov_b32_e32 v1, s22
	v_mov_b32_e32 v2, s23
	v_cmp_ge_i64_e32 vcc, s[20:21], v[1:2]
	v_subb_co_u32_e64 v11, s[0:1], 0, 0, s[0:1]
	s_cbranch_vccnz .LBB6_24
; %bb.6:
	v_cmp_gt_u32_e64 s[0:1], 64, v0
	v_cmp_gt_u32_e64 s[2:3], 16, v0
	;; [unrolled: 1-line block ×3, first 2 shown]
	v_cmp_eq_u32_e64 s[6:7], 0, v0
	v_mov_b32_e32 v0, s22
	v_mov_b32_e32 v1, s23
	s_movk_i32 s11, 0x100
	s_mov_b64 s[28:29], s[20:21]
	s_branch .LBB6_8
.LBB6_7:                                ;   in Loop: Header=BB6_8 Depth=1
	s_or_b64 exec, exec, s[8:9]
	s_add_u32 s28, s28, 1
	s_addc_u32 s29, s29, 0
	v_cmp_ge_i64_e32 vcc, s[28:29], v[0:1]
	s_cbranch_vccnz .LBB6_24
.LBB6_8:                                ; =>This Loop Header: Depth=1
                                        ;     Child Loop BB6_10 Depth 2
                                        ;     Child Loop BB6_23 Depth 2
	s_lshl_b64 s[8:9], s[28:29], 3
	s_add_u32 s8, s12, s8
	s_addc_u32 s9, s13, s9
	s_load_dwordx4 s[36:39], s[8:9], 0x0
	v_mov_b32_e32 v12, 0
	s_waitcnt lgkmcnt(0)
	s_sub_u32 s30, s38, s10
	v_mov_b32_e32 v3, s37
	v_add_co_u32_e32 v2, vcc, s36, v10
	s_subb_u32 s31, s39, 0
	v_addc_co_u32_e32 v3, vcc, v3, v11, vcc
	v_cmp_gt_i64_e32 vcc, s[30:31], v[2:3]
	s_and_saveexec_b64 s[34:35], vcc
	s_cbranch_execz .LBB6_12
; %bb.9:                                ;   in Loop: Header=BB6_8 Depth=1
	v_lshlrev_b64 v[6:7], 2, v[2:3]
	v_mov_b32_e32 v5, s15
	v_add_co_u32_e32 v4, vcc, s14, v6
	v_addc_co_u32_e32 v5, vcc, v5, v7, vcc
	v_mov_b32_e32 v12, s17
	v_add_co_u32_e32 v6, vcc, s16, v6
	v_addc_co_u32_e32 v7, vcc, v12, v7, vcc
	v_mov_b32_e32 v12, 0
	s_mov_b64 s[36:37], 0
.LBB6_10:                               ;   Parent Loop BB6_8 Depth=1
                                        ; =>  This Inner Loop Header: Depth=2
	global_load_dword v13, v[4:5], off
	global_load_dword v15, v[6:7], off
	v_mov_b32_e32 v16, s19
	s_waitcnt vmcnt(1)
	v_subrev_u32_e32 v13, s10, v13
	v_ashrrev_i32_e32 v14, 31, v13
	v_lshlrev_b64 v[13:14], 2, v[13:14]
	v_add_co_u32_e32 v13, vcc, s18, v13
	v_addc_co_u32_e32 v14, vcc, v16, v14, vcc
	global_load_dword v13, v[13:14], off
	v_add_co_u32_e32 v2, vcc, s11, v2
	v_addc_co_u32_e32 v3, vcc, 0, v3, vcc
	v_add_co_u32_e32 v4, vcc, 0x400, v4
	v_addc_co_u32_e32 v5, vcc, 0, v5, vcc
	v_cmp_le_i64_e64 s[8:9], s[30:31], v[2:3]
	v_add_co_u32_e32 v6, vcc, 0x400, v6
	v_addc_co_u32_e32 v7, vcc, 0, v7, vcc
	s_or_b64 s[36:37], s[8:9], s[36:37]
	s_waitcnt vmcnt(0)
	v_fmac_f32_e32 v12, v15, v13
	s_andn2_b64 exec, exec, s[36:37]
	s_cbranch_execnz .LBB6_10
; %bb.11:                               ;   in Loop: Header=BB6_8 Depth=1
	s_or_b64 exec, exec, s[36:37]
.LBB6_12:                               ;   in Loop: Header=BB6_8 Depth=1
	s_or_b64 exec, exec, s[34:35]
	ds_write_b32 v8, v12
	s_waitcnt lgkmcnt(0)
	s_barrier
	ds_read2st64_b32 v[2:3], v8 offset1:4
	ds_read2st64_b32 v[4:5], v8 offset0:8 offset1:12
	s_waitcnt lgkmcnt(0)
	v_add_f32_e32 v3, v3, v4
	v_add_f32_e32 v3, v3, v5
	;; [unrolled: 1-line block ×3, first 2 shown]
	ds_write_b32 v8, v2
	s_waitcnt lgkmcnt(0)
	s_barrier
	s_and_saveexec_b64 s[8:9], s[0:1]
	s_cbranch_execz .LBB6_14
; %bb.13:                               ;   in Loop: Header=BB6_8 Depth=1
	ds_read2st64_b32 v[2:3], v8 offset1:1
	ds_read2st64_b32 v[4:5], v8 offset0:2 offset1:3
	s_waitcnt lgkmcnt(0)
	v_add_f32_e32 v3, v3, v4
	v_add_f32_e32 v3, v3, v5
	v_add_f32_e32 v2, v2, v3
	ds_write_b32 v8, v2
.LBB6_14:                               ;   in Loop: Header=BB6_8 Depth=1
	s_or_b64 exec, exec, s[8:9]
	s_waitcnt lgkmcnt(0)
	s_barrier
	s_and_saveexec_b64 s[8:9], s[2:3]
	s_cbranch_execz .LBB6_16
; %bb.15:                               ;   in Loop: Header=BB6_8 Depth=1
	ds_read2_b32 v[2:3], v8 offset1:16
	ds_read2_b32 v[4:5], v8 offset0:32 offset1:48
	s_waitcnt lgkmcnt(0)
	v_add_f32_e32 v3, v3, v4
	v_add_f32_e32 v3, v3, v5
	;; [unrolled: 1-line block ×3, first 2 shown]
	ds_write_b32 v8, v2
.LBB6_16:                               ;   in Loop: Header=BB6_8 Depth=1
	s_or_b64 exec, exec, s[8:9]
	s_waitcnt lgkmcnt(0)
	s_barrier
	s_and_saveexec_b64 s[8:9], s[4:5]
	s_cbranch_execz .LBB6_18
; %bb.17:                               ;   in Loop: Header=BB6_8 Depth=1
	ds_read2_b32 v[2:3], v8 offset1:4
	ds_read2_b32 v[4:5], v8 offset0:8 offset1:12
	s_waitcnt lgkmcnt(0)
	v_add_f32_e32 v3, v3, v4
	v_add_f32_e32 v3, v3, v5
	;; [unrolled: 1-line block ×3, first 2 shown]
	ds_write_b32 v8, v2
.LBB6_18:                               ;   in Loop: Header=BB6_8 Depth=1
	s_or_b64 exec, exec, s[8:9]
	s_waitcnt lgkmcnt(0)
	s_barrier
	s_and_saveexec_b64 s[8:9], s[6:7]
	s_cbranch_execz .LBB6_20
; %bb.19:                               ;   in Loop: Header=BB6_8 Depth=1
	ds_read2_b32 v[2:3], v9 offset0:1 offset1:2
	ds_read_b32 v4, v9 offset:12
	ds_read_b32 v5, v8
	s_waitcnt lgkmcnt(2)
	v_add_f32_e32 v2, v2, v3
	s_waitcnt lgkmcnt(1)
	v_add_f32_e32 v2, v2, v4
	;; [unrolled: 2-line block ×3, first 2 shown]
	ds_write_b32 v8, v2
.LBB6_20:                               ;   in Loop: Header=BB6_8 Depth=1
	s_or_b64 exec, exec, s[8:9]
	s_waitcnt lgkmcnt(0)
	s_barrier
	s_and_saveexec_b64 s[8:9], s[6:7]
	s_cbranch_execz .LBB6_7
; %bb.21:                               ;   in Loop: Header=BB6_8 Depth=1
	s_mov_b64 s[34:35], exec
	v_mbcnt_lo_u32_b32 v2, s34, 0
	v_mbcnt_hi_u32_b32 v2, s35, v2
	v_cmp_eq_u32_e32 vcc, 0, v2
	s_and_b64 s[30:31], exec, vcc
	s_mov_b64 exec, s[30:31]
	s_cbranch_execz .LBB6_7
; %bb.22:                               ;   in Loop: Header=BB6_8 Depth=1
	s_lshl_b64 s[30:31], s[28:29], 2
	s_add_u32 s30, s26, s30
	s_addc_u32 s31, s27, s31
	global_load_dword v3, v9, s[30:31]
	ds_read_b32 v2, v9
	s_bcnt1_i32_b64 s25, s[34:35]
	v_cvt_f32_ubyte0_e32 v4, s25
	s_mov_b64 s[34:35], 0
	s_waitcnt lgkmcnt(0)
	v_mul_f32_e32 v2, s24, v2
	v_mul_f32_e32 v4, v2, v4
.LBB6_23:                               ;   Parent Loop BB6_8 Depth=1
                                        ; =>  This Inner Loop Header: Depth=2
	s_waitcnt vmcnt(0)
	v_add_f32_e32 v2, v3, v4
	global_atomic_cmpswap v2, v9, v[2:3], s[30:31] glc
	s_waitcnt vmcnt(0)
	v_cmp_eq_u32_e32 vcc, v2, v3
	s_or_b64 s[34:35], vcc, s[34:35]
	v_mov_b32_e32 v3, v2
	s_andn2_b64 exec, exec, s[34:35]
	s_cbranch_execnz .LBB6_23
	s_branch .LBB6_7
.LBB6_24:
	s_lshl_b64 s[0:1], s[20:21], 3
	s_add_u32 s0, s12, s0
	s_addc_u32 s1, s13, s1
	s_lshl_b64 s[2:3], s[22:23], 3
	s_add_u32 s2, s12, s2
	s_addc_u32 s3, s13, s3
	s_load_dwordx2 s[6:7], s[0:1], 0x0
	s_load_dwordx2 s[4:5], s[2:3], 0x0
	s_waitcnt lgkmcnt(0)
	v_mov_b32_e32 v1, s7
	s_sub_u32 s4, s4, s10
	v_add_co_u32_e32 v0, vcc, s6, v10
	s_subb_u32 s5, s5, 0
	v_addc_co_u32_e32 v1, vcc, v1, v11, vcc
	v_cmp_gt_i64_e32 vcc, s[4:5], v[0:1]
	s_and_saveexec_b64 s[0:1], vcc
	s_cbranch_execz .LBB6_34
; %bb.25:
	s_add_u32 s6, s22, -1
	s_addc_u32 s7, s23, -1
	v_mov_b32_e32 v2, s6
	s_add_u32 s0, s22, -2
	v_mov_b32_e32 v3, s7
	s_addc_u32 s1, s23, -1
	v_cmp_lt_i64_e32 vcc, s[20:21], v[2:3]
	s_cmp_lg_u64 s[20:21], s[0:1]
	s_cselect_b64 s[0:1], -1, 0
	s_and_b64 s[0:1], vcc, s[0:1]
	v_cndmask_b32_e64 v2, 0, 1, s[0:1]
	s_mov_b64 s[8:9], 0
	v_cmp_ne_u32_e64 s[0:1], 1, v2
	v_mov_b32_e32 v10, s13
	v_mov_b32_e32 v11, s15
	s_branch .LBB6_27
.LBB6_26:                               ;   in Loop: Header=BB6_27 Depth=1
	s_or_b64 exec, exec, s[2:3]
	v_add_co_u32_e32 v0, vcc, 0x100, v0
	v_addc_co_u32_e32 v1, vcc, 0, v1, vcc
	v_cmp_le_i64_e32 vcc, s[4:5], v[0:1]
	s_or_b64 s[8:9], vcc, s[8:9]
	s_andn2_b64 exec, exec, s[8:9]
	s_cbranch_execz .LBB6_34
.LBB6_27:                               ; =>This Loop Header: Depth=1
                                        ;     Child Loop BB6_29 Depth 2
                                        ;     Child Loop BB6_33 Depth 2
	v_mov_b32_e32 v2, s20
	v_mov_b32_e32 v4, s6
	s_and_b64 vcc, exec, s[0:1]
	v_mov_b32_e32 v3, s21
	v_mov_b32_e32 v5, s7
	s_cbranch_vccnz .LBB6_31
; %bb.28:                               ;   in Loop: Header=BB6_27 Depth=1
	v_mov_b32_e32 v2, s20
	v_mov_b32_e32 v4, s6
	s_mov_b64 s[22:23], 0
	v_mov_b32_e32 v3, s21
	v_mov_b32_e32 v5, s7
.LBB6_29:                               ;   Parent Loop BB6_27 Depth=1
                                        ; =>  This Inner Loop Header: Depth=2
	v_add_co_u32_e32 v6, vcc, v4, v2
	v_addc_co_u32_e32 v7, vcc, v5, v3, vcc
	v_lshrrev_b32_e32 v8, 31, v7
	v_add_co_u32_e32 v6, vcc, v6, v8
	v_addc_co_u32_e32 v7, vcc, 0, v7, vcc
	v_ashrrev_i64 v[6:7], 1, v[6:7]
	v_mov_b32_e32 v12, s13
	v_lshlrev_b64 v[8:9], 3, v[6:7]
	v_add_co_u32_e32 v8, vcc, s12, v8
	v_addc_co_u32_e32 v9, vcc, v12, v9, vcc
	global_load_dwordx2 v[8:9], v[8:9], off
	s_waitcnt vmcnt(0)
	v_subrev_co_u32_e32 v8, vcc, s10, v8
	v_subbrev_co_u32_e32 v9, vcc, 0, v9, vcc
	v_cmp_lt_i64_e32 vcc, v[0:1], v[8:9]
	v_cndmask_b32_e32 v4, v4, v6, vcc
	v_cndmask_b32_e32 v5, v5, v7, vcc
	;; [unrolled: 1-line block ×3, first 2 shown]
	v_add_co_u32_e64 v6, s[2:3], -1, v4
	v_cndmask_b32_e32 v3, v7, v3, vcc
	v_addc_co_u32_e64 v7, s[2:3], -1, v5, s[2:3]
	v_cmp_ge_i64_e32 vcc, v[2:3], v[4:5]
	v_cmp_eq_u64_e64 s[2:3], v[2:3], v[6:7]
	s_or_b64 s[2:3], vcc, s[2:3]
	s_and_b64 s[2:3], exec, s[2:3]
	s_or_b64 s[22:23], s[2:3], s[22:23]
	s_andn2_b64 exec, exec, s[22:23]
	s_cbranch_execnz .LBB6_29
; %bb.30:                               ;   in Loop: Header=BB6_27 Depth=1
	s_or_b64 exec, exec, s[22:23]
.LBB6_31:                               ;   in Loop: Header=BB6_27 Depth=1
	v_lshlrev_b64 v[6:7], 3, v[4:5]
	v_add_co_u32_e32 v6, vcc, s12, v6
	v_addc_co_u32_e32 v7, vcc, v10, v7, vcc
	global_load_dwordx2 v[8:9], v[6:7], off
	v_lshlrev_b64 v[6:7], 2, v[0:1]
	v_add_co_u32_e32 v12, vcc, s14, v6
	v_addc_co_u32_e32 v13, vcc, v11, v7, vcc
	global_load_dword v14, v[12:13], off
	s_waitcnt vmcnt(1)
	v_subrev_co_u32_e32 v12, vcc, s10, v8
	v_subbrev_co_u32_e32 v13, vcc, 0, v9, vcc
	v_cmp_lt_i64_e32 vcc, v[0:1], v[12:13]
	v_cndmask_b32_e32 v3, v5, v3, vcc
	s_waitcnt vmcnt(0)
	v_subrev_u32_e32 v8, s10, v14
	v_cndmask_b32_e32 v2, v4, v2, vcc
	v_ashrrev_i32_e32 v9, 31, v8
	v_cmp_ne_u64_e32 vcc, v[2:3], v[8:9]
	s_and_saveexec_b64 s[2:3], vcc
	s_cbranch_execz .LBB6_26
; %bb.32:                               ;   in Loop: Header=BB6_27 Depth=1
	v_lshlrev_b64 v[4:5], 2, v[8:9]
	v_mov_b32_e32 v9, s17
	v_add_co_u32_e32 v6, vcc, s16, v6
	v_lshlrev_b64 v[2:3], 2, v[2:3]
	v_addc_co_u32_e32 v7, vcc, v9, v7, vcc
	global_load_dword v6, v[6:7], off
	v_mov_b32_e32 v7, s19
	v_add_co_u32_e32 v2, vcc, s18, v2
	v_addc_co_u32_e32 v3, vcc, v7, v3, vcc
	v_mov_b32_e32 v8, s27
	global_load_dword v7, v[2:3], off
	v_add_co_u32_e32 v2, vcc, s26, v4
	v_addc_co_u32_e32 v3, vcc, v8, v5, vcc
	global_load_dword v5, v[2:3], off
	s_mov_b64 s[22:23], 0
	s_waitcnt vmcnt(2)
	v_mul_f32_e32 v4, s24, v6
	s_waitcnt vmcnt(1)
	v_mul_f32_e32 v6, v4, v7
.LBB6_33:                               ;   Parent Loop BB6_27 Depth=1
                                        ; =>  This Inner Loop Header: Depth=2
	s_waitcnt vmcnt(0)
	v_add_f32_e32 v4, v5, v6
	global_atomic_cmpswap v4, v[2:3], v[4:5], off glc
	s_waitcnt vmcnt(0)
	v_cmp_eq_u32_e32 vcc, v4, v5
	s_or_b64 s[22:23], vcc, s[22:23]
	v_mov_b32_e32 v5, v4
	s_andn2_b64 exec, exec, s[22:23]
	s_cbranch_execnz .LBB6_33
	s_branch .LBB6_26
.LBB6_34:
	s_endpgm
	.section	.rodata,"a",@progbits
	.p2align	6, 0x0
	.amdhsa_kernel _ZL33csrmvn_symm_large_adaptive_kernelIliffffEvbT_PKS0_N9rocsparse24const_host_device_scalarIT4_EES2_PKT0_PKT1_PKT2_S6_PT3_21rocsparse_index_base_b
		.amdhsa_group_segment_fixed_size 4096
		.amdhsa_private_segment_fixed_size 0
		.amdhsa_kernarg_size 88
		.amdhsa_user_sgpr_count 6
		.amdhsa_user_sgpr_private_segment_buffer 1
		.amdhsa_user_sgpr_dispatch_ptr 0
		.amdhsa_user_sgpr_queue_ptr 0
		.amdhsa_user_sgpr_kernarg_segment_ptr 1
		.amdhsa_user_sgpr_dispatch_id 0
		.amdhsa_user_sgpr_flat_scratch_init 0
		.amdhsa_user_sgpr_private_segment_size 0
		.amdhsa_uses_dynamic_stack 0
		.amdhsa_system_sgpr_private_segment_wavefront_offset 0
		.amdhsa_system_sgpr_workgroup_id_x 1
		.amdhsa_system_sgpr_workgroup_id_y 0
		.amdhsa_system_sgpr_workgroup_id_z 0
		.amdhsa_system_sgpr_workgroup_info 0
		.amdhsa_system_vgpr_workitem_id 0
		.amdhsa_next_free_vgpr 17
		.amdhsa_next_free_sgpr 40
		.amdhsa_reserve_vcc 1
		.amdhsa_reserve_flat_scratch 0
		.amdhsa_float_round_mode_32 0
		.amdhsa_float_round_mode_16_64 0
		.amdhsa_float_denorm_mode_32 3
		.amdhsa_float_denorm_mode_16_64 3
		.amdhsa_dx10_clamp 1
		.amdhsa_ieee_mode 1
		.amdhsa_fp16_overflow 0
		.amdhsa_exception_fp_ieee_invalid_op 0
		.amdhsa_exception_fp_denorm_src 0
		.amdhsa_exception_fp_ieee_div_zero 0
		.amdhsa_exception_fp_ieee_overflow 0
		.amdhsa_exception_fp_ieee_underflow 0
		.amdhsa_exception_fp_ieee_inexact 0
		.amdhsa_exception_int_div_zero 0
	.end_amdhsa_kernel
	.section	.text._ZL33csrmvn_symm_large_adaptive_kernelIliffffEvbT_PKS0_N9rocsparse24const_host_device_scalarIT4_EES2_PKT0_PKT1_PKT2_S6_PT3_21rocsparse_index_base_b,"axG",@progbits,_ZL33csrmvn_symm_large_adaptive_kernelIliffffEvbT_PKS0_N9rocsparse24const_host_device_scalarIT4_EES2_PKT0_PKT1_PKT2_S6_PT3_21rocsparse_index_base_b,comdat
.Lfunc_end6:
	.size	_ZL33csrmvn_symm_large_adaptive_kernelIliffffEvbT_PKS0_N9rocsparse24const_host_device_scalarIT4_EES2_PKT0_PKT1_PKT2_S6_PT3_21rocsparse_index_base_b, .Lfunc_end6-_ZL33csrmvn_symm_large_adaptive_kernelIliffffEvbT_PKS0_N9rocsparse24const_host_device_scalarIT4_EES2_PKT0_PKT1_PKT2_S6_PT3_21rocsparse_index_base_b
                                        ; -- End function
	.set _ZL33csrmvn_symm_large_adaptive_kernelIliffffEvbT_PKS0_N9rocsparse24const_host_device_scalarIT4_EES2_PKT0_PKT1_PKT2_S6_PT3_21rocsparse_index_base_b.num_vgpr, 17
	.set _ZL33csrmvn_symm_large_adaptive_kernelIliffffEvbT_PKS0_N9rocsparse24const_host_device_scalarIT4_EES2_PKT0_PKT1_PKT2_S6_PT3_21rocsparse_index_base_b.num_agpr, 0
	.set _ZL33csrmvn_symm_large_adaptive_kernelIliffffEvbT_PKS0_N9rocsparse24const_host_device_scalarIT4_EES2_PKT0_PKT1_PKT2_S6_PT3_21rocsparse_index_base_b.numbered_sgpr, 40
	.set _ZL33csrmvn_symm_large_adaptive_kernelIliffffEvbT_PKS0_N9rocsparse24const_host_device_scalarIT4_EES2_PKT0_PKT1_PKT2_S6_PT3_21rocsparse_index_base_b.num_named_barrier, 0
	.set _ZL33csrmvn_symm_large_adaptive_kernelIliffffEvbT_PKS0_N9rocsparse24const_host_device_scalarIT4_EES2_PKT0_PKT1_PKT2_S6_PT3_21rocsparse_index_base_b.private_seg_size, 0
	.set _ZL33csrmvn_symm_large_adaptive_kernelIliffffEvbT_PKS0_N9rocsparse24const_host_device_scalarIT4_EES2_PKT0_PKT1_PKT2_S6_PT3_21rocsparse_index_base_b.uses_vcc, 1
	.set _ZL33csrmvn_symm_large_adaptive_kernelIliffffEvbT_PKS0_N9rocsparse24const_host_device_scalarIT4_EES2_PKT0_PKT1_PKT2_S6_PT3_21rocsparse_index_base_b.uses_flat_scratch, 0
	.set _ZL33csrmvn_symm_large_adaptive_kernelIliffffEvbT_PKS0_N9rocsparse24const_host_device_scalarIT4_EES2_PKT0_PKT1_PKT2_S6_PT3_21rocsparse_index_base_b.has_dyn_sized_stack, 0
	.set _ZL33csrmvn_symm_large_adaptive_kernelIliffffEvbT_PKS0_N9rocsparse24const_host_device_scalarIT4_EES2_PKT0_PKT1_PKT2_S6_PT3_21rocsparse_index_base_b.has_recursion, 0
	.set _ZL33csrmvn_symm_large_adaptive_kernelIliffffEvbT_PKS0_N9rocsparse24const_host_device_scalarIT4_EES2_PKT0_PKT1_PKT2_S6_PT3_21rocsparse_index_base_b.has_indirect_call, 0
	.section	.AMDGPU.csdata,"",@progbits
; Kernel info:
; codeLenInByte = 1584
; TotalNumSgprs: 44
; NumVgprs: 17
; ScratchSize: 0
; MemoryBound: 0
; FloatMode: 240
; IeeeMode: 1
; LDSByteSize: 4096 bytes/workgroup (compile time only)
; SGPRBlocks: 5
; VGPRBlocks: 4
; NumSGPRsForWavesPerEU: 44
; NumVGPRsForWavesPerEU: 17
; Occupancy: 10
; WaveLimiterHint : 1
; COMPUTE_PGM_RSRC2:SCRATCH_EN: 0
; COMPUTE_PGM_RSRC2:USER_SGPR: 6
; COMPUTE_PGM_RSRC2:TRAP_HANDLER: 0
; COMPUTE_PGM_RSRC2:TGID_X_EN: 1
; COMPUTE_PGM_RSRC2:TGID_Y_EN: 0
; COMPUTE_PGM_RSRC2:TGID_Z_EN: 0
; COMPUTE_PGM_RSRC2:TIDIG_COMP_CNT: 0
	.section	.text._ZN9rocsparseL22csrmvn_adaptive_kernelIllffffEEvbT_PKS1_PjPKT0_NS_24const_host_device_scalarIT4_EES3_S7_PKT1_PKT2_SA_PT3_21rocsparse_index_base_b,"axG",@progbits,_ZN9rocsparseL22csrmvn_adaptive_kernelIllffffEEvbT_PKS1_PjPKT0_NS_24const_host_device_scalarIT4_EES3_S7_PKT1_PKT2_SA_PT3_21rocsparse_index_base_b,comdat
	.globl	_ZN9rocsparseL22csrmvn_adaptive_kernelIllffffEEvbT_PKS1_PjPKT0_NS_24const_host_device_scalarIT4_EES3_S7_PKT1_PKT2_SA_PT3_21rocsparse_index_base_b ; -- Begin function _ZN9rocsparseL22csrmvn_adaptive_kernelIllffffEEvbT_PKS1_PjPKT0_NS_24const_host_device_scalarIT4_EES3_S7_PKT1_PKT2_SA_PT3_21rocsparse_index_base_b
	.p2align	8
	.type	_ZN9rocsparseL22csrmvn_adaptive_kernelIllffffEEvbT_PKS1_PjPKT0_NS_24const_host_device_scalarIT4_EES3_S7_PKT1_PKT2_SA_PT3_21rocsparse_index_base_b,@function
_ZN9rocsparseL22csrmvn_adaptive_kernelIllffffEEvbT_PKS1_PjPKT0_NS_24const_host_device_scalarIT4_EES3_S7_PKT1_PKT2_SA_PT3_21rocsparse_index_base_b: ; @_ZN9rocsparseL22csrmvn_adaptive_kernelIllffffEEvbT_PKS1_PjPKT0_NS_24const_host_device_scalarIT4_EES3_S7_PKT1_PKT2_SA_PT3_21rocsparse_index_base_b
; %bb.0:
	s_load_dwordx2 s[50:51], s[4:5], 0x60
	s_load_dwordx2 s[48:49], s[4:5], 0x28
	s_load_dwordx2 s[34:35], s[4:5], 0x50
	s_waitcnt lgkmcnt(0)
	s_bitcmp1_b32 s51, 0
	s_cselect_b64 s[2:3], -1, 0
	s_xor_b64 s[0:1], s[2:3], -1
	s_and_b64 vcc, exec, s[2:3]
	s_cbranch_vccnz .LBB7_2
; %bb.1:
	s_load_dword s48, s[48:49], 0x0
.LBB7_2:
	s_andn2_b64 vcc, exec, s[0:1]
	s_cbranch_vccnz .LBB7_4
; %bb.3:
	s_load_dword s34, s[34:35], 0x0
.LBB7_4:
	s_waitcnt lgkmcnt(0)
	v_cmp_neq_f32_e64 s[0:1], s48, 0
	v_cmp_neq_f32_e64 s[2:3], s34, 1.0
	s_or_b64 s[0:1], s[0:1], s[2:3]
	s_andn2_b64 vcc, exec, s[0:1]
	s_cbranch_vccnz .LBB7_115
; %bb.5:
	s_load_dwordx2 s[0:1], s[4:5], 0x10
	s_load_dwordx2 s[2:3], s[4:5], 0x20
	s_ashr_i32 s7, s6, 31
	s_lshl_b64 s[8:9], s[6:7], 3
	s_waitcnt lgkmcnt(0)
	s_add_u32 s0, s0, s8
	s_addc_u32 s1, s1, s9
	s_load_dwordx4 s[36:39], s[0:1], 0x0
	s_load_dwordx2 s[40:41], s[4:5], 0x58
	s_load_dwordx8 s[24:31], s[4:5], 0x30
	s_waitcnt lgkmcnt(0)
	s_sub_u32 s0, s38, s36
	s_subb_u32 s1, s39, s37
	s_add_u32 s2, s2, s8
	s_addc_u32 s3, s3, s9
	s_lshl_b64 s[8:9], s[36:37], 3
	s_add_u32 s46, s24, s8
	s_addc_u32 s47, s25, s9
	s_load_dwordx2 s[42:43], s[2:3], 0x0
	s_load_dwordx2 s[44:45], s[46:47], 0x0
	v_cmp_lt_i64_e64 s[8:9], s[0:1], 2
	s_mov_b64 s[2:3], -1
	s_and_b64 vcc, exec, s[8:9]
	s_cbranch_vccz .LBB7_71
; %bb.6:
	s_cmp_lg_u64 s[0:1], 1
	s_cselect_b64 s[0:1], -1, 0
	s_waitcnt lgkmcnt(0)
	s_cmp_lg_u64 s[42:43], 0
	s_cselect_b64 s[2:3], -1, 0
	s_or_b64 s[0:1], s[0:1], s[2:3]
	s_mov_b64 s[18:19], -1
	s_and_b64 vcc, exec, s[0:1]
	v_cmp_gt_u32_e64 s[0:1], 64, v0
	v_cmp_gt_u32_e64 s[2:3], 32, v0
	;; [unrolled: 1-line block ×6, first 2 shown]
	v_cmp_eq_u32_e64 s[16:17], 0, v0
	s_cbranch_vccnz .LBB7_34
; %bb.7:
	v_subrev_co_u32_e32 v10, vcc, s50, v0
	v_cmp_neq_f32_e64 s[20:21], s34, 0
	v_subb_co_u32_e64 v11, s[18:19], 0, 0, vcc
	v_cndmask_b32_e64 v1, 0, 1, s[20:21]
	s_movk_i32 s18, 0x80
	v_cmp_ne_u32_e64 s[20:21], 1, v1
	v_mov_b32_e32 v1, s38
	v_mov_b32_e32 v9, 0
	v_lshlrev_b32_e32 v12, 2, v0
	v_cmp_gt_u32_e64 s[18:19], s18, v0
	v_mov_b32_e32 v2, s39
	s_movk_i32 s33, 0x100
	s_mov_b64 s[52:53], s[36:37]
	s_branch .LBB7_10
.LBB7_8:                                ;   in Loop: Header=BB7_10 Depth=1
	s_lshl_b64 s[54:55], s[52:53], 2
	s_add_u32 s54, s40, s54
	s_addc_u32 s55, s41, s55
	s_waitcnt lgkmcnt(0)
	global_store_dword v9, v3, s[54:55]
.LBB7_9:                                ;   in Loop: Header=BB7_10 Depth=1
	s_or_b64 exec, exec, s[22:23]
	s_add_u32 s52, s52, 1
	s_addc_u32 s53, s53, 0
	v_cmp_ge_i64_e32 vcc, s[52:53], v[1:2]
	s_cbranch_vccnz .LBB7_33
.LBB7_10:                               ; =>This Loop Header: Depth=1
                                        ;     Child Loop BB7_12 Depth 2
	s_lshl_b64 s[22:23], s[52:53], 3
	s_add_u32 s22, s24, s22
	s_addc_u32 s23, s25, s23
	s_load_dwordx4 s[56:59], s[22:23], 0x0
	v_mov_b32_e32 v13, 0
	s_waitcnt lgkmcnt(0)
	s_sub_u32 s54, s58, s50
	v_mov_b32_e32 v4, s57
	v_add_co_u32_e32 v3, vcc, s56, v10
	s_subb_u32 s55, s59, 0
	v_addc_co_u32_e32 v4, vcc, v4, v11, vcc
	v_cmp_gt_i64_e32 vcc, s[54:55], v[3:4]
	s_and_saveexec_b64 s[56:57], vcc
	s_cbranch_execz .LBB7_14
; %bb.11:                               ;   in Loop: Header=BB7_10 Depth=1
	v_lshlrev_b64 v[5:6], 2, v[3:4]
	v_mov_b32_e32 v7, s29
	v_add_co_u32_e32 v5, vcc, s28, v5
	v_addc_co_u32_e32 v6, vcc, v7, v6, vcc
	v_lshlrev_b64 v[7:8], 3, v[3:4]
	v_mov_b32_e32 v13, s27
	v_add_co_u32_e32 v7, vcc, s26, v7
	v_addc_co_u32_e32 v8, vcc, v13, v8, vcc
	v_mov_b32_e32 v13, 0
	s_mov_b64 s[58:59], 0
.LBB7_12:                               ;   Parent Loop BB7_10 Depth=1
                                        ; =>  This Inner Loop Header: Depth=2
	global_load_dwordx2 v[14:15], v[7:8], off
	global_load_dword v16, v[5:6], off
	v_mov_b32_e32 v17, s31
	s_waitcnt vmcnt(1)
	v_subrev_co_u32_e32 v14, vcc, s50, v14
	v_subbrev_co_u32_e32 v15, vcc, 0, v15, vcc
	v_lshlrev_b64 v[14:15], 2, v[14:15]
	v_add_co_u32_e32 v14, vcc, s30, v14
	v_addc_co_u32_e32 v15, vcc, v17, v15, vcc
	global_load_dword v14, v[14:15], off
	v_add_co_u32_e32 v3, vcc, s33, v3
	v_addc_co_u32_e32 v4, vcc, 0, v4, vcc
	v_add_co_u32_e32 v5, vcc, 0x400, v5
	v_addc_co_u32_e32 v6, vcc, 0, v6, vcc
	v_cmp_le_i64_e64 s[22:23], s[54:55], v[3:4]
	v_add_co_u32_e32 v7, vcc, 0x800, v7
	s_waitcnt vmcnt(1)
	v_mul_f32_e32 v15, s48, v16
	v_addc_co_u32_e32 v8, vcc, 0, v8, vcc
	s_or_b64 s[58:59], s[22:23], s[58:59]
	s_waitcnt vmcnt(0)
	v_fmac_f32_e32 v13, v15, v14
	s_andn2_b64 exec, exec, s[58:59]
	s_cbranch_execnz .LBB7_12
; %bb.13:                               ;   in Loop: Header=BB7_10 Depth=1
	s_or_b64 exec, exec, s[58:59]
.LBB7_14:                               ;   in Loop: Header=BB7_10 Depth=1
	s_or_b64 exec, exec, s[56:57]
	ds_write_b32 v12, v13
	s_waitcnt vmcnt(0) lgkmcnt(0)
	s_barrier
	s_and_saveexec_b64 s[22:23], s[18:19]
	s_cbranch_execz .LBB7_16
; %bb.15:                               ;   in Loop: Header=BB7_10 Depth=1
	ds_read2st64_b32 v[3:4], v12 offset1:2
	s_waitcnt lgkmcnt(0)
	v_add_f32_e32 v3, v3, v4
	ds_write_b32 v12, v3
.LBB7_16:                               ;   in Loop: Header=BB7_10 Depth=1
	s_or_b64 exec, exec, s[22:23]
	s_waitcnt lgkmcnt(0)
	s_barrier
	s_and_saveexec_b64 s[22:23], s[0:1]
	s_cbranch_execz .LBB7_18
; %bb.17:                               ;   in Loop: Header=BB7_10 Depth=1
	ds_read2st64_b32 v[3:4], v12 offset1:1
	s_waitcnt lgkmcnt(0)
	v_add_f32_e32 v3, v3, v4
	ds_write_b32 v12, v3
.LBB7_18:                               ;   in Loop: Header=BB7_10 Depth=1
	s_or_b64 exec, exec, s[22:23]
	s_waitcnt lgkmcnt(0)
	s_barrier
	s_and_saveexec_b64 s[22:23], s[2:3]
	s_cbranch_execz .LBB7_20
; %bb.19:                               ;   in Loop: Header=BB7_10 Depth=1
	ds_read2_b32 v[3:4], v12 offset1:32
	s_waitcnt lgkmcnt(0)
	v_add_f32_e32 v3, v3, v4
	ds_write_b32 v12, v3
.LBB7_20:                               ;   in Loop: Header=BB7_10 Depth=1
	s_or_b64 exec, exec, s[22:23]
	s_waitcnt lgkmcnt(0)
	s_barrier
	s_and_saveexec_b64 s[22:23], s[8:9]
	s_cbranch_execz .LBB7_22
; %bb.21:                               ;   in Loop: Header=BB7_10 Depth=1
	ds_read2_b32 v[3:4], v12 offset1:16
	s_waitcnt lgkmcnt(0)
	v_add_f32_e32 v3, v3, v4
	ds_write_b32 v12, v3
.LBB7_22:                               ;   in Loop: Header=BB7_10 Depth=1
	;; [unrolled: 11-line block ×5, first 2 shown]
	s_or_b64 exec, exec, s[22:23]
	s_waitcnt lgkmcnt(0)
	s_barrier
	s_and_saveexec_b64 s[22:23], s[16:17]
	s_cbranch_execz .LBB7_30
; %bb.29:                               ;   in Loop: Header=BB7_10 Depth=1
	ds_read_b64 v[3:4], v9
	s_waitcnt lgkmcnt(0)
	v_add_f32_e32 v3, v3, v4
	ds_write_b32 v9, v3
.LBB7_30:                               ;   in Loop: Header=BB7_10 Depth=1
	s_or_b64 exec, exec, s[22:23]
	s_waitcnt lgkmcnt(0)
	s_barrier
	s_and_saveexec_b64 s[22:23], s[16:17]
	s_cbranch_execz .LBB7_9
; %bb.31:                               ;   in Loop: Header=BB7_10 Depth=1
	ds_read_b32 v3, v9
	s_and_b64 vcc, exec, s[20:21]
	s_cbranch_vccnz .LBB7_8
; %bb.32:                               ;   in Loop: Header=BB7_10 Depth=1
	s_lshl_b64 s[54:55], s[52:53], 2
	s_add_u32 s54, s40, s54
	s_addc_u32 s55, s41, s55
	global_load_dword v4, v9, s[54:55]
	s_waitcnt vmcnt(0) lgkmcnt(0)
	v_fmac_f32_e32 v3, s34, v4
	s_branch .LBB7_8
.LBB7_33:
	s_mov_b64 s[18:19], 0
.LBB7_34:
	s_and_b64 vcc, exec, s[18:19]
	s_cbranch_vccz .LBB7_70
; %bb.35:
	s_load_dwordx2 s[8:9], s[4:5], 0x18
	s_sub_u32 s10, s6, s42
	s_subb_u32 s11, s7, s43
	s_lshl_b64 s[0:1], s[6:7], 2
	v_mov_b32_e32 v8, 0
	s_waitcnt lgkmcnt(0)
	s_add_u32 s6, s8, s0
	s_addc_u32 s7, s9, s1
	global_load_dword v7, v8, s[6:7]
	s_cmp_lg_u64 s[42:43], 0
	s_cselect_b64 s[12:13], -1, 0
	s_cmp_eq_u64 s[42:43], 0
	s_cselect_b64 s[2:3], -1, 0
	v_cmp_eq_u32_e64 s[0:1], 0, v0
	s_and_b64 s[14:15], s[0:1], s[2:3]
	s_and_saveexec_b64 s[2:3], s[14:15]
	s_cbranch_execz .LBB7_39
; %bb.36:
	s_lshl_b64 s[16:17], s[36:37], 2
	s_add_u32 s16, s40, s16
	s_addc_u32 s17, s41, s17
	v_mov_b32_e32 v3, 0
	global_load_dword v1, v3, s[16:17]
	s_mov_b64 s[14:15], exec
	v_mbcnt_lo_u32_b32 v4, s14, 0
	v_mbcnt_hi_u32_b32 v4, s15, v4
	v_add_f32_e64 v2, s34, -1.0
	v_cmp_eq_u32_e32 vcc, 0, v4
	s_waitcnt vmcnt(0) expcnt(0) lgkmcnt(0)
	s_and_saveexec_b64 s[16:17], vcc
	s_cbranch_execz .LBB7_38
; %bb.37:
	s_lshl_b64 s[18:19], s[10:11], 2
	s_add_u32 s18, s8, s18
	s_addc_u32 s19, s9, s19
	s_bcnt1_i32_b64 s14, s[14:15]
	s_and_b32 s14, s14, 1
	v_mov_b32_e32 v4, s14
	global_atomic_xor v3, v4, s[18:19]
.LBB7_38:
	s_or_b64 exec, exec, s[16:17]
	v_mul_f32_e32 v8, v2, v1
.LBB7_39:
	s_or_b64 exec, exec, s[2:3]
	s_mul_i32 s2, s43, 0xc00
	s_mul_hi_u32 s3, s42, 0xc00
	s_add_i32 s14, s3, s2
	s_load_dwordx2 s[2:3], s[46:47], 0x8
	s_sub_u32 s16, s44, s50
	s_mul_i32 s15, s42, 0xc00
	s_subb_u32 s17, s45, 0
	s_add_u32 s16, s16, s15
	s_addc_u32 s17, s17, s14
	s_waitcnt lgkmcnt(0)
	s_sub_u32 s2, s2, s50
	v_mov_b32_e32 v2, s17
	v_add_co_u32_e32 v1, vcc, s16, v0
	s_subb_u32 s3, s3, 0
	v_addc_co_u32_e32 v2, vcc, 0, v2, vcc
	v_cmp_gt_i64_e32 vcc, s[2:3], v[1:2]
	s_and_saveexec_b64 s[14:15], vcc
	s_cbranch_execz .LBB7_43
; %bb.40:
	s_add_u32 s16, s16, 0xc00
	v_mov_b32_e32 v4, s3
	s_addc_u32 s17, s17, 0
	v_mov_b32_e32 v3, s2
	v_cmp_lt_i64_e32 vcc, s[16:17], v[3:4]
	v_lshlrev_b64 v[3:4], 2, v[1:2]
	s_and_b64 s[18:19], vcc, exec
	v_mov_b32_e32 v5, s29
	v_add_co_u32_e32 v3, vcc, s28, v3
	v_addc_co_u32_e32 v4, vcc, v5, v4, vcc
	v_lshlrev_b64 v[5:6], 3, v[1:2]
	v_mov_b32_e32 v9, s27
	v_add_co_u32_e32 v5, vcc, s26, v5
	s_cselect_b32 s17, s17, s3
	s_cselect_b32 s16, s16, s2
	v_addc_co_u32_e32 v6, vcc, v9, v6, vcc
	s_mov_b64 s[18:19], 0
	v_mov_b32_e32 v9, s31
	s_movk_i32 s20, 0x100
.LBB7_41:                               ; =>This Inner Loop Header: Depth=1
	global_load_dwordx2 v[10:11], v[5:6], off
	global_load_dword v12, v[3:4], off
	s_waitcnt vmcnt(1)
	v_subrev_co_u32_e32 v10, vcc, s50, v10
	v_subbrev_co_u32_e32 v11, vcc, 0, v11, vcc
	v_lshlrev_b64 v[10:11], 2, v[10:11]
	v_add_co_u32_e32 v10, vcc, s30, v10
	v_addc_co_u32_e32 v11, vcc, v9, v11, vcc
	global_load_dword v10, v[10:11], off
	v_add_co_u32_e32 v1, vcc, s20, v1
	v_addc_co_u32_e32 v2, vcc, 0, v2, vcc
	v_add_co_u32_e32 v3, vcc, 0x400, v3
	v_addc_co_u32_e32 v4, vcc, 0, v4, vcc
	v_cmp_le_i64_e64 s[2:3], s[16:17], v[1:2]
	v_add_co_u32_e32 v5, vcc, 0x800, v5
	s_waitcnt vmcnt(1)
	v_mul_f32_e32 v11, s48, v12
	v_addc_co_u32_e32 v6, vcc, 0, v6, vcc
	s_or_b64 s[18:19], s[2:3], s[18:19]
	s_waitcnt vmcnt(0)
	v_fmac_f32_e32 v8, v11, v10
	s_andn2_b64 exec, exec, s[18:19]
	s_cbranch_execnz .LBB7_41
; %bb.42:
	s_or_b64 exec, exec, s[18:19]
.LBB7_43:
	s_or_b64 exec, exec, s[14:15]
	s_movk_i32 s2, 0x80
	v_lshlrev_b32_e32 v1, 2, v0
	v_cmp_gt_u32_e32 vcc, s2, v0
	ds_write_b32 v1, v8
	s_waitcnt vmcnt(0) lgkmcnt(0)
	s_barrier
	s_and_saveexec_b64 s[2:3], vcc
	s_cbranch_execz .LBB7_45
; %bb.44:
	ds_read2st64_b32 v[2:3], v1 offset1:2
	s_waitcnt lgkmcnt(0)
	v_add_f32_e32 v2, v2, v3
	ds_write_b32 v1, v2
.LBB7_45:
	s_or_b64 exec, exec, s[2:3]
	v_cmp_gt_u32_e32 vcc, 64, v0
	s_waitcnt lgkmcnt(0)
	s_barrier
	s_and_saveexec_b64 s[2:3], vcc
	s_cbranch_execz .LBB7_47
; %bb.46:
	ds_read2st64_b32 v[2:3], v1 offset1:1
	s_waitcnt lgkmcnt(0)
	v_add_f32_e32 v2, v2, v3
	ds_write_b32 v1, v2
.LBB7_47:
	s_or_b64 exec, exec, s[2:3]
	v_cmp_gt_u32_e32 vcc, 32, v0
	s_waitcnt lgkmcnt(0)
	s_barrier
	s_and_saveexec_b64 s[2:3], vcc
	s_cbranch_execz .LBB7_49
; %bb.48:
	ds_read2_b32 v[2:3], v1 offset1:32
	s_waitcnt lgkmcnt(0)
	v_add_f32_e32 v2, v2, v3
	ds_write_b32 v1, v2
.LBB7_49:
	s_or_b64 exec, exec, s[2:3]
	v_cmp_gt_u32_e32 vcc, 16, v0
	s_waitcnt lgkmcnt(0)
	s_barrier
	s_and_saveexec_b64 s[2:3], vcc
	s_cbranch_execz .LBB7_51
; %bb.50:
	ds_read2_b32 v[2:3], v1 offset1:16
	s_waitcnt lgkmcnt(0)
	v_add_f32_e32 v2, v2, v3
	ds_write_b32 v1, v2
.LBB7_51:
	;; [unrolled: 12-line block ×5, first 2 shown]
	s_or_b64 exec, exec, s[2:3]
	s_waitcnt lgkmcnt(0)
	s_barrier
	s_and_saveexec_b64 s[2:3], s[0:1]
	s_cbranch_execz .LBB7_59
; %bb.58:
	v_mov_b32_e32 v3, 0
	ds_read_b64 v[1:2], v3
	s_waitcnt lgkmcnt(0)
	v_add_f32_e32 v1, v1, v2
	ds_write_b32 v3, v1
.LBB7_59:
	s_or_b64 exec, exec, s[2:3]
	s_waitcnt lgkmcnt(0)
	s_barrier
	s_and_saveexec_b64 s[2:3], s[0:1]
	s_cbranch_execz .LBB7_69
; %bb.60:
	s_andn2_b64 vcc, exec, s[12:13]
	s_cbranch_vccnz .LBB7_66
; %bb.61:
	s_lshl_b64 s[0:1], s[10:11], 2
	s_add_u32 s0, s8, s0
	s_addc_u32 s1, s9, s1
	v_mov_b32_e32 v1, 0
	s_branch .LBB7_63
.LBB7_62:                               ;   in Loop: Header=BB7_63 Depth=1
	s_or_b64 exec, exec, s[8:9]
	s_waitcnt vmcnt(0)
	v_readfirstlane_b32 s8, v2
	v_cmp_eq_u32_e32 vcc, s8, v7
	s_cbranch_vccz .LBB7_65
.LBB7_63:                               ; =>This Inner Loop Header: Depth=1
	v_mbcnt_lo_u32_b32 v2, exec_lo, 0
	v_mbcnt_hi_u32_b32 v2, exec_hi, v2
	v_cmp_eq_u32_e32 vcc, 0, v2
                                        ; implicit-def: $vgpr2
	s_and_saveexec_b64 s[8:9], vcc
	s_cbranch_execz .LBB7_62
; %bb.64:                               ;   in Loop: Header=BB7_63 Depth=1
	global_load_dword v2, v1, s[0:1] glc
	s_branch .LBB7_62
.LBB7_65:
	v_mov_b32_e32 v1, 0
	global_load_ushort v2, v1, s[6:7]
	s_waitcnt vmcnt(0)
	v_xor_b32_e32 v2, 1, v2
	global_store_short v1, v2, s[6:7]
.LBB7_66:
	s_mov_b64 s[6:7], exec
	v_mbcnt_lo_u32_b32 v1, s6, 0
	v_mbcnt_hi_u32_b32 v1, s7, v1
	v_cmp_eq_u32_e32 vcc, 0, v1
	s_and_b64 s[0:1], exec, vcc
	s_mov_b64 exec, s[0:1]
	s_cbranch_execz .LBB7_69
; %bb.67:
	s_lshl_b64 s[0:1], s[36:37], 2
	s_add_u32 s0, s40, s0
	s_addc_u32 s1, s41, s1
	v_mov_b32_e32 v3, 0
	global_load_dword v2, v3, s[0:1]
	ds_read_b32 v1, v3
	s_bcnt1_i32_b64 s6, s[6:7]
	v_cvt_f32_ubyte0_e32 v4, s6
	s_mov_b64 s[6:7], 0
	s_waitcnt lgkmcnt(0)
	v_mul_f32_e32 v4, v1, v4
.LBB7_68:                               ; =>This Inner Loop Header: Depth=1
	s_waitcnt vmcnt(0)
	v_add_f32_e32 v1, v2, v4
	global_atomic_cmpswap v1, v3, v[1:2], s[0:1] glc
	s_waitcnt vmcnt(0)
	v_cmp_eq_u32_e32 vcc, v1, v2
	s_or_b64 s[6:7], vcc, s[6:7]
	v_mov_b32_e32 v2, v1
	s_andn2_b64 exec, exec, s[6:7]
	s_cbranch_execnz .LBB7_68
.LBB7_69:
	s_or_b64 exec, exec, s[2:3]
.LBB7_70:
	s_mov_b64 s[2:3], 0
.LBB7_71:
	s_andn2_b64 vcc, exec, s[2:3]
	s_cbranch_vccnz .LBB7_115
; %bb.72:
	s_load_dwordx2 s[0:1], s[4:5], 0x8
	v_subrev_co_u32_e32 v1, vcc, s50, v0
	v_subb_co_u32_e64 v2, s[2:3], 0, 0, vcc
	s_waitcnt lgkmcnt(0)
	v_mov_b32_e32 v3, s45
	v_add_co_u32_e32 v1, vcc, s44, v1
	v_addc_co_u32_e32 v2, vcc, v3, v2, vcc
	v_add_co_u32_e32 v3, vcc, 0x300, v1
	v_addc_co_u32_e32 v4, vcc, 0, v2, vcc
	v_cmp_le_i64_e32 vcc, s[0:1], v[3:4]
	s_and_saveexec_b64 s[0:1], vcc
	s_xor_b64 s[2:3], exec, s[0:1]
	s_cbranch_execz .LBB7_77
; %bb.73:
	s_lshl_b64 s[0:1], s[38:39], 3
	s_add_u32 s0, s24, s0
	s_addc_u32 s1, s25, s1
	s_load_dwordx2 s[0:1], s[0:1], 0x0
	s_waitcnt lgkmcnt(0)
	s_sub_u32 s4, s0, s50
	s_subb_u32 s5, s1, 0
	v_cmp_gt_i64_e32 vcc, s[4:5], v[1:2]
	s_and_saveexec_b64 s[6:7], vcc
	s_cbranch_execz .LBB7_76
; %bb.74:
	v_lshlrev_b64 v[3:4], 2, v[1:2]
	v_mov_b32_e32 v5, s29
	v_add_co_u32_e32 v3, vcc, s28, v3
	v_addc_co_u32_e32 v4, vcc, v5, v4, vcc
	v_lshlrev_b64 v[5:6], 3, v[1:2]
	v_mov_b32_e32 v8, s27
	v_add_co_u32_e32 v5, vcc, s26, v5
	v_lshlrev_b32_e32 v7, 2, v0
	v_addc_co_u32_e32 v6, vcc, v8, v6, vcc
	s_mov_b64 s[8:9], 0
	v_mov_b32_e32 v8, s31
	s_movk_i32 s10, 0x100
.LBB7_75:                               ; =>This Inner Loop Header: Depth=1
	global_load_dwordx2 v[9:10], v[5:6], off
	global_load_dword v11, v[3:4], off
	s_waitcnt vmcnt(1)
	v_subrev_co_u32_e32 v9, vcc, s50, v9
	v_subbrev_co_u32_e32 v10, vcc, 0, v10, vcc
	v_lshlrev_b64 v[9:10], 2, v[9:10]
	v_add_co_u32_e32 v9, vcc, s30, v9
	v_addc_co_u32_e32 v10, vcc, v8, v10, vcc
	global_load_dword v9, v[9:10], off
	v_add_co_u32_e32 v1, vcc, s10, v1
	v_addc_co_u32_e32 v2, vcc, 0, v2, vcc
	v_add_co_u32_e32 v3, vcc, 0x400, v3
	v_addc_co_u32_e32 v4, vcc, 0, v4, vcc
	v_cmp_le_i64_e64 s[0:1], s[4:5], v[1:2]
	s_waitcnt vmcnt(1)
	v_mul_f32_e32 v10, s48, v11
	v_add_co_u32_e32 v5, vcc, 0x800, v5
	v_addc_co_u32_e32 v6, vcc, 0, v6, vcc
	s_or_b64 s[8:9], s[0:1], s[8:9]
	s_waitcnt vmcnt(0)
	v_mul_f32_e32 v9, v10, v9
	ds_write_b32 v7, v9
	v_add_u32_e32 v7, 0x400, v7
	s_andn2_b64 exec, exec, s[8:9]
	s_cbranch_execnz .LBB7_75
.LBB7_76:
	s_or_b64 exec, exec, s[6:7]
                                        ; implicit-def: $vgpr1_vgpr2
.LBB7_77:
	s_or_saveexec_b64 s[0:1], s[2:3]
	v_lshlrev_b32_e32 v9, 2, v0
	s_xor_b64 exec, exec, s[0:1]
	s_cbranch_execz .LBB7_79
; %bb.78:
	v_lshlrev_b64 v[3:4], 3, v[1:2]
	v_mov_b32_e32 v5, s27
	v_add_co_u32_e32 v3, vcc, s26, v3
	v_addc_co_u32_e32 v4, vcc, v5, v4, vcc
	global_load_dwordx2 v[5:6], v[3:4], off
	global_load_dwordx2 v[7:8], v[3:4], off offset:2048
	s_movk_i32 s2, 0x1000
	v_add_co_u32_e32 v3, vcc, s2, v3
	v_addc_co_u32_e32 v4, vcc, 0, v4, vcc
	global_load_dwordx2 v[10:11], v[3:4], off
	global_load_dwordx2 v[12:13], v[3:4], off offset:2048
	v_lshlrev_b64 v[1:2], 2, v[1:2]
	v_mov_b32_e32 v3, s29
	v_add_co_u32_e32 v1, vcc, s28, v1
	v_addc_co_u32_e32 v2, vcc, v3, v2, vcc
	global_load_dword v18, v[1:2], off
	global_load_dword v19, v[1:2], off offset:1024
	global_load_dword v20, v[1:2], off offset:2048
	;; [unrolled: 1-line block ×3, first 2 shown]
	v_mov_b32_e32 v14, s31
	v_mov_b32_e32 v15, s31
	;; [unrolled: 1-line block ×4, first 2 shown]
	s_waitcnt vmcnt(7)
	v_subrev_co_u32_e32 v1, vcc, s50, v5
	v_subbrev_co_u32_e32 v2, vcc, 0, v6, vcc
	s_waitcnt vmcnt(6)
	v_subrev_co_u32_e32 v3, vcc, s50, v7
	v_subbrev_co_u32_e32 v4, vcc, 0, v8, vcc
	;; [unrolled: 3-line block ×3, first 2 shown]
	v_lshlrev_b64 v[1:2], 2, v[1:2]
	s_waitcnt vmcnt(4)
	v_subrev_co_u32_e32 v7, vcc, s50, v12
	v_subbrev_co_u32_e32 v8, vcc, 0, v13, vcc
	v_lshlrev_b64 v[3:4], 2, v[3:4]
	v_add_co_u32_e32 v1, vcc, s30, v1
	v_addc_co_u32_e32 v2, vcc, v14, v2, vcc
	v_lshlrev_b64 v[5:6], 2, v[5:6]
	v_add_co_u32_e32 v3, vcc, s30, v3
	v_addc_co_u32_e32 v4, vcc, v15, v4, vcc
	v_lshlrev_b64 v[7:8], 2, v[7:8]
	global_load_dword v10, v[1:2], off
	global_load_dword v11, v[3:4], off
	v_add_co_u32_e32 v1, vcc, s30, v5
	v_addc_co_u32_e32 v2, vcc, v16, v6, vcc
	v_add_co_u32_e32 v3, vcc, s30, v7
	v_addc_co_u32_e32 v4, vcc, v17, v8, vcc
	global_load_dword v5, v[1:2], off
	global_load_dword v6, v[3:4], off
	s_waitcnt vmcnt(7)
	v_mul_f32_e32 v1, s48, v18
	s_waitcnt vmcnt(6)
	v_mul_f32_e32 v2, s48, v19
	;; [unrolled: 2-line block ×6, first 2 shown]
	ds_write2st64_b32 v9, v1, v2 offset1:4
	s_waitcnt vmcnt(1)
	v_mul_f32_e32 v1, v3, v5
	s_waitcnt vmcnt(0)
	v_mul_f32_e32 v2, v4, v6
	ds_write2st64_b32 v9, v1, v2 offset0:8 offset1:12
.LBB7_79:
	s_or_b64 exec, exec, s[0:1]
	v_cmp_lt_i64_e64 s[2:3], s[42:43], 2
	s_mov_b64 s[0:1], -1
	s_and_b64 vcc, exec, s[2:3]
	s_waitcnt vmcnt(0) lgkmcnt(0)
	s_barrier
	s_cbranch_vccz .LBB7_90
; %bb.80:
	v_mov_b32_e32 v1, s37
	v_add_co_u32_e32 v5, vcc, s36, v0
	v_addc_co_u32_e32 v6, vcc, 0, v1, vcc
	v_cmp_gt_i64_e32 vcc, s[38:39], v[5:6]
	s_and_saveexec_b64 s[2:3], vcc
	s_cbranch_execz .LBB7_89
; %bb.81:
	s_lshl_b32 s0, s44, 2
	v_cmp_neq_f32_e64 s[4:5], s34, 0
	s_sub_i32 s10, 0, s0
	s_mov_b64 s[6:7], 0
	v_mov_b32_e32 v10, s25
	v_mov_b32_e32 v11, s41
	s_branch .LBB7_83
.LBB7_82:                               ;   in Loop: Header=BB7_83 Depth=1
	v_add_co_u32_e32 v5, vcc, 0x100, v5
	v_addc_co_u32_e32 v6, vcc, 0, v6, vcc
	v_cmp_le_i64_e32 vcc, s[38:39], v[5:6]
	v_add_co_u32_e64 v1, s[0:1], s40, v1
	v_addc_co_u32_e64 v2, s[0:1], v11, v2, s[0:1]
	s_or_b64 s[6:7], vcc, s[6:7]
	global_store_dword v[1:2], v12, off
	s_andn2_b64 exec, exec, s[6:7]
	s_cbranch_execz .LBB7_89
.LBB7_83:                               ; =>This Loop Header: Depth=1
                                        ;     Child Loop BB7_85 Depth 2
	v_lshlrev_b64 v[1:2], 3, v[5:6]
	v_mov_b32_e32 v12, 0
	v_add_co_u32_e32 v1, vcc, s24, v1
	v_addc_co_u32_e32 v2, vcc, v10, v2, vcc
	global_load_dwordx4 v[1:4], v[1:2], off
	s_waitcnt vmcnt(0)
	v_cmp_lt_i64_e32 vcc, v[1:2], v[3:4]
	s_and_saveexec_b64 s[0:1], vcc
	s_cbranch_execz .LBB7_87
; %bb.84:                               ;   in Loop: Header=BB7_83 Depth=1
	v_mov_b32_e32 v7, s45
	v_subrev_co_u32_e32 v3, vcc, s44, v3
	v_subb_co_u32_e32 v4, vcc, v4, v7, vcc
	v_mov_b32_e32 v8, s45
	v_subrev_co_u32_e32 v7, vcc, s44, v1
	v_subb_co_u32_e32 v8, vcc, v2, v8, vcc
	v_lshl_add_u32 v1, v1, 2, s10
	v_mov_b32_e32 v12, 0
	s_mov_b64 s[8:9], 0
.LBB7_85:                               ;   Parent Loop BB7_83 Depth=1
                                        ; =>  This Inner Loop Header: Depth=2
	ds_read_b32 v2, v1
	v_add_co_u32_e32 v7, vcc, 1, v7
	v_addc_co_u32_e32 v8, vcc, 0, v8, vcc
	v_cmp_ge_i64_e32 vcc, v[7:8], v[3:4]
	v_add_u32_e32 v1, 4, v1
	s_or_b64 s[8:9], vcc, s[8:9]
	s_waitcnt lgkmcnt(0)
	v_add_f32_e32 v12, v12, v2
	s_andn2_b64 exec, exec, s[8:9]
	s_cbranch_execnz .LBB7_85
; %bb.86:                               ;   in Loop: Header=BB7_83 Depth=1
	s_or_b64 exec, exec, s[8:9]
.LBB7_87:                               ;   in Loop: Header=BB7_83 Depth=1
	s_or_b64 exec, exec, s[0:1]
	v_lshlrev_b64 v[1:2], 2, v[5:6]
	s_and_b64 vcc, exec, s[4:5]
	s_cbranch_vccz .LBB7_82
; %bb.88:                               ;   in Loop: Header=BB7_83 Depth=1
	v_mov_b32_e32 v4, s41
	v_add_co_u32_e32 v3, vcc, s40, v1
	v_addc_co_u32_e32 v4, vcc, v4, v2, vcc
	global_load_dword v3, v[3:4], off
	s_waitcnt vmcnt(0)
	v_fmac_f32_e32 v12, s34, v3
	s_branch .LBB7_82
.LBB7_89:
	s_or_b64 exec, exec, s[2:3]
	s_mov_b64 s[0:1], 0
.LBB7_90:
	s_andn2_b64 vcc, exec, s[0:1]
	s_cbranch_vccnz .LBB7_115
; %bb.91:
	s_flbit_i32_b32 s0, s42
	s_min_u32 s0, s0, 32
	s_sub_i32 s0, 31, s0
	v_lshrrev_b32_e32 v5, s0, v0
	v_mov_b32_e32 v2, s37
	v_add_co_u32_e32 v1, vcc, s36, v5
	v_addc_co_u32_e32 v2, vcc, 0, v2, vcc
	s_add_i32 s0, s42, -1
	v_mov_b32_e32 v4, 0
	v_and_b32_e32 v3, s0, v0
	v_cmp_le_i64_e64 s[0:1], s[38:39], v[1:2]
	v_cmp_gt_i64_e32 vcc, s[38:39], v[1:2]
	v_mov_b32_e32 v0, v4
	s_and_saveexec_b64 s[2:3], vcc
	s_cbranch_execz .LBB7_97
; %bb.92:
	v_lshlrev_b32_e32 v0, 3, v5
	global_load_dwordx4 v[10:13], v0, s[46:47]
	v_mov_b32_e32 v5, s45
	v_subrev_co_u32_e32 v7, vcc, s44, v3
	v_subb_co_u32_e32 v8, vcc, 0, v5, vcc
	v_mov_b32_e32 v0, s45
	s_waitcnt vmcnt(0)
	v_subrev_co_u32_e32 v5, vcc, s44, v12
	v_subb_co_u32_e32 v6, vcc, v13, v0, vcc
	v_add_co_u32_e32 v7, vcc, v10, v7
	v_addc_co_u32_e32 v8, vcc, v11, v8, vcc
	v_cmp_lt_i64_e32 vcc, v[7:8], v[5:6]
	v_mov_b32_e32 v0, 0
	s_and_saveexec_b64 s[4:5], vcc
	s_cbranch_execz .LBB7_96
; %bb.93:
	v_lshlrev_b32_e32 v10, 2, v7
	s_lshl_b32 s8, s42, 2
	v_mov_b32_e32 v0, 0
	s_mov_b64 s[6:7], 0
	v_mov_b32_e32 v11, s43
.LBB7_94:                               ; =>This Inner Loop Header: Depth=1
	ds_read_b32 v12, v10
	v_add_co_u32_e32 v7, vcc, s42, v7
	v_addc_co_u32_e32 v8, vcc, v8, v11, vcc
	v_cmp_ge_i64_e32 vcc, v[7:8], v[5:6]
	v_add_u32_e32 v10, s8, v10
	s_or_b64 s[6:7], vcc, s[6:7]
	s_waitcnt lgkmcnt(0)
	v_add_f32_e32 v0, v0, v12
	s_andn2_b64 exec, exec, s[6:7]
	s_cbranch_execnz .LBB7_94
; %bb.95:
	s_or_b64 exec, exec, s[6:7]
.LBB7_96:
	s_or_b64 exec, exec, s[4:5]
.LBB7_97:
	s_or_b64 exec, exec, s[2:3]
	v_mov_b32_e32 v5, 0x81
	v_mov_b32_e32 v6, 0
	v_cmp_lt_u64_e32 vcc, s[42:43], v[5:6]
	s_and_b64 vcc, exec, vcc
	s_waitcnt vmcnt(0)
	s_barrier
	ds_write_b32 v9, v0
	s_waitcnt lgkmcnt(0)
	s_barrier
	s_cbranch_vccnz .LBB7_99
; %bb.98:
	ds_read_b32 v5, v9 offset:512
	s_waitcnt lgkmcnt(0)
	s_barrier
	v_add_f32_e32 v0, v0, v5
	ds_write_b32 v9, v0
.LBB7_99:
	v_mov_b32_e32 v5, 0x41
	v_mov_b32_e32 v6, 0
	v_cmp_lt_u64_e32 vcc, s[42:43], v[5:6]
	s_waitcnt lgkmcnt(0)
	s_barrier
	s_cbranch_vccnz .LBB7_101
; %bb.100:
	ds_read_b32 v5, v9 offset:256
	s_waitcnt lgkmcnt(0)
	s_barrier
	v_add_f32_e32 v0, v0, v5
	ds_write_b32 v9, v0
.LBB7_101:
	v_cmp_lt_u64_e64 s[2:3], s[42:43], 33
	s_waitcnt lgkmcnt(0)
	s_and_b64 vcc, exec, s[2:3]
	s_barrier
	s_cbranch_vccnz .LBB7_103
; %bb.102:
	ds_read_b32 v5, v9 offset:128
	s_waitcnt lgkmcnt(0)
	s_barrier
	v_add_f32_e32 v0, v0, v5
	ds_write_b32 v9, v0
.LBB7_103:
	v_cmp_lt_u64_e64 s[2:3], s[42:43], 17
	s_waitcnt lgkmcnt(0)
	s_and_b64 vcc, exec, s[2:3]
	;; [unrolled: 12-line block ×4, first 2 shown]
	s_barrier
	s_cbranch_vccnz .LBB7_109
; %bb.108:
	ds_read_b32 v5, v9 offset:16
	s_waitcnt lgkmcnt(0)
	s_barrier
	v_add_f32_e32 v0, v0, v5
	ds_write_b32 v9, v0
.LBB7_109:
	s_cmp_eq_u64 s[42:43], 2
	s_waitcnt lgkmcnt(0)
	s_barrier
	s_cbranch_scc1 .LBB7_111
; %bb.110:
	ds_read_b32 v5, v9 offset:8
	s_waitcnt lgkmcnt(0)
	s_barrier
	v_add_f32_e32 v0, v0, v5
	ds_write_b32 v9, v0
.LBB7_111:
	s_waitcnt lgkmcnt(0)
	s_barrier
	ds_read_b32 v5, v9 offset:4
	v_cmp_eq_u64_e32 vcc, 0, v[3:4]
	s_xor_b64 s[0:1], s[0:1], -1
	s_and_b64 s[0:1], vcc, s[0:1]
	s_waitcnt lgkmcnt(0)
	v_add_f32_e32 v5, v0, v5
	s_barrier
	ds_write_b32 v9, v5
	s_and_saveexec_b64 s[2:3], s[0:1]
	s_cbranch_execz .LBB7_115
; %bb.112:
	v_cmp_eq_f32_e64 s[0:1], s34, 0
	v_lshlrev_b64 v[0:1], 2, v[1:2]
	s_and_b64 vcc, exec, s[0:1]
	s_cbranch_vccnz .LBB7_114
; %bb.113:
	v_mov_b32_e32 v3, s41
	v_add_co_u32_e32 v2, vcc, s40, v0
	v_addc_co_u32_e32 v3, vcc, v3, v1, vcc
	global_load_dword v2, v[2:3], off
	s_waitcnt vmcnt(0)
	v_fmac_f32_e32 v5, s34, v2
.LBB7_114:
	v_mov_b32_e32 v2, s41
	v_add_co_u32_e32 v0, vcc, s40, v0
	v_addc_co_u32_e32 v1, vcc, v2, v1, vcc
	global_store_dword v[0:1], v5, off
.LBB7_115:
	s_endpgm
	.section	.rodata,"a",@progbits
	.p2align	6, 0x0
	.amdhsa_kernel _ZN9rocsparseL22csrmvn_adaptive_kernelIllffffEEvbT_PKS1_PjPKT0_NS_24const_host_device_scalarIT4_EES3_S7_PKT1_PKT2_SA_PT3_21rocsparse_index_base_b
		.amdhsa_group_segment_fixed_size 4096
		.amdhsa_private_segment_fixed_size 0
		.amdhsa_kernarg_size 104
		.amdhsa_user_sgpr_count 6
		.amdhsa_user_sgpr_private_segment_buffer 1
		.amdhsa_user_sgpr_dispatch_ptr 0
		.amdhsa_user_sgpr_queue_ptr 0
		.amdhsa_user_sgpr_kernarg_segment_ptr 1
		.amdhsa_user_sgpr_dispatch_id 0
		.amdhsa_user_sgpr_flat_scratch_init 0
		.amdhsa_user_sgpr_private_segment_size 0
		.amdhsa_uses_dynamic_stack 0
		.amdhsa_system_sgpr_private_segment_wavefront_offset 0
		.amdhsa_system_sgpr_workgroup_id_x 1
		.amdhsa_system_sgpr_workgroup_id_y 0
		.amdhsa_system_sgpr_workgroup_id_z 0
		.amdhsa_system_sgpr_workgroup_info 0
		.amdhsa_system_vgpr_workitem_id 0
		.amdhsa_next_free_vgpr 22
		.amdhsa_next_free_sgpr 60
		.amdhsa_reserve_vcc 1
		.amdhsa_reserve_flat_scratch 0
		.amdhsa_float_round_mode_32 0
		.amdhsa_float_round_mode_16_64 0
		.amdhsa_float_denorm_mode_32 3
		.amdhsa_float_denorm_mode_16_64 3
		.amdhsa_dx10_clamp 1
		.amdhsa_ieee_mode 1
		.amdhsa_fp16_overflow 0
		.amdhsa_exception_fp_ieee_invalid_op 0
		.amdhsa_exception_fp_denorm_src 0
		.amdhsa_exception_fp_ieee_div_zero 0
		.amdhsa_exception_fp_ieee_overflow 0
		.amdhsa_exception_fp_ieee_underflow 0
		.amdhsa_exception_fp_ieee_inexact 0
		.amdhsa_exception_int_div_zero 0
	.end_amdhsa_kernel
	.section	.text._ZN9rocsparseL22csrmvn_adaptive_kernelIllffffEEvbT_PKS1_PjPKT0_NS_24const_host_device_scalarIT4_EES3_S7_PKT1_PKT2_SA_PT3_21rocsparse_index_base_b,"axG",@progbits,_ZN9rocsparseL22csrmvn_adaptive_kernelIllffffEEvbT_PKS1_PjPKT0_NS_24const_host_device_scalarIT4_EES3_S7_PKT1_PKT2_SA_PT3_21rocsparse_index_base_b,comdat
.Lfunc_end7:
	.size	_ZN9rocsparseL22csrmvn_adaptive_kernelIllffffEEvbT_PKS1_PjPKT0_NS_24const_host_device_scalarIT4_EES3_S7_PKT1_PKT2_SA_PT3_21rocsparse_index_base_b, .Lfunc_end7-_ZN9rocsparseL22csrmvn_adaptive_kernelIllffffEEvbT_PKS1_PjPKT0_NS_24const_host_device_scalarIT4_EES3_S7_PKT1_PKT2_SA_PT3_21rocsparse_index_base_b
                                        ; -- End function
	.set _ZN9rocsparseL22csrmvn_adaptive_kernelIllffffEEvbT_PKS1_PjPKT0_NS_24const_host_device_scalarIT4_EES3_S7_PKT1_PKT2_SA_PT3_21rocsparse_index_base_b.num_vgpr, 22
	.set _ZN9rocsparseL22csrmvn_adaptive_kernelIllffffEEvbT_PKS1_PjPKT0_NS_24const_host_device_scalarIT4_EES3_S7_PKT1_PKT2_SA_PT3_21rocsparse_index_base_b.num_agpr, 0
	.set _ZN9rocsparseL22csrmvn_adaptive_kernelIllffffEEvbT_PKS1_PjPKT0_NS_24const_host_device_scalarIT4_EES3_S7_PKT1_PKT2_SA_PT3_21rocsparse_index_base_b.numbered_sgpr, 60
	.set _ZN9rocsparseL22csrmvn_adaptive_kernelIllffffEEvbT_PKS1_PjPKT0_NS_24const_host_device_scalarIT4_EES3_S7_PKT1_PKT2_SA_PT3_21rocsparse_index_base_b.num_named_barrier, 0
	.set _ZN9rocsparseL22csrmvn_adaptive_kernelIllffffEEvbT_PKS1_PjPKT0_NS_24const_host_device_scalarIT4_EES3_S7_PKT1_PKT2_SA_PT3_21rocsparse_index_base_b.private_seg_size, 0
	.set _ZN9rocsparseL22csrmvn_adaptive_kernelIllffffEEvbT_PKS1_PjPKT0_NS_24const_host_device_scalarIT4_EES3_S7_PKT1_PKT2_SA_PT3_21rocsparse_index_base_b.uses_vcc, 1
	.set _ZN9rocsparseL22csrmvn_adaptive_kernelIllffffEEvbT_PKS1_PjPKT0_NS_24const_host_device_scalarIT4_EES3_S7_PKT1_PKT2_SA_PT3_21rocsparse_index_base_b.uses_flat_scratch, 0
	.set _ZN9rocsparseL22csrmvn_adaptive_kernelIllffffEEvbT_PKS1_PjPKT0_NS_24const_host_device_scalarIT4_EES3_S7_PKT1_PKT2_SA_PT3_21rocsparse_index_base_b.has_dyn_sized_stack, 0
	.set _ZN9rocsparseL22csrmvn_adaptive_kernelIllffffEEvbT_PKS1_PjPKT0_NS_24const_host_device_scalarIT4_EES3_S7_PKT1_PKT2_SA_PT3_21rocsparse_index_base_b.has_recursion, 0
	.set _ZN9rocsparseL22csrmvn_adaptive_kernelIllffffEEvbT_PKS1_PjPKT0_NS_24const_host_device_scalarIT4_EES3_S7_PKT1_PKT2_SA_PT3_21rocsparse_index_base_b.has_indirect_call, 0
	.section	.AMDGPU.csdata,"",@progbits
; Kernel info:
; codeLenInByte = 4028
; TotalNumSgprs: 64
; NumVgprs: 22
; ScratchSize: 0
; MemoryBound: 0
; FloatMode: 240
; IeeeMode: 1
; LDSByteSize: 4096 bytes/workgroup (compile time only)
; SGPRBlocks: 7
; VGPRBlocks: 5
; NumSGPRsForWavesPerEU: 64
; NumVGPRsForWavesPerEU: 22
; Occupancy: 10
; WaveLimiterHint : 1
; COMPUTE_PGM_RSRC2:SCRATCH_EN: 0
; COMPUTE_PGM_RSRC2:USER_SGPR: 6
; COMPUTE_PGM_RSRC2:TRAP_HANDLER: 0
; COMPUTE_PGM_RSRC2:TGID_X_EN: 1
; COMPUTE_PGM_RSRC2:TGID_Y_EN: 0
; COMPUTE_PGM_RSRC2:TGID_Z_EN: 0
; COMPUTE_PGM_RSRC2:TIDIG_COMP_CNT: 0
	.section	.text._ZN9rocsparseL22partial_scale_y_kernelIlffEEvT_S1_S1_NS_24const_host_device_scalarIT1_EEPT0_b,"axG",@progbits,_ZN9rocsparseL22partial_scale_y_kernelIlffEEvT_S1_S1_NS_24const_host_device_scalarIT1_EEPT0_b,comdat
	.globl	_ZN9rocsparseL22partial_scale_y_kernelIlffEEvT_S1_S1_NS_24const_host_device_scalarIT1_EEPT0_b ; -- Begin function _ZN9rocsparseL22partial_scale_y_kernelIlffEEvT_S1_S1_NS_24const_host_device_scalarIT1_EEPT0_b
	.p2align	8
	.type	_ZN9rocsparseL22partial_scale_y_kernelIlffEEvT_S1_S1_NS_24const_host_device_scalarIT1_EEPT0_b,@function
_ZN9rocsparseL22partial_scale_y_kernelIlffEEvT_S1_S1_NS_24const_host_device_scalarIT1_EEPT0_b: ; @_ZN9rocsparseL22partial_scale_y_kernelIlffEEvT_S1_S1_NS_24const_host_device_scalarIT1_EEPT0_b
; %bb.0:
	s_load_dword s0, s[4:5], 0x28
	s_load_dwordx8 s[8:15], s[4:5], 0x0
	s_waitcnt lgkmcnt(0)
	s_bitcmp1_b32 s0, 0
	s_cselect_b64 s[0:1], -1, 0
	s_and_b64 vcc, exec, s[0:1]
	s_cbranch_vccnz .LBB8_2
; %bb.1:
	s_load_dword s14, s[14:15], 0x0
.LBB8_2:
	s_waitcnt lgkmcnt(0)
	v_cmp_eq_f32_e64 s[0:1], s14, 1.0
	s_and_b64 vcc, exec, s[0:1]
	s_cbranch_vccnz .LBB8_12
; %bb.3:
	s_add_u32 s0, s10, s8
	s_addc_u32 s1, s11, s9
	s_sub_u32 s0, s0, s12
	v_lshl_or_b32 v0, s6, 8, v0
	v_mov_b32_e32 v1, 0
	s_subb_u32 s1, s1, s13
	v_cmp_gt_i64_e32 vcc, s[0:1], v[0:1]
	s_and_saveexec_b64 s[0:1], vcc
	s_cbranch_execz .LBB8_12
; %bb.4:
	s_load_dwordx2 s[2:3], s[4:5], 0x20
	v_cmp_le_i64_e32 vcc, s[10:11], v[0:1]
	v_cmp_neq_f32_e64 s[0:1], s14, 0
	s_and_saveexec_b64 s[4:5], vcc
	s_xor_b64 s[4:5], exec, s[4:5]
	s_cbranch_execz .LBB8_8
; %bb.5:
	v_mov_b32_e32 v1, s11
	v_subrev_co_u32_e32 v0, vcc, s10, v0
	v_subb_co_u32_e32 v1, vcc, 0, v1, vcc
	s_lshl_b64 s[6:7], s[12:13], 2
	s_waitcnt lgkmcnt(0)
	s_add_u32 s6, s2, s6
	v_lshlrev_b64 v[0:1], 2, v[0:1]
	s_addc_u32 s7, s3, s7
	v_mov_b32_e32 v3, s7
	v_add_co_u32_e32 v2, vcc, s6, v0
	v_addc_co_u32_e32 v3, vcc, v3, v1, vcc
	s_and_b64 vcc, exec, s[0:1]
	s_cbranch_vccz .LBB8_13
; %bb.6:
	global_load_dword v0, v[2:3], off
	s_waitcnt vmcnt(0)
	v_mul_f32_e32 v0, s14, v0
	global_store_dword v[2:3], v0, off
                                        ; implicit-def: $vgpr0_vgpr1
	s_cbranch_execnz .LBB8_8
.LBB8_7:
	v_mov_b32_e32 v0, 0
	global_store_dword v[2:3], v0, off
                                        ; implicit-def: $vgpr0_vgpr1
.LBB8_8:
	s_andn2_saveexec_b64 s[4:5], s[4:5]
	s_cbranch_execz .LBB8_12
; %bb.9:
	v_lshlrev_b64 v[0:1], 2, v[0:1]
	s_waitcnt lgkmcnt(0)
	v_mov_b32_e32 v2, s3
	v_add_co_u32_e32 v0, vcc, s2, v0
	v_addc_co_u32_e32 v1, vcc, v2, v1, vcc
	s_and_b64 vcc, exec, s[0:1]
	s_cbranch_vccz .LBB8_14
; %bb.10:
	global_load_dword v2, v[0:1], off
	s_waitcnt vmcnt(0)
	v_mul_f32_e32 v2, s14, v2
	global_store_dword v[0:1], v2, off
	s_cbranch_execnz .LBB8_12
.LBB8_11:
	v_mov_b32_e32 v2, 0
	global_store_dword v[0:1], v2, off
.LBB8_12:
	s_endpgm
.LBB8_13:
                                        ; implicit-def: $vgpr0_vgpr1
	s_branch .LBB8_7
.LBB8_14:
	s_branch .LBB8_11
	.section	.rodata,"a",@progbits
	.p2align	6, 0x0
	.amdhsa_kernel _ZN9rocsparseL22partial_scale_y_kernelIlffEEvT_S1_S1_NS_24const_host_device_scalarIT1_EEPT0_b
		.amdhsa_group_segment_fixed_size 0
		.amdhsa_private_segment_fixed_size 0
		.amdhsa_kernarg_size 44
		.amdhsa_user_sgpr_count 6
		.amdhsa_user_sgpr_private_segment_buffer 1
		.amdhsa_user_sgpr_dispatch_ptr 0
		.amdhsa_user_sgpr_queue_ptr 0
		.amdhsa_user_sgpr_kernarg_segment_ptr 1
		.amdhsa_user_sgpr_dispatch_id 0
		.amdhsa_user_sgpr_flat_scratch_init 0
		.amdhsa_user_sgpr_private_segment_size 0
		.amdhsa_uses_dynamic_stack 0
		.amdhsa_system_sgpr_private_segment_wavefront_offset 0
		.amdhsa_system_sgpr_workgroup_id_x 1
		.amdhsa_system_sgpr_workgroup_id_y 0
		.amdhsa_system_sgpr_workgroup_id_z 0
		.amdhsa_system_sgpr_workgroup_info 0
		.amdhsa_system_vgpr_workitem_id 0
		.amdhsa_next_free_vgpr 4
		.amdhsa_next_free_sgpr 16
		.amdhsa_reserve_vcc 1
		.amdhsa_reserve_flat_scratch 0
		.amdhsa_float_round_mode_32 0
		.amdhsa_float_round_mode_16_64 0
		.amdhsa_float_denorm_mode_32 3
		.amdhsa_float_denorm_mode_16_64 3
		.amdhsa_dx10_clamp 1
		.amdhsa_ieee_mode 1
		.amdhsa_fp16_overflow 0
		.amdhsa_exception_fp_ieee_invalid_op 0
		.amdhsa_exception_fp_denorm_src 0
		.amdhsa_exception_fp_ieee_div_zero 0
		.amdhsa_exception_fp_ieee_overflow 0
		.amdhsa_exception_fp_ieee_underflow 0
		.amdhsa_exception_fp_ieee_inexact 0
		.amdhsa_exception_int_div_zero 0
	.end_amdhsa_kernel
	.section	.text._ZN9rocsparseL22partial_scale_y_kernelIlffEEvT_S1_S1_NS_24const_host_device_scalarIT1_EEPT0_b,"axG",@progbits,_ZN9rocsparseL22partial_scale_y_kernelIlffEEvT_S1_S1_NS_24const_host_device_scalarIT1_EEPT0_b,comdat
.Lfunc_end8:
	.size	_ZN9rocsparseL22partial_scale_y_kernelIlffEEvT_S1_S1_NS_24const_host_device_scalarIT1_EEPT0_b, .Lfunc_end8-_ZN9rocsparseL22partial_scale_y_kernelIlffEEvT_S1_S1_NS_24const_host_device_scalarIT1_EEPT0_b
                                        ; -- End function
	.set _ZN9rocsparseL22partial_scale_y_kernelIlffEEvT_S1_S1_NS_24const_host_device_scalarIT1_EEPT0_b.num_vgpr, 4
	.set _ZN9rocsparseL22partial_scale_y_kernelIlffEEvT_S1_S1_NS_24const_host_device_scalarIT1_EEPT0_b.num_agpr, 0
	.set _ZN9rocsparseL22partial_scale_y_kernelIlffEEvT_S1_S1_NS_24const_host_device_scalarIT1_EEPT0_b.numbered_sgpr, 16
	.set _ZN9rocsparseL22partial_scale_y_kernelIlffEEvT_S1_S1_NS_24const_host_device_scalarIT1_EEPT0_b.num_named_barrier, 0
	.set _ZN9rocsparseL22partial_scale_y_kernelIlffEEvT_S1_S1_NS_24const_host_device_scalarIT1_EEPT0_b.private_seg_size, 0
	.set _ZN9rocsparseL22partial_scale_y_kernelIlffEEvT_S1_S1_NS_24const_host_device_scalarIT1_EEPT0_b.uses_vcc, 1
	.set _ZN9rocsparseL22partial_scale_y_kernelIlffEEvT_S1_S1_NS_24const_host_device_scalarIT1_EEPT0_b.uses_flat_scratch, 0
	.set _ZN9rocsparseL22partial_scale_y_kernelIlffEEvT_S1_S1_NS_24const_host_device_scalarIT1_EEPT0_b.has_dyn_sized_stack, 0
	.set _ZN9rocsparseL22partial_scale_y_kernelIlffEEvT_S1_S1_NS_24const_host_device_scalarIT1_EEPT0_b.has_recursion, 0
	.set _ZN9rocsparseL22partial_scale_y_kernelIlffEEvT_S1_S1_NS_24const_host_device_scalarIT1_EEPT0_b.has_indirect_call, 0
	.section	.AMDGPU.csdata,"",@progbits
; Kernel info:
; codeLenInByte = 324
; TotalNumSgprs: 20
; NumVgprs: 4
; ScratchSize: 0
; MemoryBound: 0
; FloatMode: 240
; IeeeMode: 1
; LDSByteSize: 0 bytes/workgroup (compile time only)
; SGPRBlocks: 2
; VGPRBlocks: 0
; NumSGPRsForWavesPerEU: 20
; NumVGPRsForWavesPerEU: 4
; Occupancy: 10
; WaveLimiterHint : 0
; COMPUTE_PGM_RSRC2:SCRATCH_EN: 0
; COMPUTE_PGM_RSRC2:USER_SGPR: 6
; COMPUTE_PGM_RSRC2:TRAP_HANDLER: 0
; COMPUTE_PGM_RSRC2:TGID_X_EN: 1
; COMPUTE_PGM_RSRC2:TGID_Y_EN: 0
; COMPUTE_PGM_RSRC2:TGID_Z_EN: 0
; COMPUTE_PGM_RSRC2:TIDIG_COMP_CNT: 0
	.section	.text._ZN9rocsparseL27csrmvn_symm_adaptive_kernelIllffffEEvbT_S1_PKS1_NS_24const_host_device_scalarIT4_EES3_PKT0_PKT1_PKT2_S6_PT3_21rocsparse_index_base_b,"axG",@progbits,_ZN9rocsparseL27csrmvn_symm_adaptive_kernelIllffffEEvbT_S1_PKS1_NS_24const_host_device_scalarIT4_EES3_PKT0_PKT1_PKT2_S6_PT3_21rocsparse_index_base_b,comdat
	.globl	_ZN9rocsparseL27csrmvn_symm_adaptive_kernelIllffffEEvbT_S1_PKS1_NS_24const_host_device_scalarIT4_EES3_PKT0_PKT1_PKT2_S6_PT3_21rocsparse_index_base_b ; -- Begin function _ZN9rocsparseL27csrmvn_symm_adaptive_kernelIllffffEEvbT_S1_PKS1_NS_24const_host_device_scalarIT4_EES3_PKT0_PKT1_PKT2_S6_PT3_21rocsparse_index_base_b
	.p2align	8
	.type	_ZN9rocsparseL27csrmvn_symm_adaptive_kernelIllffffEEvbT_S1_PKS1_NS_24const_host_device_scalarIT4_EES3_PKT0_PKT1_PKT2_S6_PT3_21rocsparse_index_base_b,@function
_ZN9rocsparseL27csrmvn_symm_adaptive_kernelIllffffEEvbT_S1_PKS1_NS_24const_host_device_scalarIT4_EES3_PKT0_PKT1_PKT2_S6_PT3_21rocsparse_index_base_b: ; @_ZN9rocsparseL27csrmvn_symm_adaptive_kernelIllffffEEvbT_S1_PKS1_NS_24const_host_device_scalarIT4_EES3_PKT0_PKT1_PKT2_S6_PT3_21rocsparse_index_base_b
; %bb.0:
	s_load_dwordx2 s[30:31], s[4:5], 0x58
	s_load_dwordx2 s[38:39], s[4:5], 0x20
	;; [unrolled: 1-line block ×3, first 2 shown]
	s_waitcnt lgkmcnt(0)
	s_bitcmp1_b32 s31, 0
	s_cselect_b64 s[8:9], -1, 0
	s_xor_b64 s[2:3], s[8:9], -1
	s_and_b64 vcc, exec, s[8:9]
	s_cbranch_vccnz .LBB9_2
; %bb.1:
	s_load_dword s38, s[38:39], 0x0
.LBB9_2:
	s_andn2_b64 vcc, exec, s[2:3]
	s_cbranch_vccnz .LBB9_4
; %bb.3:
	s_load_dword s0, s[0:1], 0x0
.LBB9_4:
	s_waitcnt lgkmcnt(0)
	v_cmp_neq_f32_e64 s[2:3], s38, 0
	v_cmp_neq_f32_e64 s[0:1], s0, 1.0
	s_or_b64 s[0:1], s[2:3], s[0:1]
	s_andn2_b64 vcc, exec, s[0:1]
	s_cbranch_vccnz .LBB9_154
; %bb.5:
	s_load_dwordx2 s[0:1], s[4:5], 0x18
	s_ashr_i32 s7, s6, 31
	s_lshl_b64 s[2:3], s[6:7], 3
	v_lshlrev_b32_e32 v14, 2, v0
	v_mov_b32_e32 v1, 0
	s_waitcnt lgkmcnt(0)
	s_add_u32 s0, s0, s2
	s_addc_u32 s1, s1, s3
	ds_write2st64_b32 v14, v1, v1 offset1:4
	ds_write2st64_b32 v14, v1, v1 offset0:8 offset1:12
	s_waitcnt lgkmcnt(0)
	s_barrier
	s_load_dwordx4 s[24:27], s[0:1], 0x0
	s_load_dwordx8 s[16:23], s[4:5], 0x28
	s_load_dwordx2 s[14:15], s[4:5], 0x50
	s_mov_b64 s[0:1], -1
	s_waitcnt lgkmcnt(0)
	s_sub_u32 s28, s26, s24
	s_subb_u32 s29, s27, s25
	v_cmp_gt_i64_e64 s[2:3], s[28:29], 2
	s_and_b64 vcc, exec, s[2:3]
	s_cbranch_vccnz .LBB9_38
; %bb.6:
	v_mov_b32_e32 v1, s24
	v_mov_b32_e32 v2, s25
	v_cmp_le_i64_e32 vcc, s[26:27], v[1:2]
	v_subrev_co_u32_e64 v9, s[0:1], s30, v0
	v_subb_co_u32_e64 v10, s[0:1], 0, 0, s[0:1]
	s_cbranch_vccnz .LBB9_27
; %bb.7:
	s_movk_i32 s31, 0x100
	v_mov_b32_e32 v1, s26
	v_cmp_gt_u32_e64 s[0:1], s31, v0
	v_cmp_gt_u32_e64 s[2:3], 64, v0
	;; [unrolled: 1-line block ×4, first 2 shown]
	v_cmp_eq_u32_e64 s[10:11], 0, v0
	v_mov_b32_e32 v11, 0
	v_mov_b32_e32 v2, s27
	s_mov_b64 s[34:35], s[24:25]
	s_branch .LBB9_9
.LBB9_8:                                ;   in Loop: Header=BB9_9 Depth=1
	s_or_b64 exec, exec, s[12:13]
	s_add_u32 s34, s34, 1
	s_addc_u32 s35, s35, 0
	v_cmp_ge_i64_e32 vcc, s[34:35], v[1:2]
	s_cbranch_vccnz .LBB9_27
.LBB9_9:                                ; =>This Loop Header: Depth=1
                                        ;     Child Loop BB9_11 Depth 2
                                        ;     Child Loop BB9_26 Depth 2
	s_lshl_b64 s[12:13], s[34:35], 3
	s_add_u32 s12, s16, s12
	s_addc_u32 s13, s17, s13
	s_load_dwordx4 s[40:43], s[12:13], 0x0
	v_mov_b32_e32 v12, 0
	s_waitcnt lgkmcnt(0)
	s_sub_u32 s36, s42, s30
	v_mov_b32_e32 v4, s41
	v_add_co_u32_e32 v3, vcc, s40, v9
	s_subb_u32 s37, s43, 0
	v_addc_co_u32_e32 v4, vcc, v4, v10, vcc
	v_cmp_gt_i64_e32 vcc, s[36:37], v[3:4]
	s_and_saveexec_b64 s[40:41], vcc
	s_cbranch_execz .LBB9_13
; %bb.10:                               ;   in Loop: Header=BB9_9 Depth=1
	v_lshlrev_b64 v[5:6], 3, v[3:4]
	v_mov_b32_e32 v7, s19
	v_add_co_u32_e32 v5, vcc, s18, v5
	v_addc_co_u32_e32 v6, vcc, v7, v6, vcc
	v_lshlrev_b64 v[7:8], 2, v[3:4]
	v_mov_b32_e32 v12, s21
	v_add_co_u32_e32 v7, vcc, s20, v7
	v_addc_co_u32_e32 v8, vcc, v12, v8, vcc
	v_mov_b32_e32 v12, 0
	s_mov_b64 s[42:43], 0
.LBB9_11:                               ;   Parent Loop BB9_9 Depth=1
                                        ; =>  This Inner Loop Header: Depth=2
	global_load_dwordx2 v[15:16], v[5:6], off
	global_load_dword v13, v[7:8], off
	v_mov_b32_e32 v17, s23
	s_waitcnt vmcnt(1)
	v_subrev_co_u32_e32 v15, vcc, s30, v15
	v_subbrev_co_u32_e32 v16, vcc, 0, v16, vcc
	v_lshlrev_b64 v[15:16], 2, v[15:16]
	v_add_co_u32_e32 v15, vcc, s22, v15
	v_addc_co_u32_e32 v16, vcc, v17, v16, vcc
	global_load_dword v15, v[15:16], off
	v_add_co_u32_e32 v3, vcc, s31, v3
	v_addc_co_u32_e32 v4, vcc, 0, v4, vcc
	v_add_co_u32_e32 v5, vcc, 0x800, v5
	v_addc_co_u32_e32 v6, vcc, 0, v6, vcc
	v_cmp_le_i64_e64 s[12:13], s[36:37], v[3:4]
	v_add_co_u32_e32 v7, vcc, 0x400, v7
	v_addc_co_u32_e32 v8, vcc, 0, v8, vcc
	s_or_b64 s[42:43], s[12:13], s[42:43]
	s_waitcnt vmcnt(0)
	v_fmac_f32_e32 v12, v13, v15
	s_andn2_b64 exec, exec, s[42:43]
	s_cbranch_execnz .LBB9_11
; %bb.12:                               ;   in Loop: Header=BB9_9 Depth=1
	s_or_b64 exec, exec, s[42:43]
.LBB9_13:                               ;   in Loop: Header=BB9_9 Depth=1
	s_or_b64 exec, exec, s[40:41]
	ds_write_b32 v14, v12
	s_waitcnt lgkmcnt(0)
	s_barrier
	s_and_saveexec_b64 s[12:13], s[0:1]
	s_cbranch_execz .LBB9_15
; %bb.14:                               ;   in Loop: Header=BB9_9 Depth=1
	ds_read2st64_b32 v[3:4], v14 offset1:4
	ds_read2st64_b32 v[5:6], v14 offset0:8 offset1:12
	s_waitcnt lgkmcnt(0)
	v_add_f32_e32 v4, v4, v5
	v_add_f32_e32 v4, v4, v6
	;; [unrolled: 1-line block ×3, first 2 shown]
	ds_write_b32 v14, v3
.LBB9_15:                               ;   in Loop: Header=BB9_9 Depth=1
	s_or_b64 exec, exec, s[12:13]
	s_waitcnt lgkmcnt(0)
	s_barrier
	s_and_saveexec_b64 s[12:13], s[2:3]
	s_cbranch_execz .LBB9_17
; %bb.16:                               ;   in Loop: Header=BB9_9 Depth=1
	ds_read2st64_b32 v[3:4], v14 offset1:1
	ds_read2st64_b32 v[5:6], v14 offset0:2 offset1:3
	s_waitcnt lgkmcnt(0)
	v_add_f32_e32 v4, v4, v5
	v_add_f32_e32 v4, v4, v6
	;; [unrolled: 1-line block ×3, first 2 shown]
	ds_write_b32 v14, v3
.LBB9_17:                               ;   in Loop: Header=BB9_9 Depth=1
	s_or_b64 exec, exec, s[12:13]
	s_waitcnt lgkmcnt(0)
	s_barrier
	s_and_saveexec_b64 s[12:13], s[6:7]
	s_cbranch_execz .LBB9_19
; %bb.18:                               ;   in Loop: Header=BB9_9 Depth=1
	ds_read2_b32 v[3:4], v14 offset1:16
	ds_read2_b32 v[5:6], v14 offset0:32 offset1:48
	s_waitcnt lgkmcnt(0)
	v_add_f32_e32 v4, v4, v5
	v_add_f32_e32 v4, v4, v6
	;; [unrolled: 1-line block ×3, first 2 shown]
	ds_write_b32 v14, v3
.LBB9_19:                               ;   in Loop: Header=BB9_9 Depth=1
	s_or_b64 exec, exec, s[12:13]
	s_waitcnt lgkmcnt(0)
	s_barrier
	s_and_saveexec_b64 s[12:13], s[8:9]
	s_cbranch_execz .LBB9_21
; %bb.20:                               ;   in Loop: Header=BB9_9 Depth=1
	ds_read2_b32 v[3:4], v14 offset1:4
	ds_read2_b32 v[5:6], v14 offset0:8 offset1:12
	s_waitcnt lgkmcnt(0)
	v_add_f32_e32 v4, v4, v5
	v_add_f32_e32 v4, v4, v6
	v_add_f32_e32 v3, v3, v4
	ds_write_b32 v14, v3
.LBB9_21:                               ;   in Loop: Header=BB9_9 Depth=1
	s_or_b64 exec, exec, s[12:13]
	s_waitcnt lgkmcnt(0)
	s_barrier
	s_and_saveexec_b64 s[12:13], s[10:11]
	s_cbranch_execz .LBB9_23
; %bb.22:                               ;   in Loop: Header=BB9_9 Depth=1
	ds_read2_b32 v[3:4], v11 offset0:1 offset1:2
	ds_read_b32 v5, v11 offset:12
	ds_read_b32 v6, v14
	s_waitcnt lgkmcnt(2)
	v_add_f32_e32 v3, v3, v4
	s_waitcnt lgkmcnt(1)
	v_add_f32_e32 v3, v3, v5
	;; [unrolled: 2-line block ×3, first 2 shown]
	ds_write_b32 v14, v3
.LBB9_23:                               ;   in Loop: Header=BB9_9 Depth=1
	s_or_b64 exec, exec, s[12:13]
	s_waitcnt lgkmcnt(0)
	s_barrier
	s_and_saveexec_b64 s[12:13], s[10:11]
	s_cbranch_execz .LBB9_8
; %bb.24:                               ;   in Loop: Header=BB9_9 Depth=1
	s_mov_b64 s[40:41], exec
	v_mbcnt_lo_u32_b32 v3, s40, 0
	v_mbcnt_hi_u32_b32 v3, s41, v3
	v_cmp_eq_u32_e32 vcc, 0, v3
	s_and_b64 s[36:37], exec, vcc
	s_mov_b64 exec, s[36:37]
	s_cbranch_execz .LBB9_8
; %bb.25:                               ;   in Loop: Header=BB9_9 Depth=1
	s_lshl_b64 s[36:37], s[34:35], 2
	s_add_u32 s36, s14, s36
	s_addc_u32 s37, s15, s37
	global_load_dword v4, v11, s[36:37]
	ds_read_b32 v3, v11
	s_bcnt1_i32_b64 s33, s[40:41]
	v_cvt_f32_ubyte0_e32 v5, s33
	s_mov_b64 s[40:41], 0
	s_waitcnt lgkmcnt(0)
	v_mul_f32_e32 v3, s38, v3
	v_mul_f32_e32 v5, v3, v5
.LBB9_26:                               ;   Parent Loop BB9_9 Depth=1
                                        ; =>  This Inner Loop Header: Depth=2
	s_waitcnt vmcnt(0)
	v_add_f32_e32 v3, v4, v5
	global_atomic_cmpswap v3, v11, v[3:4], s[36:37] glc
	s_waitcnt vmcnt(0)
	v_cmp_eq_u32_e32 vcc, v3, v4
	s_or_b64 s[40:41], vcc, s[40:41]
	v_mov_b32_e32 v4, v3
	s_andn2_b64 exec, exec, s[40:41]
	s_cbranch_execnz .LBB9_26
	s_branch .LBB9_8
.LBB9_27:
	s_lshl_b64 s[0:1], s[24:25], 3
	s_add_u32 s0, s16, s0
	s_addc_u32 s1, s17, s1
	s_lshl_b64 s[2:3], s[26:27], 3
	s_add_u32 s2, s16, s2
	s_addc_u32 s3, s17, s3
	s_load_dwordx2 s[8:9], s[0:1], 0x0
	s_load_dwordx2 s[6:7], s[2:3], 0x0
	s_waitcnt lgkmcnt(0)
	v_mov_b32_e32 v2, s9
	s_sub_u32 s6, s6, s30
	v_add_co_u32_e32 v1, vcc, s8, v9
	s_subb_u32 s7, s7, 0
	v_addc_co_u32_e32 v2, vcc, v2, v10, vcc
	v_cmp_gt_i64_e32 vcc, s[6:7], v[1:2]
	s_and_saveexec_b64 s[8:9], vcc
	s_cbranch_execz .LBB9_37
; %bb.28:
	s_add_u32 s10, s26, -1
	s_addc_u32 s11, s27, -1
	v_mov_b32_e32 v3, s10
	s_add_u32 s0, s26, -2
	v_mov_b32_e32 v4, s11
	s_addc_u32 s1, s27, -1
	v_cmp_lt_i64_e32 vcc, s[24:25], v[3:4]
	s_cmp_lg_u64 s[24:25], s[0:1]
	s_cselect_b64 s[0:1], -1, 0
	s_and_b64 s[0:1], vcc, s[0:1]
	v_cndmask_b32_e64 v3, 0, 1, s[0:1]
	s_mov_b64 s[12:13], 0
	v_cmp_ne_u32_e64 s[0:1], 1, v3
	v_mov_b32_e32 v7, s17
	v_mov_b32_e32 v8, s19
	s_branch .LBB9_30
.LBB9_29:                               ;   in Loop: Header=BB9_30 Depth=1
	s_or_b64 exec, exec, s[2:3]
	v_add_co_u32_e32 v1, vcc, 0x100, v1
	v_addc_co_u32_e32 v2, vcc, 0, v2, vcc
	v_cmp_le_i64_e32 vcc, s[6:7], v[1:2]
	s_or_b64 s[12:13], vcc, s[12:13]
	s_andn2_b64 exec, exec, s[12:13]
	s_cbranch_execz .LBB9_37
.LBB9_30:                               ; =>This Loop Header: Depth=1
                                        ;     Child Loop BB9_32 Depth 2
                                        ;     Child Loop BB9_36 Depth 2
	v_mov_b32_e32 v3, s24
	v_mov_b32_e32 v5, s10
	s_and_b64 vcc, exec, s[0:1]
	v_mov_b32_e32 v4, s25
	v_mov_b32_e32 v6, s11
	s_cbranch_vccnz .LBB9_34
; %bb.31:                               ;   in Loop: Header=BB9_30 Depth=1
	v_mov_b32_e32 v3, s24
	v_mov_b32_e32 v5, s10
	s_mov_b64 s[34:35], 0
	v_mov_b32_e32 v4, s25
	v_mov_b32_e32 v6, s11
.LBB9_32:                               ;   Parent Loop BB9_30 Depth=1
                                        ; =>  This Inner Loop Header: Depth=2
	v_add_co_u32_e32 v9, vcc, v5, v3
	v_addc_co_u32_e32 v10, vcc, v6, v4, vcc
	v_lshrrev_b32_e32 v11, 31, v10
	v_add_co_u32_e32 v9, vcc, v9, v11
	v_addc_co_u32_e32 v10, vcc, 0, v10, vcc
	v_ashrrev_i64 v[9:10], 1, v[9:10]
	v_mov_b32_e32 v13, s17
	v_lshlrev_b64 v[11:12], 3, v[9:10]
	v_add_co_u32_e32 v11, vcc, s16, v11
	v_addc_co_u32_e32 v12, vcc, v13, v12, vcc
	global_load_dwordx2 v[11:12], v[11:12], off
	s_waitcnt vmcnt(0)
	v_subrev_co_u32_e32 v11, vcc, s30, v11
	v_subbrev_co_u32_e32 v12, vcc, 0, v12, vcc
	v_cmp_lt_i64_e32 vcc, v[1:2], v[11:12]
	v_cndmask_b32_e32 v5, v5, v9, vcc
	v_cndmask_b32_e32 v6, v6, v10, vcc
	;; [unrolled: 1-line block ×3, first 2 shown]
	v_add_co_u32_e64 v9, s[2:3], -1, v5
	v_cndmask_b32_e32 v4, v10, v4, vcc
	v_addc_co_u32_e64 v10, s[2:3], -1, v6, s[2:3]
	v_cmp_ge_i64_e32 vcc, v[3:4], v[5:6]
	v_cmp_eq_u64_e64 s[2:3], v[3:4], v[9:10]
	s_or_b64 s[2:3], vcc, s[2:3]
	s_and_b64 s[2:3], exec, s[2:3]
	s_or_b64 s[34:35], s[2:3], s[34:35]
	s_andn2_b64 exec, exec, s[34:35]
	s_cbranch_execnz .LBB9_32
; %bb.33:                               ;   in Loop: Header=BB9_30 Depth=1
	s_or_b64 exec, exec, s[34:35]
.LBB9_34:                               ;   in Loop: Header=BB9_30 Depth=1
	v_lshlrev_b64 v[9:10], 3, v[5:6]
	v_lshlrev_b64 v[11:12], 3, v[1:2]
	v_add_co_u32_e32 v9, vcc, s16, v9
	v_addc_co_u32_e32 v10, vcc, v7, v10, vcc
	global_load_dwordx2 v[9:10], v[9:10], off
	v_add_co_u32_e32 v11, vcc, s18, v11
	v_addc_co_u32_e32 v12, vcc, v8, v12, vcc
	global_load_dwordx2 v[11:12], v[11:12], off
	s_waitcnt vmcnt(1)
	v_subrev_co_u32_e32 v9, vcc, s30, v9
	v_subbrev_co_u32_e32 v10, vcc, 0, v10, vcc
	v_cmp_lt_i64_e32 vcc, v[1:2], v[9:10]
	v_cndmask_b32_e32 v4, v6, v4, vcc
	v_cndmask_b32_e32 v3, v5, v3, vcc
	s_waitcnt vmcnt(0)
	v_subrev_co_u32_e32 v5, vcc, s30, v11
	v_subbrev_co_u32_e32 v6, vcc, 0, v12, vcc
	v_cmp_ne_u64_e32 vcc, v[5:6], v[3:4]
	s_and_saveexec_b64 s[2:3], vcc
	s_cbranch_execz .LBB9_29
; %bb.35:                               ;   in Loop: Header=BB9_30 Depth=1
	v_lshlrev_b64 v[9:10], 2, v[1:2]
	v_mov_b32_e32 v12, s21
	v_add_co_u32_e32 v9, vcc, s20, v9
	v_lshlrev_b64 v[3:4], 2, v[3:4]
	v_addc_co_u32_e32 v10, vcc, v12, v10, vcc
	v_lshlrev_b64 v[5:6], 2, v[5:6]
	global_load_dword v9, v[9:10], off
	v_mov_b32_e32 v10, s23
	v_add_co_u32_e32 v3, vcc, s22, v3
	v_addc_co_u32_e32 v4, vcc, v10, v4, vcc
	v_mov_b32_e32 v11, s15
	global_load_dword v10, v[3:4], off
	v_add_co_u32_e32 v3, vcc, s14, v5
	v_addc_co_u32_e32 v4, vcc, v11, v6, vcc
	global_load_dword v6, v[3:4], off
	s_mov_b64 s[34:35], 0
	s_waitcnt vmcnt(2)
	v_mul_f32_e32 v5, s38, v9
	s_waitcnt vmcnt(1)
	v_mul_f32_e32 v9, v5, v10
.LBB9_36:                               ;   Parent Loop BB9_30 Depth=1
                                        ; =>  This Inner Loop Header: Depth=2
	s_waitcnt vmcnt(0)
	v_add_f32_e32 v5, v6, v9
	global_atomic_cmpswap v5, v[3:4], v[5:6], off glc
	s_waitcnt vmcnt(0)
	v_cmp_eq_u32_e32 vcc, v5, v6
	s_or_b64 s[34:35], vcc, s[34:35]
	v_mov_b32_e32 v6, v5
	s_andn2_b64 exec, exec, s[34:35]
	s_cbranch_execnz .LBB9_36
	s_branch .LBB9_29
.LBB9_37:
	s_or_b64 exec, exec, s[8:9]
	s_mov_b64 s[0:1], 0
.LBB9_38:
	s_and_b64 vcc, exec, s[0:1]
	s_cbranch_vccz .LBB9_154
; %bb.39:
	s_load_dword s0, s[4:5], 0x6c
	v_mov_b32_e32 v1, s28
	s_mov_b32 s13, 0
	v_mov_b32_e32 v2, s29
	s_mov_b64 s[36:37], 0
	s_waitcnt lgkmcnt(0)
	s_and_b32 s12, s0, 0xffff
	v_cmp_lt_u64_e32 vcc, s[12:13], v[1:2]
	s_cbranch_vccnz .LBB9_41
; %bb.40:
	v_cvt_f32_u32_e32 v1, s28
	s_sub_i32 s0, 0, s28
	v_rcp_iflag_f32_e32 v1, v1
	v_mul_f32_e32 v1, 0x4f7ffffe, v1
	v_cvt_u32_f32_e32 v1, v1
	v_readfirstlane_b32 s1, v1
	s_mul_i32 s0, s0, s1
	s_mul_hi_u32 s0, s1, s0
	s_add_i32 s1, s1, s0
	s_mul_hi_u32 s0, s12, s1
	s_mul_i32 s2, s0, s28
	s_sub_i32 s2, s12, s2
	s_add_i32 s1, s0, 1
	s_sub_i32 s3, s2, s28
	s_cmp_ge_u32 s2, s28
	s_cselect_b32 s0, s1, s0
	s_cselect_b32 s2, s3, s2
	s_add_i32 s1, s0, 1
	s_cmp_ge_u32 s2, s28
	s_cselect_b32 s36, s1, s0
.LBB9_41:
	s_lshl_b64 s[0:1], s[24:25], 3
	s_add_u32 s34, s16, s0
	s_addc_u32 s35, s17, s1
	s_load_dwordx2 s[6:7], s[34:35], 0x0
	s_load_dwordx4 s[8:11], s[4:5], 0x8
	v_subrev_co_u32_e32 v1, vcc, s30, v0
	v_subb_co_u32_e64 v2, s[0:1], 0, 0, vcc
	s_waitcnt lgkmcnt(0)
	v_mov_b32_e32 v3, s7
	v_add_co_u32_e32 v4, vcc, s6, v1
	v_addc_co_u32_e32 v5, vcc, v3, v2, vcc
	v_add_co_u32_e32 v2, vcc, 0x300, v4
	v_addc_co_u32_e32 v3, vcc, 0, v5, vcc
	v_cmp_le_i64_e64 s[0:1], s[8:9], v[2:3]
	v_mov_b32_e32 v1, 0
	s_and_saveexec_b64 s[2:3], s[0:1]
	s_xor_b64 s[2:3], exec, s[2:3]
	s_cbranch_execnz .LBB9_44
; %bb.42:
	s_andn2_saveexec_b64 s[2:3], s[2:3]
	s_cbranch_execnz .LBB9_48
.LBB9_43:
	s_or_b64 exec, exec, s[2:3]
	v_cmp_gt_i64_e32 vcc, s[10:11], v[0:1]
	s_and_saveexec_b64 s[2:3], vcc
	s_cbranch_execnz .LBB9_49
	s_branch .LBB9_51
.LBB9_44:
	s_lshl_b64 s[4:5], s[26:27], 3
	s_add_u32 s4, s16, s4
	s_addc_u32 s5, s17, s5
	s_load_dwordx2 s[4:5], s[4:5], 0x0
	s_waitcnt lgkmcnt(0)
	s_sub_u32 s4, s4, s6
	s_subb_u32 s5, s5, s7
	v_cmp_gt_i64_e32 vcc, s[4:5], v[0:1]
	s_and_saveexec_b64 s[8:9], vcc
	s_cbranch_execz .LBB9_47
; %bb.45:
	v_lshlrev_b64 v[6:7], 2, v[4:5]
	v_mov_b32_e32 v8, s21
	v_add_co_u32_e32 v6, vcc, s20, v6
	v_addc_co_u32_e32 v7, vcc, v8, v7, vcc
	v_mov_b32_e32 v9, v1
	s_mov_b64 s[40:41], 0
	v_mov_b32_e32 v10, v14
	v_mov_b32_e32 v8, v0
.LBB9_46:                               ; =>This Inner Loop Header: Depth=1
	global_load_dword v11, v[6:7], off
	v_add_co_u32_e32 v6, vcc, 0x400, v6
	v_addc_co_u32_e32 v7, vcc, 0, v7, vcc
	v_add_co_u32_e32 v8, vcc, 0x100, v8
	v_addc_co_u32_e32 v9, vcc, 0, v9, vcc
	v_cmp_le_i64_e32 vcc, s[4:5], v[8:9]
	s_or_b64 s[40:41], vcc, s[40:41]
	s_waitcnt vmcnt(0)
	v_mul_f32_e32 v11, s38, v11
	ds_write_b32 v10, v11
	v_add_u32_e32 v10, 0x400, v10
	s_andn2_b64 exec, exec, s[40:41]
	s_cbranch_execnz .LBB9_46
.LBB9_47:
	s_or_b64 exec, exec, s[8:9]
	s_andn2_saveexec_b64 s[2:3], s[2:3]
	s_cbranch_execz .LBB9_43
.LBB9_48:
	v_lshlrev_b64 v[6:7], 2, v[4:5]
	v_mov_b32_e32 v8, s21
	v_add_co_u32_e32 v6, vcc, s20, v6
	v_addc_co_u32_e32 v7, vcc, v8, v7, vcc
	global_load_dword v8, v[6:7], off
	global_load_dword v9, v[6:7], off offset:1024
	global_load_dword v10, v[6:7], off offset:2048
	;; [unrolled: 1-line block ×3, first 2 shown]
	s_waitcnt vmcnt(3)
	v_mul_f32_e32 v6, s38, v8
	s_waitcnt vmcnt(2)
	v_mul_f32_e32 v7, s38, v9
	;; [unrolled: 2-line block ×4, first 2 shown]
	ds_write2st64_b32 v14, v6, v7 offset1:4
	ds_write2st64_b32 v14, v8, v9 offset0:8 offset1:12
	s_or_b64 exec, exec, s[2:3]
	v_cmp_gt_i64_e32 vcc, s[10:11], v[0:1]
	s_and_saveexec_b64 s[2:3], vcc
	s_cbranch_execz .LBB9_51
.LBB9_49:
	v_mov_b32_e32 v6, 0x1000
	v_lshl_add_u32 v8, v0, 2, v6
	v_mov_b32_e32 v7, v1
	s_mov_b64 s[4:5], 0
	v_mov_b32_e32 v9, 0
	v_mov_b32_e32 v6, v0
.LBB9_50:                               ; =>This Inner Loop Header: Depth=1
	v_add_co_u32_e32 v6, vcc, 0x100, v6
	v_addc_co_u32_e32 v7, vcc, 0, v7, vcc
	v_cmp_le_i64_e32 vcc, s[10:11], v[6:7]
	ds_write_b32 v8, v9
	s_or_b64 s[4:5], vcc, s[4:5]
	v_add_u32_e32 v8, 0x400, v8
	s_andn2_b64 exec, exec, s[4:5]
	s_cbranch_execnz .LBB9_50
.LBB9_51:
	s_or_b64 exec, exec, s[2:3]
	v_mov_b32_e32 v6, s10
	v_mov_b32_e32 v7, s11
	s_sub_u32 s4, s26, s10
	v_cmp_ge_i64_e32 vcc, s[26:27], v[6:7]
	s_subb_u32 s5, s27, s11
	s_and_b64 s[2:3], vcc, exec
	s_cselect_b32 s9, s5, 0
	s_cselect_b32 s8, s4, 0
	s_waitcnt lgkmcnt(0)
	s_barrier
	s_and_saveexec_b64 s[2:3], s[0:1]
	s_xor_b64 s[20:21], exec, s[2:3]
	s_cbranch_execz .LBB9_70
; %bb.52:
	s_lshl_b64 s[0:1], s[26:27], 3
	s_add_u32 s0, s16, s0
	s_addc_u32 s1, s17, s1
	s_load_dwordx2 s[0:1], s[0:1], 0x0
	s_waitcnt lgkmcnt(0)
	s_sub_u32 s38, s0, s6
	s_subb_u32 s39, s1, s7
	v_cmp_gt_i64_e32 vcc, s[38:39], v[0:1]
	s_and_saveexec_b64 s[40:41], vcc
	s_cbranch_execz .LBB9_69
; %bb.53:
	s_add_u32 s42, s26, -1
	s_addc_u32 s43, s27, -1
	s_add_u32 s2, s26, -2
	s_addc_u32 s3, s27, -1
	s_cmp_lg_u64 s[24:25], s[2:3]
	s_cselect_b64 s[2:3], -1, 0
	s_sub_u32 s44, s0, s30
	v_cndmask_b32_e64 v2, 0, 1, s[2:3]
	s_subb_u32 s45, s1, 0
	s_mov_b64 s[46:47], 0
	v_cmp_ne_u32_e64 s[0:1], 1, v2
	v_mov_b32_e32 v12, s17
	v_mov_b32_e32 v13, s19
	;; [unrolled: 1-line block ×3, first 2 shown]
	s_mov_b64 s[48:49], 0
	s_branch .LBB9_56
.LBB9_54:                               ;   in Loop: Header=BB9_56 Depth=1
	s_or_b64 exec, exec, s[2:3]
.LBB9_55:                               ;   in Loop: Header=BB9_56 Depth=1
	s_or_b64 exec, exec, s[4:5]
	v_lshlrev_b64 v[2:3], 2, v[2:3]
	v_mov_b32_e32 v6, s23
	v_add_co_u32_e32 v2, vcc, s22, v2
	v_addc_co_u32_e32 v3, vcc, v6, v3, vcc
	global_load_dword v6, v[2:3], off
	s_add_u32 s48, s48, 0x100
	s_addc_u32 s49, s49, 0
	v_mov_b32_e32 v3, s49
	v_add_co_u32_e32 v2, vcc, s48, v0
	v_addc_co_u32_e32 v3, vcc, 0, v3, vcc
	v_cmp_le_i64_e32 vcc, s[38:39], v[2:3]
	v_lshlrev_b32_e32 v7, 2, v10
	s_or_b64 s[46:47], vcc, s[46:47]
	s_waitcnt vmcnt(0) lgkmcnt(0)
	v_mul_f32_e32 v2, v6, v11
	ds_write_b32 v7, v2
	s_andn2_b64 exec, exec, s[46:47]
	s_cbranch_execz .LBB9_69
.LBB9_56:                               ; =>This Loop Header: Depth=1
                                        ;     Child Loop BB9_58 Depth 2
                                        ;     Child Loop BB9_65 Depth 2
	v_mov_b32_e32 v2, s49
	v_add_co_u32_e32 v6, vcc, s48, v4
	v_addc_co_u32_e32 v7, vcc, v2, v5, vcc
	v_mov_b32_e32 v8, s24
	v_mov_b32_e32 v10, s42
	s_and_b64 vcc, exec, s[0:1]
	v_mov_b32_e32 v9, s25
	v_mov_b32_e32 v11, s43
	s_cbranch_vccnz .LBB9_60
; %bb.57:                               ;   in Loop: Header=BB9_56 Depth=1
	v_mov_b32_e32 v8, s24
	v_mov_b32_e32 v10, s42
	s_mov_b64 s[4:5], 0
	v_mov_b32_e32 v9, s25
	v_mov_b32_e32 v11, s43
.LBB9_58:                               ;   Parent Loop BB9_56 Depth=1
                                        ; =>  This Inner Loop Header: Depth=2
	v_add_co_u32_e32 v2, vcc, v10, v8
	v_addc_co_u32_e32 v3, vcc, v11, v9, vcc
	v_lshrrev_b32_e32 v16, 31, v3
	v_add_co_u32_e32 v2, vcc, v2, v16
	v_addc_co_u32_e32 v3, vcc, 0, v3, vcc
	v_ashrrev_i64 v[2:3], 1, v[2:3]
	v_mov_b32_e32 v18, s17
	v_lshlrev_b64 v[16:17], 3, v[2:3]
	v_add_co_u32_e32 v16, vcc, s16, v16
	v_addc_co_u32_e32 v17, vcc, v18, v17, vcc
	global_load_dwordx2 v[16:17], v[16:17], off
	s_waitcnt vmcnt(0)
	v_subrev_co_u32_e32 v16, vcc, s30, v16
	v_subbrev_co_u32_e32 v17, vcc, 0, v17, vcc
	v_cmp_lt_i64_e32 vcc, v[6:7], v[16:17]
	v_cndmask_b32_e32 v10, v10, v2, vcc
	v_cndmask_b32_e32 v11, v11, v3, vcc
	;; [unrolled: 1-line block ×3, first 2 shown]
	v_add_co_u32_e64 v2, s[2:3], -1, v10
	v_cndmask_b32_e32 v9, v3, v9, vcc
	v_addc_co_u32_e64 v3, s[2:3], -1, v11, s[2:3]
	v_cmp_ge_i64_e32 vcc, v[8:9], v[10:11]
	v_cmp_eq_u64_e64 s[2:3], v[8:9], v[2:3]
	s_or_b64 s[2:3], vcc, s[2:3]
	s_and_b64 s[2:3], exec, s[2:3]
	s_or_b64 s[4:5], s[2:3], s[4:5]
	s_andn2_b64 exec, exec, s[4:5]
	s_cbranch_execnz .LBB9_58
; %bb.59:                               ;   in Loop: Header=BB9_56 Depth=1
	s_or_b64 exec, exec, s[4:5]
.LBB9_60:                               ;   in Loop: Header=BB9_56 Depth=1
	v_lshlrev_b64 v[2:3], 3, v[10:11]
	v_lshlrev_b64 v[16:17], 3, v[6:7]
	v_add_co_u32_e32 v2, vcc, s16, v2
	v_addc_co_u32_e32 v3, vcc, v12, v3, vcc
	global_load_dwordx2 v[2:3], v[2:3], off
	v_add_co_u32_e32 v16, vcc, s18, v16
	v_addc_co_u32_e32 v17, vcc, v13, v17, vcc
	global_load_dwordx2 v[16:17], v[16:17], off
	v_cmp_le_i64_e32 vcc, s[44:45], v[6:7]
	s_waitcnt vmcnt(1)
	v_subrev_co_u32_e64 v18, s[2:3], s30, v2
	v_subbrev_co_u32_e64 v19, s[2:3], 0, v3, s[2:3]
	s_waitcnt vmcnt(0)
	v_subrev_co_u32_e64 v2, s[2:3], s30, v16
	v_subbrev_co_u32_e64 v3, s[2:3], 0, v17, s[2:3]
	v_cmp_lt_i64_e64 s[2:3], v[6:7], v[18:19]
	v_cndmask_b32_e64 v7, v11, v9, s[2:3]
	v_cndmask_b32_e64 v6, v10, v8, s[2:3]
	v_cmp_eq_u64_e64 s[2:3], v[2:3], v[6:7]
	v_add_co_u32_e64 v10, s[4:5], s48, v0
	s_or_b64 s[2:3], s[2:3], vcc
	v_lshlrev_b32_e32 v8, 2, v10
                                        ; implicit-def: $vgpr11
	s_and_saveexec_b64 s[4:5], s[2:3]
	s_xor_b64 s[2:3], exec, s[4:5]
; %bb.61:                               ;   in Loop: Header=BB9_56 Depth=1
	ds_read_b32 v11, v8
                                        ; implicit-def: $vgpr8
                                        ; implicit-def: $vgpr6_vgpr7
; %bb.62:                               ;   in Loop: Header=BB9_56 Depth=1
	s_andn2_saveexec_b64 s[4:5], s[2:3]
	s_cbranch_execz .LBB9_55
; %bb.63:                               ;   in Loop: Header=BB9_56 Depth=1
	v_cmp_gt_i64_e32 vcc, s[8:9], v[2:3]
	v_cmp_le_i64_e64 s[2:3], s[26:27], v[2:3]
	v_lshlrev_b64 v[6:7], 2, v[6:7]
	s_or_b64 s[2:3], vcc, s[2:3]
                                        ; implicit-def: $vgpr11
	s_and_saveexec_b64 s[50:51], s[2:3]
	s_xor_b64 s[2:3], exec, s[50:51]
	s_cbranch_execz .LBB9_67
; %bb.64:                               ;   in Loop: Header=BB9_56 Depth=1
	v_lshlrev_b64 v[16:17], 2, v[2:3]
	s_waitcnt lgkmcnt(0)
	v_mov_b32_e32 v11, s23
	v_add_co_u32_e32 v6, vcc, s22, v6
	v_addc_co_u32_e32 v7, vcc, v11, v7, vcc
	v_mov_b32_e32 v9, s15
	global_load_dword v18, v[6:7], off
	v_add_co_u32_e32 v6, vcc, s14, v16
	v_addc_co_u32_e32 v7, vcc, v9, v17, vcc
	global_load_dword v9, v[6:7], off
	ds_read_b32 v11, v8
	s_mov_b64 s[50:51], 0
	s_waitcnt vmcnt(1) lgkmcnt(0)
	v_mul_f32_e32 v16, v11, v18
.LBB9_65:                               ;   Parent Loop BB9_56 Depth=1
                                        ; =>  This Inner Loop Header: Depth=2
	s_waitcnt vmcnt(0)
	v_add_f32_e32 v8, v9, v16
	global_atomic_cmpswap v8, v[6:7], v[8:9], off glc
	s_waitcnt vmcnt(0)
	v_cmp_eq_u32_e32 vcc, v8, v9
	s_or_b64 s[50:51], vcc, s[50:51]
	v_mov_b32_e32 v9, v8
	s_andn2_b64 exec, exec, s[50:51]
	s_cbranch_execnz .LBB9_65
; %bb.66:                               ;   in Loop: Header=BB9_56 Depth=1
	s_or_b64 exec, exec, s[50:51]
                                        ; implicit-def: $vgpr8
                                        ; implicit-def: $vgpr6_vgpr7
.LBB9_67:                               ;   in Loop: Header=BB9_56 Depth=1
	s_andn2_saveexec_b64 s[2:3], s[2:3]
	s_cbranch_execz .LBB9_54
; %bb.68:                               ;   in Loop: Header=BB9_56 Depth=1
	v_mov_b32_e32 v9, s23
	v_add_co_u32_e32 v6, vcc, s22, v6
	v_addc_co_u32_e32 v7, vcc, v9, v7, vcc
	global_load_dword v6, v[6:7], off
	s_waitcnt lgkmcnt(0)
	ds_read_b32 v11, v8
	v_subrev_u32_e32 v7, s8, v2
	v_lshl_add_u32 v7, v7, 2, v15
	s_waitcnt vmcnt(0) lgkmcnt(0)
	v_mul_f32_e32 v6, v11, v6
	ds_add_f32 v7, v6
	s_branch .LBB9_54
.LBB9_69:
	s_or_b64 exec, exec, s[40:41]
                                        ; implicit-def: $vgpr2_vgpr3
                                        ; implicit-def: $vgpr4
.LBB9_70:
	s_andn2_saveexec_b64 s[4:5], s[20:21]
	s_cbranch_execz .LBB9_120
; %bb.71:
	s_add_u32 s20, s26, -1
	s_addc_u32 s21, s27, -1
	s_add_u32 s0, s26, -2
	s_addc_u32 s1, s27, -1
	s_cmp_lg_u64 s[24:25], s[0:1]
	v_mov_b32_e32 v8, s24
	v_mov_b32_e32 v10, s20
	s_cselect_b64 s[2:3], -1, 0
	s_cmp_eq_u64 s[24:25], s[0:1]
	v_mov_b32_e32 v9, s25
	v_mov_b32_e32 v11, s21
	s_cbranch_scc1 .LBB9_75
; %bb.72:
	v_mov_b32_e32 v8, s24
	v_mov_b32_e32 v10, s20
	s_mov_b64 s[38:39], 0
	v_mov_b32_e32 v9, s25
	v_mov_b32_e32 v11, s21
	;; [unrolled: 1-line block ×3, first 2 shown]
.LBB9_73:                               ; =>This Inner Loop Header: Depth=1
	v_add_co_u32_e32 v7, vcc, v10, v8
	v_addc_co_u32_e32 v13, vcc, v11, v9, vcc
	v_lshrrev_b32_e32 v12, 31, v13
	v_add_co_u32_e32 v12, vcc, v7, v12
	v_addc_co_u32_e32 v13, vcc, 0, v13, vcc
	v_ashrrev_i64 v[12:13], 1, v[12:13]
	v_lshlrev_b64 v[15:16], 3, v[12:13]
	v_add_co_u32_e32 v15, vcc, s16, v15
	v_addc_co_u32_e32 v16, vcc, v6, v16, vcc
	global_load_dwordx2 v[15:16], v[15:16], off
	s_waitcnt vmcnt(0)
	v_subrev_co_u32_e32 v15, vcc, s30, v15
	v_subbrev_co_u32_e32 v16, vcc, 0, v16, vcc
	v_cmp_lt_i64_e32 vcc, v[4:5], v[15:16]
	v_cndmask_b32_e32 v10, v10, v12, vcc
	v_cndmask_b32_e32 v11, v11, v13, vcc
	;; [unrolled: 1-line block ×3, first 2 shown]
	v_add_co_u32_e64 v12, s[0:1], -1, v10
	v_cndmask_b32_e32 v9, v13, v9, vcc
	v_addc_co_u32_e64 v13, s[0:1], -1, v11, s[0:1]
	v_cmp_ge_i64_e32 vcc, v[8:9], v[10:11]
	v_cmp_eq_u64_e64 s[0:1], v[8:9], v[12:13]
	s_or_b64 s[0:1], vcc, s[0:1]
	s_and_b64 s[0:1], exec, s[0:1]
	s_or_b64 s[38:39], s[0:1], s[38:39]
	s_andn2_b64 exec, exec, s[38:39]
	s_cbranch_execnz .LBB9_73
; %bb.74:
	s_or_b64 exec, exec, s[38:39]
.LBB9_75:
	v_lshlrev_b64 v[6:7], 3, v[10:11]
	v_mov_b32_e32 v12, s17
	v_add_co_u32_e32 v6, vcc, s16, v6
	v_addc_co_u32_e32 v7, vcc, v12, v7, vcc
	global_load_dwordx2 v[12:13], v[6:7], off
	v_lshlrev_b64 v[6:7], 3, v[4:5]
	v_mov_b32_e32 v15, s19
	v_add_co_u32_e32 v6, vcc, s18, v6
	v_addc_co_u32_e32 v7, vcc, v15, v7, vcc
	global_load_dwordx2 v[15:16], v[6:7], off
	s_lshl_b64 s[0:1], s[26:27], 3
	s_add_u32 s18, s16, s0
	s_addc_u32 s19, s17, s1
	s_waitcnt vmcnt(1)
	v_subrev_co_u32_e32 v12, vcc, s30, v12
	v_subbrev_co_u32_e32 v13, vcc, 0, v13, vcc
	v_cmp_lt_i64_e32 vcc, v[4:5], v[12:13]
	v_cndmask_b32_e32 v11, v11, v9, vcc
	v_cndmask_b32_e32 v10, v10, v8, vcc
	s_waitcnt vmcnt(0)
	v_subrev_co_u32_e32 v8, vcc, s30, v15
	v_subbrev_co_u32_e32 v9, vcc, 0, v16, vcc
	v_cmp_ne_u64_e32 vcc, v[8:9], v[10:11]
	s_and_saveexec_b64 s[38:39], vcc
	s_cbranch_execz .LBB9_83
; %bb.76:
	s_load_dwordx2 s[0:1], s[18:19], 0x0
	s_waitcnt lgkmcnt(0)
	s_sub_u32 s0, s0, s30
	s_subb_u32 s1, s1, 0
	v_cmp_gt_i64_e32 vcc, s[0:1], v[4:5]
	s_and_b64 exec, exec, vcc
	s_cbranch_execz .LBB9_83
; %bb.77:
	v_cmp_gt_i64_e32 vcc, s[8:9], v[8:9]
	v_cmp_le_i64_e64 s[0:1], s[26:27], v[8:9]
	v_lshlrev_b64 v[10:11], 2, v[10:11]
	s_or_b64 s[0:1], vcc, s[0:1]
	s_and_saveexec_b64 s[40:41], s[0:1]
	s_xor_b64 s[0:1], exec, s[40:41]
	s_cbranch_execz .LBB9_81
; %bb.78:
	v_lshlrev_b64 v[12:13], 2, v[8:9]
	v_mov_b32_e32 v16, s23
	v_add_co_u32_e32 v10, vcc, s22, v10
	v_addc_co_u32_e32 v11, vcc, v16, v11, vcc
	v_mov_b32_e32 v15, s15
	global_load_dword v16, v[10:11], off
	v_add_co_u32_e32 v10, vcc, s14, v12
	v_addc_co_u32_e32 v11, vcc, v15, v13, vcc
	global_load_dword v13, v[10:11], off
	ds_read_b32 v12, v14
	s_mov_b64 s[40:41], 0
	s_waitcnt vmcnt(1) lgkmcnt(0)
	v_mul_f32_e32 v15, v12, v16
.LBB9_79:                               ; =>This Inner Loop Header: Depth=1
	s_waitcnt vmcnt(0)
	v_add_f32_e32 v12, v13, v15
	global_atomic_cmpswap v12, v[10:11], v[12:13], off glc
	s_waitcnt vmcnt(0)
	v_cmp_eq_u32_e32 vcc, v12, v13
	s_or_b64 s[40:41], vcc, s[40:41]
	v_mov_b32_e32 v13, v12
	s_andn2_b64 exec, exec, s[40:41]
	s_cbranch_execnz .LBB9_79
; %bb.80:
	s_or_b64 exec, exec, s[40:41]
                                        ; implicit-def: $vgpr10_vgpr11
.LBB9_81:
	s_andn2_saveexec_b64 s[0:1], s[0:1]
	s_cbranch_execz .LBB9_83
; %bb.82:
	v_mov_b32_e32 v12, s23
	v_add_co_u32_e32 v10, vcc, s22, v10
	v_addc_co_u32_e32 v11, vcc, v12, v11, vcc
	global_load_dword v10, v[10:11], off
	ds_read_b32 v11, v14
	v_subrev_u32_e32 v12, s8, v8
	v_mov_b32_e32 v13, 0x1000
	v_lshl_add_u32 v12, v12, 2, v13
	s_waitcnt vmcnt(0) lgkmcnt(0)
	v_mul_f32_e32 v10, v11, v10
	ds_add_f32 v12, v10
.LBB9_83:
	s_or_b64 exec, exec, s[38:39]
	v_lshlrev_b64 v[8:9], 2, v[8:9]
	v_mov_b32_e32 v10, s23
	v_add_co_u32_e32 v8, vcc, s22, v8
	v_addc_co_u32_e32 v9, vcc, v10, v9, vcc
	global_load_dword v12, v[8:9], off
	ds_read_b32 v13, v14
	v_add_co_u32_e32 v8, vcc, 0x100, v4
	v_cndmask_b32_e64 v15, 0, 1, s[2:3]
	v_mov_b32_e32 v10, s24
	v_addc_co_u32_e32 v9, vcc, 0, v5, vcc
	v_mov_b32_e32 v11, s25
	v_cmp_ne_u32_e64 s[0:1], 1, v15
	s_andn2_b64 vcc, exec, s[2:3]
	s_waitcnt vmcnt(0) lgkmcnt(0)
	v_mul_f32_e32 v12, v12, v13
	ds_write_b32 v14, v12
	v_mov_b32_e32 v12, s20
	v_mov_b32_e32 v13, s21
	s_cbranch_vccnz .LBB9_87
; %bb.84:
	v_mov_b32_e32 v10, s24
	v_mov_b32_e32 v12, s20
	s_mov_b64 s[38:39], 0
	v_mov_b32_e32 v11, s25
	v_mov_b32_e32 v13, s21
	;; [unrolled: 1-line block ×3, first 2 shown]
.LBB9_85:                               ; =>This Inner Loop Header: Depth=1
	v_add_co_u32_e32 v16, vcc, v12, v10
	v_addc_co_u32_e32 v17, vcc, v13, v11, vcc
	v_lshrrev_b32_e32 v18, 31, v17
	v_add_co_u32_e32 v16, vcc, v16, v18
	v_addc_co_u32_e32 v17, vcc, 0, v17, vcc
	v_ashrrev_i64 v[16:17], 1, v[16:17]
	v_lshlrev_b64 v[18:19], 3, v[16:17]
	v_add_co_u32_e32 v18, vcc, s16, v18
	v_addc_co_u32_e32 v19, vcc, v15, v19, vcc
	global_load_dwordx2 v[18:19], v[18:19], off
	s_waitcnt vmcnt(0)
	v_subrev_co_u32_e32 v18, vcc, s30, v18
	v_subbrev_co_u32_e32 v19, vcc, 0, v19, vcc
	v_cmp_lt_i64_e32 vcc, v[8:9], v[18:19]
	v_cndmask_b32_e32 v12, v12, v16, vcc
	v_cndmask_b32_e32 v13, v13, v17, vcc
	;; [unrolled: 1-line block ×3, first 2 shown]
	v_add_co_u32_e64 v16, s[2:3], -1, v12
	v_cndmask_b32_e32 v11, v17, v11, vcc
	v_addc_co_u32_e64 v17, s[2:3], -1, v13, s[2:3]
	v_cmp_ge_i64_e32 vcc, v[10:11], v[12:13]
	v_cmp_eq_u64_e64 s[2:3], v[10:11], v[16:17]
	s_or_b64 s[2:3], vcc, s[2:3]
	s_and_b64 s[2:3], exec, s[2:3]
	s_or_b64 s[38:39], s[2:3], s[38:39]
	s_andn2_b64 exec, exec, s[38:39]
	s_cbranch_execnz .LBB9_85
; %bb.86:
	s_or_b64 exec, exec, s[38:39]
.LBB9_87:
	v_lshlrev_b64 v[15:16], 3, v[12:13]
	v_mov_b32_e32 v17, s17
	v_add_co_u32_e32 v15, vcc, s16, v15
	v_addc_co_u32_e32 v16, vcc, v17, v16, vcc
	global_load_dwordx2 v[17:18], v[15:16], off
	global_load_dwordx2 v[19:20], v[6:7], off offset:2048
	s_waitcnt vmcnt(1)
	v_subrev_co_u32_e32 v15, vcc, s30, v17
	v_subbrev_co_u32_e32 v16, vcc, 0, v18, vcc
	v_cmp_lt_i64_e32 vcc, v[8:9], v[15:16]
	v_cndmask_b32_e32 v13, v13, v11, vcc
	v_cndmask_b32_e32 v12, v12, v10, vcc
	s_waitcnt vmcnt(0)
	v_subrev_co_u32_e32 v10, vcc, s30, v19
	v_subbrev_co_u32_e32 v11, vcc, 0, v20, vcc
	v_cmp_ne_u64_e32 vcc, v[10:11], v[12:13]
	s_and_saveexec_b64 s[38:39], vcc
	s_cbranch_execz .LBB9_95
; %bb.88:
	s_load_dwordx2 s[2:3], s[18:19], 0x0
	s_waitcnt lgkmcnt(0)
	s_sub_u32 s2, s2, s30
	s_subb_u32 s3, s3, 0
	v_cmp_gt_i64_e32 vcc, s[2:3], v[8:9]
	s_and_b64 exec, exec, vcc
	s_cbranch_execz .LBB9_95
; %bb.89:
	v_cmp_gt_i64_e32 vcc, s[8:9], v[10:11]
	v_cmp_le_i64_e64 s[2:3], s[26:27], v[10:11]
	v_lshlrev_b64 v[8:9], 2, v[12:13]
	s_or_b64 s[2:3], vcc, s[2:3]
	s_and_saveexec_b64 s[40:41], s[2:3]
	s_xor_b64 s[2:3], exec, s[40:41]
	s_cbranch_execz .LBB9_93
; %bb.90:
	v_lshlrev_b64 v[12:13], 2, v[10:11]
	v_mov_b32_e32 v16, s23
	v_add_co_u32_e32 v8, vcc, s22, v8
	v_addc_co_u32_e32 v9, vcc, v16, v9, vcc
	v_mov_b32_e32 v15, s15
	global_load_dword v16, v[8:9], off
	v_add_co_u32_e32 v8, vcc, s14, v12
	v_addc_co_u32_e32 v9, vcc, v15, v13, vcc
	global_load_dword v13, v[8:9], off
	ds_read_b32 v12, v14 offset:1024
	s_mov_b64 s[40:41], 0
	s_waitcnt vmcnt(1) lgkmcnt(0)
	v_mul_f32_e32 v15, v12, v16
.LBB9_91:                               ; =>This Inner Loop Header: Depth=1
	s_waitcnt vmcnt(0)
	v_add_f32_e32 v12, v13, v15
	global_atomic_cmpswap v12, v[8:9], v[12:13], off glc
	s_waitcnt vmcnt(0)
	v_cmp_eq_u32_e32 vcc, v12, v13
	s_or_b64 s[40:41], vcc, s[40:41]
	v_mov_b32_e32 v13, v12
	s_andn2_b64 exec, exec, s[40:41]
	s_cbranch_execnz .LBB9_91
; %bb.92:
	s_or_b64 exec, exec, s[40:41]
                                        ; implicit-def: $vgpr8_vgpr9
.LBB9_93:
	s_andn2_saveexec_b64 s[2:3], s[2:3]
	s_cbranch_execz .LBB9_95
; %bb.94:
	v_mov_b32_e32 v12, s23
	v_add_co_u32_e32 v8, vcc, s22, v8
	v_addc_co_u32_e32 v9, vcc, v12, v9, vcc
	global_load_dword v8, v[8:9], off
	ds_read_b32 v9, v14 offset:1024
	v_subrev_u32_e32 v12, s8, v10
	v_mov_b32_e32 v13, 0x1000
	v_lshl_add_u32 v12, v12, 2, v13
	s_waitcnt vmcnt(0) lgkmcnt(0)
	v_mul_f32_e32 v8, v9, v8
	ds_add_f32 v12, v8
.LBB9_95:
	s_or_b64 exec, exec, s[38:39]
	v_lshlrev_b64 v[8:9], 2, v[10:11]
	v_mov_b32_e32 v10, s23
	v_add_co_u32_e32 v8, vcc, s22, v8
	v_addc_co_u32_e32 v9, vcc, v10, v9, vcc
	global_load_dword v10, v[8:9], off
	ds_read_b32 v11, v14 offset:1024
	v_add_co_u32_e32 v4, vcc, 0x200, v4
	v_mov_b32_e32 v8, s24
	v_addc_co_u32_e32 v5, vcc, 0, v5, vcc
	v_mov_b32_e32 v9, s25
	s_and_b64 vcc, exec, s[0:1]
	s_waitcnt vmcnt(0) lgkmcnt(0)
	v_mul_f32_e32 v10, v10, v11
	ds_write_b32 v14, v10 offset:1024
	v_mov_b32_e32 v10, s20
	v_mov_b32_e32 v11, s21
	s_cbranch_vccnz .LBB9_99
; %bb.96:
	v_mov_b32_e32 v8, s24
	v_mov_b32_e32 v10, s20
	s_mov_b64 s[38:39], 0
	v_mov_b32_e32 v9, s25
	v_mov_b32_e32 v11, s21
	;; [unrolled: 1-line block ×3, first 2 shown]
.LBB9_97:                               ; =>This Inner Loop Header: Depth=1
	v_add_co_u32_e32 v13, vcc, v10, v8
	v_addc_co_u32_e32 v16, vcc, v11, v9, vcc
	v_lshrrev_b32_e32 v15, 31, v16
	v_add_co_u32_e32 v15, vcc, v13, v15
	v_addc_co_u32_e32 v16, vcc, 0, v16, vcc
	v_ashrrev_i64 v[15:16], 1, v[15:16]
	v_lshlrev_b64 v[17:18], 3, v[15:16]
	v_add_co_u32_e32 v17, vcc, s16, v17
	v_addc_co_u32_e32 v18, vcc, v12, v18, vcc
	global_load_dwordx2 v[17:18], v[17:18], off
	s_waitcnt vmcnt(0)
	v_subrev_co_u32_e32 v17, vcc, s30, v17
	v_subbrev_co_u32_e32 v18, vcc, 0, v18, vcc
	v_cmp_lt_i64_e32 vcc, v[4:5], v[17:18]
	v_cndmask_b32_e32 v10, v10, v15, vcc
	v_cndmask_b32_e32 v11, v11, v16, vcc
	;; [unrolled: 1-line block ×3, first 2 shown]
	v_add_co_u32_e64 v15, s[2:3], -1, v10
	v_cndmask_b32_e32 v9, v16, v9, vcc
	v_addc_co_u32_e64 v16, s[2:3], -1, v11, s[2:3]
	v_cmp_ge_i64_e32 vcc, v[8:9], v[10:11]
	v_cmp_eq_u64_e64 s[2:3], v[8:9], v[15:16]
	s_or_b64 s[2:3], vcc, s[2:3]
	s_and_b64 s[2:3], exec, s[2:3]
	s_or_b64 s[38:39], s[2:3], s[38:39]
	s_andn2_b64 exec, exec, s[38:39]
	s_cbranch_execnz .LBB9_97
; %bb.98:
	s_or_b64 exec, exec, s[38:39]
.LBB9_99:
	v_lshlrev_b64 v[12:13], 3, v[10:11]
	v_mov_b32_e32 v15, s17
	v_add_co_u32_e32 v12, vcc, s16, v12
	v_addc_co_u32_e32 v13, vcc, v15, v13, vcc
	global_load_dwordx2 v[12:13], v[12:13], off
	v_add_co_u32_e32 v15, vcc, 0x1000, v6
	v_addc_co_u32_e32 v16, vcc, 0, v7, vcc
	global_load_dwordx2 v[15:16], v[15:16], off
	s_waitcnt vmcnt(1)
	v_subrev_co_u32_e32 v12, vcc, s30, v12
	v_subbrev_co_u32_e32 v13, vcc, 0, v13, vcc
	v_cmp_lt_i64_e32 vcc, v[4:5], v[12:13]
	v_cndmask_b32_e32 v11, v11, v9, vcc
	v_cndmask_b32_e32 v10, v10, v8, vcc
	s_waitcnt vmcnt(0)
	v_subrev_co_u32_e32 v8, vcc, s30, v15
	v_subbrev_co_u32_e32 v9, vcc, 0, v16, vcc
	v_cmp_ne_u64_e32 vcc, v[8:9], v[10:11]
	s_and_saveexec_b64 s[38:39], vcc
	s_cbranch_execz .LBB9_107
; %bb.100:
	s_load_dwordx2 s[2:3], s[18:19], 0x0
	s_waitcnt lgkmcnt(0)
	s_sub_u32 s2, s2, s30
	s_subb_u32 s3, s3, 0
	v_cmp_gt_i64_e32 vcc, s[2:3], v[4:5]
	s_and_b64 exec, exec, vcc
	s_cbranch_execz .LBB9_107
; %bb.101:
	v_cmp_gt_i64_e32 vcc, s[8:9], v[8:9]
	v_cmp_le_i64_e64 s[2:3], s[26:27], v[8:9]
	v_lshlrev_b64 v[4:5], 2, v[10:11]
	s_or_b64 s[2:3], vcc, s[2:3]
	s_and_saveexec_b64 s[40:41], s[2:3]
	s_xor_b64 s[2:3], exec, s[40:41]
	s_cbranch_execz .LBB9_105
; %bb.102:
	v_lshlrev_b64 v[10:11], 2, v[8:9]
	v_mov_b32_e32 v13, s23
	v_add_co_u32_e32 v4, vcc, s22, v4
	v_addc_co_u32_e32 v5, vcc, v13, v5, vcc
	v_mov_b32_e32 v12, s15
	global_load_dword v13, v[4:5], off
	v_add_co_u32_e32 v4, vcc, s14, v10
	v_addc_co_u32_e32 v5, vcc, v12, v11, vcc
	global_load_dword v11, v[4:5], off
	ds_read_b32 v10, v14 offset:2048
	s_mov_b64 s[40:41], 0
	s_waitcnt vmcnt(1) lgkmcnt(0)
	v_mul_f32_e32 v12, v10, v13
.LBB9_103:                              ; =>This Inner Loop Header: Depth=1
	s_waitcnt vmcnt(0)
	v_add_f32_e32 v10, v11, v12
	global_atomic_cmpswap v10, v[4:5], v[10:11], off glc
	s_waitcnt vmcnt(0)
	v_cmp_eq_u32_e32 vcc, v10, v11
	s_or_b64 s[40:41], vcc, s[40:41]
	v_mov_b32_e32 v11, v10
	s_andn2_b64 exec, exec, s[40:41]
	s_cbranch_execnz .LBB9_103
; %bb.104:
	s_or_b64 exec, exec, s[40:41]
                                        ; implicit-def: $vgpr4_vgpr5
.LBB9_105:
	s_andn2_saveexec_b64 s[2:3], s[2:3]
	s_cbranch_execz .LBB9_107
; %bb.106:
	v_mov_b32_e32 v10, s23
	v_add_co_u32_e32 v4, vcc, s22, v4
	v_addc_co_u32_e32 v5, vcc, v10, v5, vcc
	global_load_dword v4, v[4:5], off
	ds_read_b32 v5, v14 offset:2048
	v_subrev_u32_e32 v10, s8, v8
	v_mov_b32_e32 v11, 0x1000
	v_lshl_add_u32 v10, v10, 2, v11
	s_waitcnt vmcnt(0) lgkmcnt(0)
	v_mul_f32_e32 v4, v5, v4
	ds_add_f32 v10, v4
.LBB9_107:
	s_or_b64 exec, exec, s[38:39]
	v_lshlrev_b64 v[4:5], 2, v[8:9]
	v_mov_b32_e32 v8, s23
	v_add_co_u32_e32 v4, vcc, s22, v4
	v_addc_co_u32_e32 v5, vcc, v8, v5, vcc
	global_load_dword v8, v[4:5], off
	ds_read_b32 v9, v14 offset:2048
	v_mov_b32_e32 v4, s24
	s_and_b64 vcc, exec, s[0:1]
	v_mov_b32_e32 v5, s25
	s_waitcnt vmcnt(0) lgkmcnt(0)
	v_mul_f32_e32 v8, v8, v9
	ds_write_b32 v14, v8 offset:2048
	v_mov_b32_e32 v8, s20
	v_mov_b32_e32 v9, s21
	s_cbranch_vccnz .LBB9_111
; %bb.108:
	v_mov_b32_e32 v4, s24
	v_mov_b32_e32 v8, s20
	s_mov_b64 s[2:3], 0
	v_mov_b32_e32 v5, s25
	v_mov_b32_e32 v9, s21
	;; [unrolled: 1-line block ×3, first 2 shown]
.LBB9_109:                              ; =>This Inner Loop Header: Depth=1
	v_add_co_u32_e32 v11, vcc, v8, v4
	v_addc_co_u32_e32 v12, vcc, v9, v5, vcc
	v_lshrrev_b32_e32 v13, 31, v12
	v_add_co_u32_e32 v11, vcc, v11, v13
	v_addc_co_u32_e32 v12, vcc, 0, v12, vcc
	v_ashrrev_i64 v[11:12], 1, v[11:12]
	v_lshlrev_b64 v[15:16], 3, v[11:12]
	v_add_co_u32_e32 v15, vcc, s16, v15
	v_addc_co_u32_e32 v16, vcc, v10, v16, vcc
	global_load_dwordx2 v[15:16], v[15:16], off
	s_waitcnt vmcnt(0)
	v_subrev_co_u32_e32 v15, vcc, s30, v15
	v_subbrev_co_u32_e32 v16, vcc, 0, v16, vcc
	v_cmp_lt_i64_e32 vcc, v[2:3], v[15:16]
	v_cndmask_b32_e32 v8, v8, v11, vcc
	v_cndmask_b32_e32 v9, v9, v12, vcc
	;; [unrolled: 1-line block ×3, first 2 shown]
	v_add_co_u32_e64 v11, s[0:1], -1, v8
	v_cndmask_b32_e32 v5, v12, v5, vcc
	v_addc_co_u32_e64 v12, s[0:1], -1, v9, s[0:1]
	v_cmp_ge_i64_e32 vcc, v[4:5], v[8:9]
	v_cmp_eq_u64_e64 s[0:1], v[4:5], v[11:12]
	s_or_b64 s[0:1], vcc, s[0:1]
	s_and_b64 s[0:1], exec, s[0:1]
	s_or_b64 s[2:3], s[0:1], s[2:3]
	s_andn2_b64 exec, exec, s[2:3]
	s_cbranch_execnz .LBB9_109
; %bb.110:
	s_or_b64 exec, exec, s[2:3]
.LBB9_111:
	v_lshlrev_b64 v[10:11], 3, v[8:9]
	v_mov_b32_e32 v12, s17
	v_add_co_u32_e32 v10, vcc, s16, v10
	v_addc_co_u32_e32 v11, vcc, v12, v11, vcc
	global_load_dwordx2 v[10:11], v[10:11], off
	v_add_co_u32_e32 v6, vcc, 0x1000, v6
	v_addc_co_u32_e32 v7, vcc, 0, v7, vcc
	global_load_dwordx2 v[12:13], v[6:7], off offset:2048
	s_waitcnt vmcnt(1)
	v_subrev_co_u32_e32 v6, vcc, s30, v10
	v_subbrev_co_u32_e32 v7, vcc, 0, v11, vcc
	v_cmp_lt_i64_e32 vcc, v[2:3], v[6:7]
	v_cndmask_b32_e32 v7, v9, v5, vcc
	v_cndmask_b32_e32 v6, v8, v4, vcc
	s_waitcnt vmcnt(0)
	v_subrev_co_u32_e32 v4, vcc, s30, v12
	v_subbrev_co_u32_e32 v5, vcc, 0, v13, vcc
	v_cmp_ne_u64_e32 vcc, v[4:5], v[6:7]
	s_and_saveexec_b64 s[2:3], vcc
	s_cbranch_execz .LBB9_119
; %bb.112:
	s_load_dwordx2 s[0:1], s[18:19], 0x0
	s_waitcnt lgkmcnt(0)
	s_sub_u32 s0, s0, s30
	s_subb_u32 s1, s1, 0
	v_cmp_gt_i64_e32 vcc, s[0:1], v[2:3]
	s_and_b64 exec, exec, vcc
	s_cbranch_execz .LBB9_119
; %bb.113:
	v_cmp_gt_i64_e32 vcc, s[8:9], v[4:5]
	v_cmp_le_i64_e64 s[0:1], s[26:27], v[4:5]
	v_lshlrev_b64 v[2:3], 2, v[6:7]
	s_or_b64 s[0:1], vcc, s[0:1]
	s_and_saveexec_b64 s[18:19], s[0:1]
	s_xor_b64 s[0:1], exec, s[18:19]
	s_cbranch_execz .LBB9_117
; %bb.114:
	v_lshlrev_b64 v[6:7], 2, v[4:5]
	v_mov_b32_e32 v9, s23
	v_add_co_u32_e32 v2, vcc, s22, v2
	v_addc_co_u32_e32 v3, vcc, v9, v3, vcc
	v_mov_b32_e32 v8, s15
	global_load_dword v9, v[2:3], off
	v_add_co_u32_e32 v2, vcc, s14, v6
	v_addc_co_u32_e32 v3, vcc, v8, v7, vcc
	global_load_dword v7, v[2:3], off
	ds_read_b32 v6, v14 offset:3072
	s_mov_b64 s[18:19], 0
	s_waitcnt vmcnt(1) lgkmcnt(0)
	v_mul_f32_e32 v8, v6, v9
.LBB9_115:                              ; =>This Inner Loop Header: Depth=1
	s_waitcnt vmcnt(0)
	v_add_f32_e32 v6, v7, v8
	global_atomic_cmpswap v6, v[2:3], v[6:7], off glc
	s_waitcnt vmcnt(0)
	v_cmp_eq_u32_e32 vcc, v6, v7
	s_or_b64 s[18:19], vcc, s[18:19]
	v_mov_b32_e32 v7, v6
	s_andn2_b64 exec, exec, s[18:19]
	s_cbranch_execnz .LBB9_115
; %bb.116:
	s_or_b64 exec, exec, s[18:19]
                                        ; implicit-def: $vgpr2_vgpr3
.LBB9_117:
	s_andn2_saveexec_b64 s[0:1], s[0:1]
	s_cbranch_execz .LBB9_119
; %bb.118:
	v_mov_b32_e32 v6, s23
	v_add_co_u32_e32 v2, vcc, s22, v2
	v_addc_co_u32_e32 v3, vcc, v6, v3, vcc
	global_load_dword v2, v[2:3], off
	ds_read_b32 v3, v14 offset:3072
	v_subrev_u32_e32 v6, s8, v4
	v_mov_b32_e32 v7, 0x1000
	v_lshl_add_u32 v6, v6, 2, v7
	s_waitcnt vmcnt(0) lgkmcnt(0)
	v_mul_f32_e32 v2, v3, v2
	ds_add_f32 v6, v2
.LBB9_119:
	s_or_b64 exec, exec, s[2:3]
	v_lshlrev_b64 v[2:3], 2, v[4:5]
	v_mov_b32_e32 v4, s23
	v_add_co_u32_e32 v2, vcc, s22, v2
	v_addc_co_u32_e32 v3, vcc, v4, v3, vcc
	global_load_dword v2, v[2:3], off
	ds_read_b32 v3, v14 offset:3072
	s_waitcnt vmcnt(0) lgkmcnt(0)
	v_mul_f32_e32 v2, v2, v3
	ds_write_b32 v14, v2 offset:3072
.LBB9_120:
	s_or_b64 exec, exec, s[4:5]
	v_mov_b32_e32 v2, s10
	v_mov_b32_e32 v3, s11
	v_cmp_lt_i64_e32 vcc, s[26:27], v[2:3]
	s_waitcnt lgkmcnt(0)
	s_and_b64 s[0:1], vcc, exec
	s_cselect_b32 s10, s26, s10
	s_cselect_b32 s0, s27, s11
	s_sub_u32 s2, s10, s28
	s_subb_u32 s3, s0, s29
	v_cmp_gt_i64_e32 vcc, s[2:3], v[0:1]
	s_barrier
	s_and_saveexec_b64 s[0:1], vcc
	s_cbranch_execz .LBB9_125
; %bb.121:
	s_lshl_b64 s[4:5], s[8:9], 2
	s_add_u32 s11, s14, s4
	s_addc_u32 s8, s15, s5
	v_mov_b32_e32 v3, v1
	s_mov_b64 s[4:5], 0
	v_mov_b32_e32 v8, s8
	v_mov_b32_e32 v9, 0x1000
	;; [unrolled: 1-line block ×3, first 2 shown]
.LBB9_122:                              ; =>This Loop Header: Depth=1
                                        ;     Child Loop BB9_123 Depth 2
	v_lshlrev_b64 v[4:5], 2, v[2:3]
	v_lshl_add_u32 v6, v2, 2, v9
	v_add_co_u32_e32 v4, vcc, s11, v4
	v_addc_co_u32_e32 v5, vcc, v8, v5, vcc
	global_load_dword v7, v[4:5], off
	ds_read_b32 v10, v6
	s_mov_b64 s[8:9], 0
.LBB9_123:                              ;   Parent Loop BB9_122 Depth=1
                                        ; =>  This Inner Loop Header: Depth=2
	s_waitcnt vmcnt(0) lgkmcnt(0)
	v_add_f32_e32 v6, v7, v10
	global_atomic_cmpswap v6, v[4:5], v[6:7], off glc
	s_waitcnt vmcnt(0)
	v_cmp_eq_u32_e32 vcc, v6, v7
	s_or_b64 s[8:9], vcc, s[8:9]
	v_mov_b32_e32 v7, v6
	s_andn2_b64 exec, exec, s[8:9]
	s_cbranch_execnz .LBB9_123
; %bb.124:                              ;   in Loop: Header=BB9_122 Depth=1
	s_or_b64 exec, exec, s[8:9]
	v_add_co_u32_e32 v2, vcc, 0x100, v2
	v_addc_co_u32_e32 v3, vcc, 0, v3, vcc
	v_cmp_le_i64_e32 vcc, s[2:3], v[2:3]
	s_or_b64 s[4:5], vcc, s[4:5]
	s_andn2_b64 exec, exec, s[4:5]
	s_cbranch_execnz .LBB9_122
.LBB9_125:
	s_or_b64 exec, exec, s[0:1]
	s_add_i32 s0, s36, -1
	s_ashr_i32 s1, s0, 1
	s_or_b32 s0, s1, s0
	s_ashr_i32 s1, s0, 2
	s_or_b32 s0, s1, s0
	;; [unrolled: 2-line block ×5, first 2 shown]
	s_add_i32 s0, s0, 1
	s_ashr_i32 s3, s0, 1
	v_mov_b32_e32 v2, s25
	v_add_co_u32_e32 v6, vcc, s24, v0
	v_addc_co_u32_e32 v7, vcc, 0, v2, vcc
	s_cmp_gt_i32 s3, 1
	s_mov_b64 s[0:1], -1
	s_barrier
	s_cbranch_scc1 .LBB9_136
; %bb.126:
	v_cmp_gt_i64_e32 vcc, s[26:27], v[6:7]
	s_and_saveexec_b64 s[0:1], vcc
	s_cbranch_execz .LBB9_135
; %bb.127:
	s_sub_i32 s4, s10, s26
	s_lshl_b32 s4, s4, 2
	s_add_i32 s13, s4, 0x1000
	s_lshl_b32 s4, s6, 2
	v_mov_b32_e32 v9, v7
	s_sub_i32 s18, 0, s4
	s_mov_b64 s[4:5], 0
	v_mov_b32_e32 v12, s17
	v_mov_b32_e32 v13, s15
	;; [unrolled: 1-line block ×3, first 2 shown]
.LBB9_128:                              ; =>This Loop Header: Depth=1
                                        ;     Child Loop BB9_130 Depth 2
                                        ;     Child Loop BB9_133 Depth 2
	v_lshlrev_b64 v[2:3], 3, v[8:9]
	v_mov_b32_e32 v15, 0
	v_add_co_u32_e32 v2, vcc, s16, v2
	v_addc_co_u32_e32 v3, vcc, v12, v3, vcc
	global_load_dwordx4 v[2:5], v[2:3], off
	s_waitcnt vmcnt(0)
	v_cmp_lt_i64_e32 vcc, v[2:3], v[4:5]
	s_and_saveexec_b64 s[8:9], vcc
	s_cbranch_execz .LBB9_132
; %bb.129:                              ;   in Loop: Header=BB9_128 Depth=1
	v_mov_b32_e32 v10, s7
	v_subrev_co_u32_e32 v4, vcc, s6, v4
	v_subb_co_u32_e32 v5, vcc, v5, v10, vcc
	v_mov_b32_e32 v11, s7
	v_subrev_co_u32_e32 v10, vcc, s6, v2
	v_subb_co_u32_e32 v11, vcc, v3, v11, vcc
	v_lshl_add_u32 v2, v2, 2, s18
	v_mov_b32_e32 v15, 0
	s_mov_b64 s[10:11], 0
.LBB9_130:                              ;   Parent Loop BB9_128 Depth=1
                                        ; =>  This Inner Loop Header: Depth=2
	ds_read_b32 v3, v2
	v_add_co_u32_e32 v10, vcc, 1, v10
	v_addc_co_u32_e32 v11, vcc, 0, v11, vcc
	v_cmp_ge_i64_e32 vcc, v[10:11], v[4:5]
	v_add_u32_e32 v2, 4, v2
	s_or_b64 s[10:11], vcc, s[10:11]
	s_waitcnt lgkmcnt(0)
	v_add_f32_e32 v15, v15, v3
	s_andn2_b64 exec, exec, s[10:11]
	s_cbranch_execnz .LBB9_130
; %bb.131:                              ;   in Loop: Header=BB9_128 Depth=1
	s_or_b64 exec, exec, s[10:11]
.LBB9_132:                              ;   in Loop: Header=BB9_128 Depth=1
	s_or_b64 exec, exec, s[8:9]
	v_lshlrev_b64 v[2:3], 2, v[8:9]
	v_lshl_add_u32 v4, v8, 2, s13
	v_add_co_u32_e32 v2, vcc, s14, v2
	v_addc_co_u32_e32 v3, vcc, v13, v3, vcc
	global_load_dword v5, v[2:3], off
	ds_read_b32 v4, v4
	s_mov_b64 s[8:9], 0
	s_waitcnt lgkmcnt(0)
	v_add_f32_e32 v10, v15, v4
.LBB9_133:                              ;   Parent Loop BB9_128 Depth=1
                                        ; =>  This Inner Loop Header: Depth=2
	s_waitcnt vmcnt(0)
	v_add_f32_e32 v4, v5, v10
	global_atomic_cmpswap v4, v[2:3], v[4:5], off glc
	s_waitcnt vmcnt(0)
	v_cmp_eq_u32_e32 vcc, v4, v5
	s_or_b64 s[8:9], vcc, s[8:9]
	v_mov_b32_e32 v5, v4
	s_andn2_b64 exec, exec, s[8:9]
	s_cbranch_execnz .LBB9_133
; %bb.134:                              ;   in Loop: Header=BB9_128 Depth=1
	s_or_b64 exec, exec, s[8:9]
	v_add_co_u32_e32 v8, vcc, s12, v8
	v_addc_co_u32_e32 v9, vcc, 0, v9, vcc
	v_cmp_le_i64_e32 vcc, s[26:27], v[8:9]
	s_or_b64 s[4:5], vcc, s[4:5]
	s_andn2_b64 exec, exec, s[4:5]
	s_cbranch_execnz .LBB9_128
.LBB9_135:
	s_or_b64 exec, exec, s[0:1]
	s_mov_b64 s[0:1], 0
.LBB9_136:
	s_andn2_b64 vcc, exec, s[0:1]
	s_cbranch_vccnz .LBB9_154
; %bb.137:
	v_cvt_f32_u32_e32 v2, s3
	s_sub_i32 s8, 0, s3
	v_mov_b32_e32 v5, 0
	v_mov_b32_e32 v8, s35
	v_rcp_iflag_f32_e32 v2, v2
	v_mov_b32_e32 v13, s7
	v_mul_f32_e32 v2, 0x4f7ffffe, v2
	v_cvt_u32_f32_e32 v2, v2
	v_mul_lo_u32 v3, s8, v2
	v_mul_hi_u32 v3, v2, v3
	v_add_u32_e32 v2, v2, v3
	v_mul_hi_u32 v2, v0, v2
	v_mul_lo_u32 v3, v2, s3
	v_add_u32_e32 v4, 1, v2
	v_sub_u32_e32 v3, v0, v3
	v_cmp_le_u32_e32 vcc, s3, v3
	v_cndmask_b32_e32 v2, v2, v4, vcc
	v_subrev_u32_e32 v4, s3, v3
	v_cndmask_b32_e32 v3, v3, v4, vcc
	v_add_u32_e32 v4, 1, v2
	v_cmp_le_u32_e32 vcc, s3, v3
	v_cndmask_b32_e32 v4, v2, v4, vcc
	v_lshlrev_b64 v[2:3], 3, v[4:5]
	v_add_co_u32_e32 v2, vcc, s34, v2
	v_addc_co_u32_e32 v3, vcc, v8, v3, vcc
	global_load_dwordx4 v[8:11], v[2:3], off
	v_mov_b32_e32 v3, s7
	s_waitcnt vmcnt(0)
	v_subrev_co_u32_e32 v2, vcc, s6, v8
	v_subb_co_u32_e32 v3, vcc, v9, v3, vcc
	v_subrev_co_u32_e32 v12, vcc, s6, v10
	v_subb_co_u32_e32 v13, vcc, v11, v13, vcc
	v_sub_co_u32_e32 v11, vcc, v12, v2
	v_subb_co_u32_e32 v10, vcc, v13, v3, vcc
	v_mov_b32_e32 v9, v5
	v_cmp_ne_u64_e32 vcc, 0, v[9:10]
                                        ; implicit-def: $vgpr8_vgpr9
	s_and_saveexec_b64 s[0:1], vcc
	s_xor_b64 s[4:5], exec, s[0:1]
	s_cbranch_execz .LBB9_139
; %bb.138:
	s_add_u32 s0, s3, 0
	s_addc_u32 s1, 0, 0
	s_xor_b64 s[6:7], s[0:1], 0
	v_cvt_f32_u32_e32 v8, s6
	v_cvt_f32_u32_e32 v9, s7
	s_sub_u32 s9, 0, s6
	s_subb_u32 s10, 0, s7
	v_ashrrev_i32_e32 v15, 31, v10
	v_madmk_f32 v8, v9, 0x4f800000, v8
	v_rcp_f32_e32 v8, v8
	v_mul_f32_e32 v8, 0x5f7ffffc, v8
	v_mul_f32_e32 v9, 0x2f800000, v8
	v_trunc_f32_e32 v9, v9
	v_madmk_f32 v8, v9, 0xcf800000, v8
	v_cvt_u32_f32_e32 v9, v9
	v_cvt_u32_f32_e32 v8, v8
	v_readfirstlane_b32 s11, v9
	v_readfirstlane_b32 s0, v8
	s_mul_i32 s1, s9, s11
	s_mul_hi_u32 s13, s9, s0
	s_mul_i32 s12, s10, s0
	s_add_i32 s1, s13, s1
	s_mul_i32 s16, s9, s0
	s_add_i32 s1, s1, s12
	s_mul_i32 s13, s0, s1
	s_mul_hi_u32 s17, s0, s16
	s_mul_hi_u32 s12, s0, s1
	s_add_u32 s13, s17, s13
	s_addc_u32 s12, 0, s12
	s_mul_hi_u32 s18, s11, s16
	s_mul_i32 s16, s11, s16
	s_add_u32 s13, s13, s16
	s_mul_hi_u32 s17, s11, s1
	s_addc_u32 s12, s12, s18
	s_addc_u32 s13, s17, 0
	s_mul_i32 s1, s11, s1
	s_add_u32 s1, s12, s1
	s_addc_u32 s12, 0, s13
	s_add_u32 s13, s0, s1
	s_cselect_b64 s[0:1], -1, 0
	s_cmp_lg_u64 s[0:1], 0
	s_addc_u32 s11, s11, s12
	s_mul_i32 s0, s9, s11
	s_mul_hi_u32 s1, s9, s13
	s_add_i32 s0, s1, s0
	s_mul_i32 s10, s10, s13
	s_add_i32 s0, s0, s10
	s_mul_i32 s9, s9, s13
	s_mul_hi_u32 s10, s11, s9
	s_mul_i32 s12, s11, s9
	s_mul_i32 s17, s13, s0
	s_mul_hi_u32 s9, s13, s9
	s_mul_hi_u32 s16, s13, s0
	s_add_u32 s9, s9, s17
	s_addc_u32 s16, 0, s16
	s_add_u32 s9, s9, s12
	s_mul_hi_u32 s1, s11, s0
	s_addc_u32 s9, s16, s10
	s_addc_u32 s1, s1, 0
	s_mul_i32 s0, s11, s0
	s_add_u32 s0, s9, s0
	s_addc_u32 s9, 0, s1
	s_add_u32 s10, s13, s0
	s_cselect_b64 s[0:1], -1, 0
	s_cmp_lg_u64 s[0:1], 0
	v_add_co_u32_e32 v8, vcc, v11, v15
	s_addc_u32 s9, s11, s9
	v_xor_b32_e32 v16, v8, v15
	v_mad_u64_u32 v[8:9], s[0:1], v16, s9, 0
	v_mul_hi_u32 v11, v16, s10
	v_addc_co_u32_e32 v10, vcc, v10, v15, vcc
	v_xor_b32_e32 v17, v10, v15
	v_add_co_u32_e32 v18, vcc, v11, v8
	v_addc_co_u32_e32 v19, vcc, 0, v9, vcc
	v_mad_u64_u32 v[8:9], s[0:1], v17, s10, 0
	v_mad_u64_u32 v[10:11], s[0:1], v17, s9, 0
	v_add_co_u32_e32 v8, vcc, v18, v8
	v_addc_co_u32_e32 v8, vcc, v19, v9, vcc
	v_addc_co_u32_e32 v9, vcc, 0, v11, vcc
	v_add_co_u32_e32 v10, vcc, v8, v10
	v_addc_co_u32_e32 v11, vcc, 0, v9, vcc
	v_mul_lo_u32 v18, s7, v10
	v_mul_lo_u32 v19, s6, v11
	v_mad_u64_u32 v[8:9], s[0:1], s6, v10, 0
	v_add3_u32 v9, v9, v19, v18
	v_sub_u32_e32 v18, v17, v9
	v_mov_b32_e32 v19, s7
	v_sub_co_u32_e32 v8, vcc, v16, v8
	v_subb_co_u32_e64 v16, s[0:1], v18, v19, vcc
	v_subrev_co_u32_e64 v18, s[0:1], s6, v8
	v_subbrev_co_u32_e64 v16, s[0:1], 0, v16, s[0:1]
	v_cmp_le_u32_e64 s[0:1], s7, v16
	v_cndmask_b32_e64 v19, 0, -1, s[0:1]
	v_cmp_le_u32_e64 s[0:1], s6, v18
	v_cndmask_b32_e64 v18, 0, -1, s[0:1]
	v_cmp_eq_u32_e64 s[0:1], s7, v16
	v_cndmask_b32_e64 v16, v19, v18, s[0:1]
	v_add_co_u32_e64 v18, s[0:1], 2, v10
	v_subb_co_u32_e32 v9, vcc, v17, v9, vcc
	v_addc_co_u32_e64 v19, s[0:1], 0, v11, s[0:1]
	v_cmp_le_u32_e32 vcc, s7, v9
	v_add_co_u32_e64 v20, s[0:1], 1, v10
	v_cndmask_b32_e64 v17, 0, -1, vcc
	v_cmp_le_u32_e32 vcc, s6, v8
	v_addc_co_u32_e64 v21, s[0:1], 0, v11, s[0:1]
	v_cndmask_b32_e64 v8, 0, -1, vcc
	v_cmp_eq_u32_e32 vcc, s7, v9
	v_cmp_ne_u32_e64 s[0:1], 0, v16
	v_cndmask_b32_e32 v8, v17, v8, vcc
	v_cndmask_b32_e64 v16, v21, v19, s[0:1]
	v_cmp_ne_u32_e32 vcc, 0, v8
	v_cndmask_b32_e64 v9, v20, v18, s[0:1]
	v_cndmask_b32_e32 v8, v11, v16, vcc
	v_cndmask_b32_e32 v9, v10, v9, vcc
	v_xor_b32_e32 v10, v8, v15
	v_xor_b32_e32 v8, v9, v15
	v_sub_co_u32_e32 v8, vcc, v8, v15
	v_subb_co_u32_e32 v9, vcc, v10, v15, vcc
                                        ; implicit-def: $vgpr11
.LBB9_139:
	s_andn2_saveexec_b64 s[0:1], s[4:5]
	s_cbranch_execz .LBB9_141
; %bb.140:
	v_cvt_f32_u32_e32 v8, s3
	v_rcp_iflag_f32_e32 v8, v8
	v_mul_f32_e32 v8, 0x4f7ffffe, v8
	v_cvt_u32_f32_e32 v8, v8
	v_mul_lo_u32 v9, s8, v8
	v_mul_hi_u32 v9, v8, v9
	v_add_u32_e32 v8, v8, v9
	v_mul_hi_u32 v8, v11, v8
	v_mul_lo_u32 v9, v8, s3
	v_add_u32_e32 v10, 1, v8
	v_sub_u32_e32 v9, v11, v9
	v_subrev_u32_e32 v11, s3, v9
	v_cmp_le_u32_e32 vcc, s3, v9
	v_cndmask_b32_e32 v9, v9, v11, vcc
	v_cndmask_b32_e32 v8, v8, v10, vcc
	v_add_u32_e32 v10, 1, v8
	v_cmp_le_u32_e32 vcc, s3, v9
	v_cndmask_b32_e32 v8, v8, v10, vcc
	v_mov_b32_e32 v9, 0
.LBB9_141:
	s_or_b64 exec, exec, s[0:1]
	v_cmp_gt_i64_e32 vcc, s[28:29], v[4:5]
	v_mov_b32_e32 v15, 0
	s_and_saveexec_b64 s[0:1], vcc
	s_cbranch_execz .LBB9_149
; %bb.142:
	s_add_i32 s4, s3, -1
	v_and_b32_e32 v4, s4, v0
	v_cmp_lt_i64_e32 vcc, 0, v[8:9]
	s_mov_b64 s[4:5], 0
	v_mov_b32_e32 v15, 0
	v_lshlrev_b32_e32 v16, 2, v4
	s_and_saveexec_b64 s[6:7], vcc
	s_cbranch_execz .LBB9_146
; %bb.143:
	v_mov_b32_e32 v11, v9
	v_lshl_add_u32 v5, v2, 2, v16
	s_lshl_b32 s8, s3, 2
	v_mov_b32_e32 v15, 0
	v_mov_b32_e32 v10, v8
.LBB9_144:                              ; =>This Inner Loop Header: Depth=1
	ds_read_b32 v17, v5
	v_add_co_u32_e32 v10, vcc, -1, v10
	v_addc_co_u32_e32 v11, vcc, -1, v11, vcc
	v_cmp_eq_u64_e32 vcc, 0, v[10:11]
	v_add_u32_e32 v5, s8, v5
	s_or_b64 s[4:5], vcc, s[4:5]
	s_waitcnt lgkmcnt(0)
	v_add_f32_e32 v15, v15, v17
	s_andn2_b64 exec, exec, s[4:5]
	s_cbranch_execnz .LBB9_144
; %bb.145:
	s_or_b64 exec, exec, s[4:5]
.LBB9_146:
	s_or_b64 exec, exec, s[6:7]
	v_mad_u64_u32 v[2:3], s[4:5], v8, s3, v[2:3]
	v_mov_b32_e32 v5, 0
	v_mad_u64_u32 v[8:9], s[4:5], v9, s3, v[3:4]
	v_sub_co_u32_e32 v9, vcc, v12, v2
	v_subb_co_u32_e32 v10, vcc, v13, v8, vcc
	v_cmp_gt_i64_e32 vcc, v[9:10], v[4:5]
	s_and_saveexec_b64 s[4:5], vcc
	s_cbranch_execz .LBB9_148
; %bb.147:
	v_lshl_add_u32 v2, v2, 2, v16
	ds_read_b32 v2, v2
	s_waitcnt lgkmcnt(0)
	v_add_f32_e32 v15, v15, v2
.LBB9_148:
	s_or_b64 exec, exec, s[4:5]
.LBB9_149:
	s_or_b64 exec, exec, s[0:1]
	v_cmp_gt_i64_e32 vcc, s[28:29], v[0:1]
	s_barrier
	ds_write_b32 v14, v15
	s_waitcnt lgkmcnt(0)
	s_barrier
	s_and_saveexec_b64 s[0:1], vcc
	s_cbranch_execz .LBB9_154
; %bb.150:
	v_mul_lo_u32 v1, s3, v0
	v_mov_b32_e32 v3, 0
	v_lshlrev_b32_e32 v1, 2, v1
.LBB9_151:                              ; =>This Inner Loop Header: Depth=1
	ds_read_b32 v2, v1
	s_add_i32 s3, s3, -1
	v_add_u32_e32 v1, 4, v1
	s_cmp_eq_u32 s3, 0
	s_waitcnt lgkmcnt(0)
	v_add_f32_e32 v3, v3, v2
	s_cbranch_scc0 .LBB9_151
; %bb.152:
	v_lshlrev_b64 v[1:2], 2, v[6:7]
	v_mov_b32_e32 v4, s15
	v_add_co_u32_e32 v1, vcc, s14, v1
	v_addc_co_u32_e32 v2, vcc, v4, v2, vcc
	global_load_dword v4, v[1:2], off
	s_lshl_b32 s0, s2, 2
	s_addk_i32 s0, 0x1000
	v_lshl_add_u32 v0, v0, 2, s0
	ds_read_b32 v0, v0
	s_mov_b64 s[0:1], 0
	s_waitcnt lgkmcnt(0)
	v_add_f32_e32 v0, v3, v0
.LBB9_153:                              ; =>This Inner Loop Header: Depth=1
	s_waitcnt vmcnt(0)
	v_add_f32_e32 v3, v4, v0
	global_atomic_cmpswap v3, v[1:2], v[3:4], off glc
	s_waitcnt vmcnt(0)
	v_cmp_eq_u32_e32 vcc, v3, v4
	s_or_b64 s[0:1], vcc, s[0:1]
	v_mov_b32_e32 v4, v3
	s_andn2_b64 exec, exec, s[0:1]
	s_cbranch_execnz .LBB9_153
.LBB9_154:
	s_endpgm
	.section	.rodata,"a",@progbits
	.p2align	6, 0x0
	.amdhsa_kernel _ZN9rocsparseL27csrmvn_symm_adaptive_kernelIllffffEEvbT_S1_PKS1_NS_24const_host_device_scalarIT4_EES3_PKT0_PKT1_PKT2_S6_PT3_21rocsparse_index_base_b
		.amdhsa_group_segment_fixed_size 4096
		.amdhsa_private_segment_fixed_size 0
		.amdhsa_kernarg_size 352
		.amdhsa_user_sgpr_count 6
		.amdhsa_user_sgpr_private_segment_buffer 1
		.amdhsa_user_sgpr_dispatch_ptr 0
		.amdhsa_user_sgpr_queue_ptr 0
		.amdhsa_user_sgpr_kernarg_segment_ptr 1
		.amdhsa_user_sgpr_dispatch_id 0
		.amdhsa_user_sgpr_flat_scratch_init 0
		.amdhsa_user_sgpr_private_segment_size 0
		.amdhsa_uses_dynamic_stack 0
		.amdhsa_system_sgpr_private_segment_wavefront_offset 0
		.amdhsa_system_sgpr_workgroup_id_x 1
		.amdhsa_system_sgpr_workgroup_id_y 0
		.amdhsa_system_sgpr_workgroup_id_z 0
		.amdhsa_system_sgpr_workgroup_info 0
		.amdhsa_system_vgpr_workitem_id 0
		.amdhsa_next_free_vgpr 22
		.amdhsa_next_free_sgpr 52
		.amdhsa_reserve_vcc 1
		.amdhsa_reserve_flat_scratch 0
		.amdhsa_float_round_mode_32 0
		.amdhsa_float_round_mode_16_64 0
		.amdhsa_float_denorm_mode_32 3
		.amdhsa_float_denorm_mode_16_64 3
		.amdhsa_dx10_clamp 1
		.amdhsa_ieee_mode 1
		.amdhsa_fp16_overflow 0
		.amdhsa_exception_fp_ieee_invalid_op 0
		.amdhsa_exception_fp_denorm_src 0
		.amdhsa_exception_fp_ieee_div_zero 0
		.amdhsa_exception_fp_ieee_overflow 0
		.amdhsa_exception_fp_ieee_underflow 0
		.amdhsa_exception_fp_ieee_inexact 0
		.amdhsa_exception_int_div_zero 0
	.end_amdhsa_kernel
	.section	.text._ZN9rocsparseL27csrmvn_symm_adaptive_kernelIllffffEEvbT_S1_PKS1_NS_24const_host_device_scalarIT4_EES3_PKT0_PKT1_PKT2_S6_PT3_21rocsparse_index_base_b,"axG",@progbits,_ZN9rocsparseL27csrmvn_symm_adaptive_kernelIllffffEEvbT_S1_PKS1_NS_24const_host_device_scalarIT4_EES3_PKT0_PKT1_PKT2_S6_PT3_21rocsparse_index_base_b,comdat
.Lfunc_end9:
	.size	_ZN9rocsparseL27csrmvn_symm_adaptive_kernelIllffffEEvbT_S1_PKS1_NS_24const_host_device_scalarIT4_EES3_PKT0_PKT1_PKT2_S6_PT3_21rocsparse_index_base_b, .Lfunc_end9-_ZN9rocsparseL27csrmvn_symm_adaptive_kernelIllffffEEvbT_S1_PKS1_NS_24const_host_device_scalarIT4_EES3_PKT0_PKT1_PKT2_S6_PT3_21rocsparse_index_base_b
                                        ; -- End function
	.set _ZN9rocsparseL27csrmvn_symm_adaptive_kernelIllffffEEvbT_S1_PKS1_NS_24const_host_device_scalarIT4_EES3_PKT0_PKT1_PKT2_S6_PT3_21rocsparse_index_base_b.num_vgpr, 22
	.set _ZN9rocsparseL27csrmvn_symm_adaptive_kernelIllffffEEvbT_S1_PKS1_NS_24const_host_device_scalarIT4_EES3_PKT0_PKT1_PKT2_S6_PT3_21rocsparse_index_base_b.num_agpr, 0
	.set _ZN9rocsparseL27csrmvn_symm_adaptive_kernelIllffffEEvbT_S1_PKS1_NS_24const_host_device_scalarIT4_EES3_PKT0_PKT1_PKT2_S6_PT3_21rocsparse_index_base_b.numbered_sgpr, 52
	.set _ZN9rocsparseL27csrmvn_symm_adaptive_kernelIllffffEEvbT_S1_PKS1_NS_24const_host_device_scalarIT4_EES3_PKT0_PKT1_PKT2_S6_PT3_21rocsparse_index_base_b.num_named_barrier, 0
	.set _ZN9rocsparseL27csrmvn_symm_adaptive_kernelIllffffEEvbT_S1_PKS1_NS_24const_host_device_scalarIT4_EES3_PKT0_PKT1_PKT2_S6_PT3_21rocsparse_index_base_b.private_seg_size, 0
	.set _ZN9rocsparseL27csrmvn_symm_adaptive_kernelIllffffEEvbT_S1_PKS1_NS_24const_host_device_scalarIT4_EES3_PKT0_PKT1_PKT2_S6_PT3_21rocsparse_index_base_b.uses_vcc, 1
	.set _ZN9rocsparseL27csrmvn_symm_adaptive_kernelIllffffEEvbT_S1_PKS1_NS_24const_host_device_scalarIT4_EES3_PKT0_PKT1_PKT2_S6_PT3_21rocsparse_index_base_b.uses_flat_scratch, 0
	.set _ZN9rocsparseL27csrmvn_symm_adaptive_kernelIllffffEEvbT_S1_PKS1_NS_24const_host_device_scalarIT4_EES3_PKT0_PKT1_PKT2_S6_PT3_21rocsparse_index_base_b.has_dyn_sized_stack, 0
	.set _ZN9rocsparseL27csrmvn_symm_adaptive_kernelIllffffEEvbT_S1_PKS1_NS_24const_host_device_scalarIT4_EES3_PKT0_PKT1_PKT2_S6_PT3_21rocsparse_index_base_b.has_recursion, 0
	.set _ZN9rocsparseL27csrmvn_symm_adaptive_kernelIllffffEEvbT_S1_PKS1_NS_24const_host_device_scalarIT4_EES3_PKT0_PKT1_PKT2_S6_PT3_21rocsparse_index_base_b.has_indirect_call, 0
	.section	.AMDGPU.csdata,"",@progbits
; Kernel info:
; codeLenInByte = 7456
; TotalNumSgprs: 56
; NumVgprs: 22
; ScratchSize: 0
; MemoryBound: 0
; FloatMode: 240
; IeeeMode: 1
; LDSByteSize: 4096 bytes/workgroup (compile time only)
; SGPRBlocks: 6
; VGPRBlocks: 5
; NumSGPRsForWavesPerEU: 56
; NumVGPRsForWavesPerEU: 22
; Occupancy: 10
; WaveLimiterHint : 1
; COMPUTE_PGM_RSRC2:SCRATCH_EN: 0
; COMPUTE_PGM_RSRC2:USER_SGPR: 6
; COMPUTE_PGM_RSRC2:TRAP_HANDLER: 0
; COMPUTE_PGM_RSRC2:TGID_X_EN: 1
; COMPUTE_PGM_RSRC2:TGID_Y_EN: 0
; COMPUTE_PGM_RSRC2:TGID_Z_EN: 0
; COMPUTE_PGM_RSRC2:TIDIG_COMP_CNT: 0
	.section	.text._ZL33csrmvn_symm_large_adaptive_kernelIllffffEvbT_PKS0_N9rocsparse24const_host_device_scalarIT4_EES2_PKT0_PKT1_PKT2_S6_PT3_21rocsparse_index_base_b,"axG",@progbits,_ZL33csrmvn_symm_large_adaptive_kernelIllffffEvbT_PKS0_N9rocsparse24const_host_device_scalarIT4_EES2_PKT0_PKT1_PKT2_S6_PT3_21rocsparse_index_base_b,comdat
	.globl	_ZL33csrmvn_symm_large_adaptive_kernelIllffffEvbT_PKS0_N9rocsparse24const_host_device_scalarIT4_EES2_PKT0_PKT1_PKT2_S6_PT3_21rocsparse_index_base_b ; -- Begin function _ZL33csrmvn_symm_large_adaptive_kernelIllffffEvbT_PKS0_N9rocsparse24const_host_device_scalarIT4_EES2_PKT0_PKT1_PKT2_S6_PT3_21rocsparse_index_base_b
	.p2align	8
	.type	_ZL33csrmvn_symm_large_adaptive_kernelIllffffEvbT_PKS0_N9rocsparse24const_host_device_scalarIT4_EES2_PKT0_PKT1_PKT2_S6_PT3_21rocsparse_index_base_b,@function
_ZL33csrmvn_symm_large_adaptive_kernelIllffffEvbT_PKS0_N9rocsparse24const_host_device_scalarIT4_EES2_PKT0_PKT1_PKT2_S6_PT3_21rocsparse_index_base_b: ; @_ZL33csrmvn_symm_large_adaptive_kernelIllffffEvbT_PKS0_N9rocsparse24const_host_device_scalarIT4_EES2_PKT0_PKT1_PKT2_S6_PT3_21rocsparse_index_base_b
; %bb.0:
	s_load_dwordx2 s[24:25], s[4:5], 0x50
	s_load_dwordx2 s[26:27], s[4:5], 0x18
	;; [unrolled: 1-line block ×3, first 2 shown]
	s_waitcnt lgkmcnt(0)
	s_bitcmp1_b32 s25, 0
	s_cselect_b64 s[8:9], -1, 0
	s_xor_b64 s[2:3], s[8:9], -1
	s_and_b64 vcc, exec, s[8:9]
	s_cbranch_vccnz .LBB10_2
; %bb.1:
	s_load_dword s26, s[26:27], 0x0
.LBB10_2:
	s_andn2_b64 vcc, exec, s[2:3]
	s_cbranch_vccnz .LBB10_4
; %bb.3:
	s_load_dword s0, s[0:1], 0x0
.LBB10_4:
	s_waitcnt lgkmcnt(0)
	v_cmp_neq_f32_e64 s[2:3], s26, 0
	v_cmp_neq_f32_e64 s[0:1], s0, 1.0
	s_or_b64 s[0:1], s[2:3], s[0:1]
	s_andn2_b64 vcc, exec, s[0:1]
	s_cbranch_vccnz .LBB10_36
; %bb.5:
	s_load_dwordx2 s[0:1], s[4:5], 0x10
	s_ashr_i32 s7, s6, 31
	s_lshl_b64 s[2:3], s[6:7], 3
	v_lshlrev_b32_e32 v8, 2, v0
	v_mov_b32_e32 v9, 0
	s_waitcnt lgkmcnt(0)
	s_add_u32 s0, s0, s2
	s_addc_u32 s1, s1, s3
	ds_write2st64_b32 v8, v9, v9 offset1:4
	ds_write2st64_b32 v8, v9, v9 offset0:8 offset1:12
	s_waitcnt lgkmcnt(0)
	s_barrier
	s_load_dwordx4 s[20:23], s[0:1], 0x0
	s_load_dwordx8 s[12:19], s[4:5], 0x20
	s_load_dwordx2 s[28:29], s[4:5], 0x48
	v_subrev_co_u32_e64 v10, s[0:1], s24, v0
	s_waitcnt lgkmcnt(0)
	v_mov_b32_e32 v1, s22
	v_mov_b32_e32 v2, s23
	v_cmp_ge_i64_e32 vcc, s[20:21], v[1:2]
	v_subb_co_u32_e64 v11, s[0:1], 0, 0, s[0:1]
	s_cbranch_vccnz .LBB10_26
; %bb.6:
	s_movk_i32 s25, 0x100
	v_cmp_gt_u32_e64 s[0:1], s25, v0
	v_cmp_gt_u32_e64 s[2:3], 64, v0
	v_cmp_gt_u32_e64 s[4:5], 16, v0
	v_cmp_gt_u32_e64 s[6:7], 4, v0
	v_cmp_eq_u32_e64 s[8:9], 0, v0
	v_mov_b32_e32 v0, s22
	v_mov_b32_e32 v1, s23
	s_mov_b64 s[30:31], s[20:21]
	s_branch .LBB10_8
.LBB10_7:                               ;   in Loop: Header=BB10_8 Depth=1
	s_or_b64 exec, exec, s[10:11]
	s_add_u32 s30, s30, 1
	s_addc_u32 s31, s31, 0
	v_cmp_ge_i64_e32 vcc, s[30:31], v[0:1]
	s_cbranch_vccnz .LBB10_26
.LBB10_8:                               ; =>This Loop Header: Depth=1
                                        ;     Child Loop BB10_10 Depth 2
                                        ;     Child Loop BB10_25 Depth 2
	s_lshl_b64 s[10:11], s[30:31], 3
	s_add_u32 s10, s12, s10
	s_addc_u32 s11, s13, s11
	s_load_dwordx4 s[36:39], s[10:11], 0x0
	v_mov_b32_e32 v12, 0
	s_waitcnt lgkmcnt(0)
	s_sub_u32 s34, s38, s24
	v_mov_b32_e32 v3, s37
	v_add_co_u32_e32 v2, vcc, s36, v10
	s_subb_u32 s35, s39, 0
	v_addc_co_u32_e32 v3, vcc, v3, v11, vcc
	v_cmp_gt_i64_e32 vcc, s[34:35], v[2:3]
	s_and_saveexec_b64 s[36:37], vcc
	s_cbranch_execz .LBB10_12
; %bb.9:                                ;   in Loop: Header=BB10_8 Depth=1
	v_lshlrev_b64 v[4:5], 3, v[2:3]
	v_mov_b32_e32 v6, s15
	v_add_co_u32_e32 v4, vcc, s14, v4
	v_addc_co_u32_e32 v5, vcc, v6, v5, vcc
	v_lshlrev_b64 v[6:7], 2, v[2:3]
	v_mov_b32_e32 v12, s17
	v_add_co_u32_e32 v6, vcc, s16, v6
	v_addc_co_u32_e32 v7, vcc, v12, v7, vcc
	v_mov_b32_e32 v12, 0
	s_mov_b64 s[38:39], 0
.LBB10_10:                              ;   Parent Loop BB10_8 Depth=1
                                        ; =>  This Inner Loop Header: Depth=2
	global_load_dwordx2 v[13:14], v[4:5], off
	global_load_dword v15, v[6:7], off
	v_mov_b32_e32 v16, s19
	s_waitcnt vmcnt(1)
	v_subrev_co_u32_e32 v13, vcc, s24, v13
	v_subbrev_co_u32_e32 v14, vcc, 0, v14, vcc
	v_lshlrev_b64 v[13:14], 2, v[13:14]
	v_add_co_u32_e32 v13, vcc, s18, v13
	v_addc_co_u32_e32 v14, vcc, v16, v14, vcc
	global_load_dword v13, v[13:14], off
	v_add_co_u32_e32 v2, vcc, s25, v2
	v_addc_co_u32_e32 v3, vcc, 0, v3, vcc
	v_add_co_u32_e32 v4, vcc, 0x800, v4
	v_addc_co_u32_e32 v5, vcc, 0, v5, vcc
	v_cmp_le_i64_e64 s[10:11], s[34:35], v[2:3]
	v_add_co_u32_e32 v6, vcc, 0x400, v6
	v_addc_co_u32_e32 v7, vcc, 0, v7, vcc
	s_or_b64 s[38:39], s[10:11], s[38:39]
	s_waitcnt vmcnt(0)
	v_fmac_f32_e32 v12, v15, v13
	s_andn2_b64 exec, exec, s[38:39]
	s_cbranch_execnz .LBB10_10
; %bb.11:                               ;   in Loop: Header=BB10_8 Depth=1
	s_or_b64 exec, exec, s[38:39]
.LBB10_12:                              ;   in Loop: Header=BB10_8 Depth=1
	s_or_b64 exec, exec, s[36:37]
	ds_write_b32 v8, v12
	s_waitcnt lgkmcnt(0)
	s_barrier
	s_and_saveexec_b64 s[10:11], s[0:1]
	s_cbranch_execz .LBB10_14
; %bb.13:                               ;   in Loop: Header=BB10_8 Depth=1
	ds_read2st64_b32 v[2:3], v8 offset1:4
	ds_read2st64_b32 v[4:5], v8 offset0:8 offset1:12
	s_waitcnt lgkmcnt(0)
	v_add_f32_e32 v3, v3, v4
	v_add_f32_e32 v3, v3, v5
	;; [unrolled: 1-line block ×3, first 2 shown]
	ds_write_b32 v8, v2
.LBB10_14:                              ;   in Loop: Header=BB10_8 Depth=1
	s_or_b64 exec, exec, s[10:11]
	s_waitcnt lgkmcnt(0)
	s_barrier
	s_and_saveexec_b64 s[10:11], s[2:3]
	s_cbranch_execz .LBB10_16
; %bb.15:                               ;   in Loop: Header=BB10_8 Depth=1
	ds_read2st64_b32 v[2:3], v8 offset1:1
	ds_read2st64_b32 v[4:5], v8 offset0:2 offset1:3
	s_waitcnt lgkmcnt(0)
	v_add_f32_e32 v3, v3, v4
	v_add_f32_e32 v3, v3, v5
	;; [unrolled: 1-line block ×3, first 2 shown]
	ds_write_b32 v8, v2
.LBB10_16:                              ;   in Loop: Header=BB10_8 Depth=1
	s_or_b64 exec, exec, s[10:11]
	s_waitcnt lgkmcnt(0)
	s_barrier
	s_and_saveexec_b64 s[10:11], s[4:5]
	s_cbranch_execz .LBB10_18
; %bb.17:                               ;   in Loop: Header=BB10_8 Depth=1
	ds_read2_b32 v[2:3], v8 offset1:16
	ds_read2_b32 v[4:5], v8 offset0:32 offset1:48
	s_waitcnt lgkmcnt(0)
	v_add_f32_e32 v3, v3, v4
	v_add_f32_e32 v3, v3, v5
	v_add_f32_e32 v2, v2, v3
	ds_write_b32 v8, v2
.LBB10_18:                              ;   in Loop: Header=BB10_8 Depth=1
	s_or_b64 exec, exec, s[10:11]
	s_waitcnt lgkmcnt(0)
	s_barrier
	s_and_saveexec_b64 s[10:11], s[6:7]
	s_cbranch_execz .LBB10_20
; %bb.19:                               ;   in Loop: Header=BB10_8 Depth=1
	ds_read2_b32 v[2:3], v8 offset1:4
	ds_read2_b32 v[4:5], v8 offset0:8 offset1:12
	s_waitcnt lgkmcnt(0)
	v_add_f32_e32 v3, v3, v4
	v_add_f32_e32 v3, v3, v5
	;; [unrolled: 1-line block ×3, first 2 shown]
	ds_write_b32 v8, v2
.LBB10_20:                              ;   in Loop: Header=BB10_8 Depth=1
	s_or_b64 exec, exec, s[10:11]
	s_waitcnt lgkmcnt(0)
	s_barrier
	s_and_saveexec_b64 s[10:11], s[8:9]
	s_cbranch_execz .LBB10_22
; %bb.21:                               ;   in Loop: Header=BB10_8 Depth=1
	ds_read2_b32 v[2:3], v9 offset0:1 offset1:2
	ds_read_b32 v4, v9 offset:12
	ds_read_b32 v5, v8
	s_waitcnt lgkmcnt(2)
	v_add_f32_e32 v2, v2, v3
	s_waitcnt lgkmcnt(1)
	v_add_f32_e32 v2, v2, v4
	;; [unrolled: 2-line block ×3, first 2 shown]
	ds_write_b32 v8, v2
.LBB10_22:                              ;   in Loop: Header=BB10_8 Depth=1
	s_or_b64 exec, exec, s[10:11]
	s_waitcnt lgkmcnt(0)
	s_barrier
	s_and_saveexec_b64 s[10:11], s[8:9]
	s_cbranch_execz .LBB10_7
; %bb.23:                               ;   in Loop: Header=BB10_8 Depth=1
	s_mov_b64 s[36:37], exec
	v_mbcnt_lo_u32_b32 v2, s36, 0
	v_mbcnt_hi_u32_b32 v2, s37, v2
	v_cmp_eq_u32_e32 vcc, 0, v2
	s_and_b64 s[34:35], exec, vcc
	s_mov_b64 exec, s[34:35]
	s_cbranch_execz .LBB10_7
; %bb.24:                               ;   in Loop: Header=BB10_8 Depth=1
	s_lshl_b64 s[34:35], s[30:31], 2
	s_add_u32 s34, s28, s34
	s_addc_u32 s35, s29, s35
	global_load_dword v3, v9, s[34:35]
	ds_read_b32 v2, v9
	s_bcnt1_i32_b64 s27, s[36:37]
	v_cvt_f32_ubyte0_e32 v4, s27
	s_mov_b64 s[36:37], 0
	s_waitcnt lgkmcnt(0)
	v_mul_f32_e32 v2, s26, v2
	v_mul_f32_e32 v4, v2, v4
.LBB10_25:                              ;   Parent Loop BB10_8 Depth=1
                                        ; =>  This Inner Loop Header: Depth=2
	s_waitcnt vmcnt(0)
	v_add_f32_e32 v2, v3, v4
	global_atomic_cmpswap v2, v9, v[2:3], s[34:35] glc
	s_waitcnt vmcnt(0)
	v_cmp_eq_u32_e32 vcc, v2, v3
	s_or_b64 s[36:37], vcc, s[36:37]
	v_mov_b32_e32 v3, v2
	s_andn2_b64 exec, exec, s[36:37]
	s_cbranch_execnz .LBB10_25
	s_branch .LBB10_7
.LBB10_26:
	s_lshl_b64 s[0:1], s[20:21], 3
	s_add_u32 s0, s12, s0
	s_addc_u32 s1, s13, s1
	s_lshl_b64 s[2:3], s[22:23], 3
	s_add_u32 s2, s12, s2
	s_addc_u32 s3, s13, s3
	s_load_dwordx2 s[6:7], s[0:1], 0x0
	s_load_dwordx2 s[4:5], s[2:3], 0x0
	s_waitcnt lgkmcnt(0)
	v_mov_b32_e32 v1, s7
	s_sub_u32 s4, s4, s24
	v_add_co_u32_e32 v0, vcc, s6, v10
	s_subb_u32 s5, s5, 0
	v_addc_co_u32_e32 v1, vcc, v1, v11, vcc
	v_cmp_gt_i64_e32 vcc, s[4:5], v[0:1]
	s_and_saveexec_b64 s[0:1], vcc
	s_cbranch_execz .LBB10_36
; %bb.27:
	s_add_u32 s6, s22, -1
	s_addc_u32 s7, s23, -1
	v_mov_b32_e32 v2, s6
	s_add_u32 s0, s22, -2
	v_mov_b32_e32 v3, s7
	s_addc_u32 s1, s23, -1
	v_cmp_lt_i64_e32 vcc, s[20:21], v[2:3]
	s_cmp_lg_u64 s[20:21], s[0:1]
	s_cselect_b64 s[0:1], -1, 0
	s_and_b64 s[0:1], vcc, s[0:1]
	v_cndmask_b32_e64 v2, 0, 1, s[0:1]
	s_mov_b64 s[8:9], 0
	v_cmp_ne_u32_e64 s[0:1], 1, v2
	v_mov_b32_e32 v6, s13
	v_mov_b32_e32 v7, s15
	s_branch .LBB10_29
.LBB10_28:                              ;   in Loop: Header=BB10_29 Depth=1
	s_or_b64 exec, exec, s[2:3]
	v_add_co_u32_e32 v0, vcc, 0x100, v0
	v_addc_co_u32_e32 v1, vcc, 0, v1, vcc
	v_cmp_le_i64_e32 vcc, s[4:5], v[0:1]
	s_or_b64 s[8:9], vcc, s[8:9]
	s_andn2_b64 exec, exec, s[8:9]
	s_cbranch_execz .LBB10_36
.LBB10_29:                              ; =>This Loop Header: Depth=1
                                        ;     Child Loop BB10_31 Depth 2
                                        ;     Child Loop BB10_35 Depth 2
	v_mov_b32_e32 v2, s20
	v_mov_b32_e32 v4, s6
	s_and_b64 vcc, exec, s[0:1]
	v_mov_b32_e32 v3, s21
	v_mov_b32_e32 v5, s7
	s_cbranch_vccnz .LBB10_33
; %bb.30:                               ;   in Loop: Header=BB10_29 Depth=1
	v_mov_b32_e32 v2, s20
	v_mov_b32_e32 v4, s6
	s_mov_b64 s[10:11], 0
	v_mov_b32_e32 v3, s21
	v_mov_b32_e32 v5, s7
.LBB10_31:                              ;   Parent Loop BB10_29 Depth=1
                                        ; =>  This Inner Loop Header: Depth=2
	v_add_co_u32_e32 v8, vcc, v4, v2
	v_addc_co_u32_e32 v9, vcc, v5, v3, vcc
	v_lshrrev_b32_e32 v10, 31, v9
	v_add_co_u32_e32 v8, vcc, v8, v10
	v_addc_co_u32_e32 v9, vcc, 0, v9, vcc
	v_ashrrev_i64 v[8:9], 1, v[8:9]
	v_mov_b32_e32 v12, s13
	v_lshlrev_b64 v[10:11], 3, v[8:9]
	v_add_co_u32_e32 v10, vcc, s12, v10
	v_addc_co_u32_e32 v11, vcc, v12, v11, vcc
	global_load_dwordx2 v[10:11], v[10:11], off
	s_waitcnt vmcnt(0)
	v_subrev_co_u32_e32 v10, vcc, s24, v10
	v_subbrev_co_u32_e32 v11, vcc, 0, v11, vcc
	v_cmp_lt_i64_e32 vcc, v[0:1], v[10:11]
	v_cndmask_b32_e32 v4, v4, v8, vcc
	v_cndmask_b32_e32 v5, v5, v9, vcc
	v_cndmask_b32_e32 v2, v8, v2, vcc
	v_add_co_u32_e64 v8, s[2:3], -1, v4
	v_cndmask_b32_e32 v3, v9, v3, vcc
	v_addc_co_u32_e64 v9, s[2:3], -1, v5, s[2:3]
	v_cmp_ge_i64_e32 vcc, v[2:3], v[4:5]
	v_cmp_eq_u64_e64 s[2:3], v[2:3], v[8:9]
	s_or_b64 s[2:3], vcc, s[2:3]
	s_and_b64 s[2:3], exec, s[2:3]
	s_or_b64 s[10:11], s[2:3], s[10:11]
	s_andn2_b64 exec, exec, s[10:11]
	s_cbranch_execnz .LBB10_31
; %bb.32:                               ;   in Loop: Header=BB10_29 Depth=1
	s_or_b64 exec, exec, s[10:11]
.LBB10_33:                              ;   in Loop: Header=BB10_29 Depth=1
	v_lshlrev_b64 v[8:9], 3, v[4:5]
	v_lshlrev_b64 v[10:11], 3, v[0:1]
	v_add_co_u32_e32 v8, vcc, s12, v8
	v_addc_co_u32_e32 v9, vcc, v6, v9, vcc
	global_load_dwordx2 v[8:9], v[8:9], off
	v_add_co_u32_e32 v10, vcc, s14, v10
	v_addc_co_u32_e32 v11, vcc, v7, v11, vcc
	global_load_dwordx2 v[10:11], v[10:11], off
	s_waitcnt vmcnt(1)
	v_subrev_co_u32_e32 v8, vcc, s24, v8
	v_subbrev_co_u32_e32 v9, vcc, 0, v9, vcc
	v_cmp_lt_i64_e32 vcc, v[0:1], v[8:9]
	v_cndmask_b32_e32 v3, v5, v3, vcc
	v_cndmask_b32_e32 v2, v4, v2, vcc
	s_waitcnt vmcnt(0)
	v_subrev_co_u32_e32 v4, vcc, s24, v10
	v_subbrev_co_u32_e32 v5, vcc, 0, v11, vcc
	v_cmp_ne_u64_e32 vcc, v[4:5], v[2:3]
	s_and_saveexec_b64 s[2:3], vcc
	s_cbranch_execz .LBB10_28
; %bb.34:                               ;   in Loop: Header=BB10_29 Depth=1
	v_lshlrev_b64 v[8:9], 2, v[0:1]
	v_mov_b32_e32 v11, s17
	v_add_co_u32_e32 v8, vcc, s16, v8
	v_lshlrev_b64 v[2:3], 2, v[2:3]
	v_addc_co_u32_e32 v9, vcc, v11, v9, vcc
	v_lshlrev_b64 v[4:5], 2, v[4:5]
	global_load_dword v8, v[8:9], off
	v_mov_b32_e32 v9, s19
	v_add_co_u32_e32 v2, vcc, s18, v2
	v_addc_co_u32_e32 v3, vcc, v9, v3, vcc
	v_mov_b32_e32 v10, s29
	global_load_dword v9, v[2:3], off
	v_add_co_u32_e32 v2, vcc, s28, v4
	v_addc_co_u32_e32 v3, vcc, v10, v5, vcc
	global_load_dword v5, v[2:3], off
	s_mov_b64 s[10:11], 0
	s_waitcnt vmcnt(2)
	v_mul_f32_e32 v4, s26, v8
	s_waitcnt vmcnt(1)
	v_mul_f32_e32 v8, v4, v9
.LBB10_35:                              ;   Parent Loop BB10_29 Depth=1
                                        ; =>  This Inner Loop Header: Depth=2
	s_waitcnt vmcnt(0)
	v_add_f32_e32 v4, v5, v8
	global_atomic_cmpswap v4, v[2:3], v[4:5], off glc
	s_waitcnt vmcnt(0)
	v_cmp_eq_u32_e32 vcc, v4, v5
	s_or_b64 s[10:11], vcc, s[10:11]
	v_mov_b32_e32 v5, v4
	s_andn2_b64 exec, exec, s[10:11]
	s_cbranch_execnz .LBB10_35
	s_branch .LBB10_28
.LBB10_36:
	s_endpgm
	.section	.rodata,"a",@progbits
	.p2align	6, 0x0
	.amdhsa_kernel _ZL33csrmvn_symm_large_adaptive_kernelIllffffEvbT_PKS0_N9rocsparse24const_host_device_scalarIT4_EES2_PKT0_PKT1_PKT2_S6_PT3_21rocsparse_index_base_b
		.amdhsa_group_segment_fixed_size 4096
		.amdhsa_private_segment_fixed_size 0
		.amdhsa_kernarg_size 88
		.amdhsa_user_sgpr_count 6
		.amdhsa_user_sgpr_private_segment_buffer 1
		.amdhsa_user_sgpr_dispatch_ptr 0
		.amdhsa_user_sgpr_queue_ptr 0
		.amdhsa_user_sgpr_kernarg_segment_ptr 1
		.amdhsa_user_sgpr_dispatch_id 0
		.amdhsa_user_sgpr_flat_scratch_init 0
		.amdhsa_user_sgpr_private_segment_size 0
		.amdhsa_uses_dynamic_stack 0
		.amdhsa_system_sgpr_private_segment_wavefront_offset 0
		.amdhsa_system_sgpr_workgroup_id_x 1
		.amdhsa_system_sgpr_workgroup_id_y 0
		.amdhsa_system_sgpr_workgroup_id_z 0
		.amdhsa_system_sgpr_workgroup_info 0
		.amdhsa_system_vgpr_workitem_id 0
		.amdhsa_next_free_vgpr 17
		.amdhsa_next_free_sgpr 40
		.amdhsa_reserve_vcc 1
		.amdhsa_reserve_flat_scratch 0
		.amdhsa_float_round_mode_32 0
		.amdhsa_float_round_mode_16_64 0
		.amdhsa_float_denorm_mode_32 3
		.amdhsa_float_denorm_mode_16_64 3
		.amdhsa_dx10_clamp 1
		.amdhsa_ieee_mode 1
		.amdhsa_fp16_overflow 0
		.amdhsa_exception_fp_ieee_invalid_op 0
		.amdhsa_exception_fp_denorm_src 0
		.amdhsa_exception_fp_ieee_div_zero 0
		.amdhsa_exception_fp_ieee_overflow 0
		.amdhsa_exception_fp_ieee_underflow 0
		.amdhsa_exception_fp_ieee_inexact 0
		.amdhsa_exception_int_div_zero 0
	.end_amdhsa_kernel
	.section	.text._ZL33csrmvn_symm_large_adaptive_kernelIllffffEvbT_PKS0_N9rocsparse24const_host_device_scalarIT4_EES2_PKT0_PKT1_PKT2_S6_PT3_21rocsparse_index_base_b,"axG",@progbits,_ZL33csrmvn_symm_large_adaptive_kernelIllffffEvbT_PKS0_N9rocsparse24const_host_device_scalarIT4_EES2_PKT0_PKT1_PKT2_S6_PT3_21rocsparse_index_base_b,comdat
.Lfunc_end10:
	.size	_ZL33csrmvn_symm_large_adaptive_kernelIllffffEvbT_PKS0_N9rocsparse24const_host_device_scalarIT4_EES2_PKT0_PKT1_PKT2_S6_PT3_21rocsparse_index_base_b, .Lfunc_end10-_ZL33csrmvn_symm_large_adaptive_kernelIllffffEvbT_PKS0_N9rocsparse24const_host_device_scalarIT4_EES2_PKT0_PKT1_PKT2_S6_PT3_21rocsparse_index_base_b
                                        ; -- End function
	.set _ZL33csrmvn_symm_large_adaptive_kernelIllffffEvbT_PKS0_N9rocsparse24const_host_device_scalarIT4_EES2_PKT0_PKT1_PKT2_S6_PT3_21rocsparse_index_base_b.num_vgpr, 17
	.set _ZL33csrmvn_symm_large_adaptive_kernelIllffffEvbT_PKS0_N9rocsparse24const_host_device_scalarIT4_EES2_PKT0_PKT1_PKT2_S6_PT3_21rocsparse_index_base_b.num_agpr, 0
	.set _ZL33csrmvn_symm_large_adaptive_kernelIllffffEvbT_PKS0_N9rocsparse24const_host_device_scalarIT4_EES2_PKT0_PKT1_PKT2_S6_PT3_21rocsparse_index_base_b.numbered_sgpr, 40
	.set _ZL33csrmvn_symm_large_adaptive_kernelIllffffEvbT_PKS0_N9rocsparse24const_host_device_scalarIT4_EES2_PKT0_PKT1_PKT2_S6_PT3_21rocsparse_index_base_b.num_named_barrier, 0
	.set _ZL33csrmvn_symm_large_adaptive_kernelIllffffEvbT_PKS0_N9rocsparse24const_host_device_scalarIT4_EES2_PKT0_PKT1_PKT2_S6_PT3_21rocsparse_index_base_b.private_seg_size, 0
	.set _ZL33csrmvn_symm_large_adaptive_kernelIllffffEvbT_PKS0_N9rocsparse24const_host_device_scalarIT4_EES2_PKT0_PKT1_PKT2_S6_PT3_21rocsparse_index_base_b.uses_vcc, 1
	.set _ZL33csrmvn_symm_large_adaptive_kernelIllffffEvbT_PKS0_N9rocsparse24const_host_device_scalarIT4_EES2_PKT0_PKT1_PKT2_S6_PT3_21rocsparse_index_base_b.uses_flat_scratch, 0
	.set _ZL33csrmvn_symm_large_adaptive_kernelIllffffEvbT_PKS0_N9rocsparse24const_host_device_scalarIT4_EES2_PKT0_PKT1_PKT2_S6_PT3_21rocsparse_index_base_b.has_dyn_sized_stack, 0
	.set _ZL33csrmvn_symm_large_adaptive_kernelIllffffEvbT_PKS0_N9rocsparse24const_host_device_scalarIT4_EES2_PKT0_PKT1_PKT2_S6_PT3_21rocsparse_index_base_b.has_recursion, 0
	.set _ZL33csrmvn_symm_large_adaptive_kernelIllffffEvbT_PKS0_N9rocsparse24const_host_device_scalarIT4_EES2_PKT0_PKT1_PKT2_S6_PT3_21rocsparse_index_base_b.has_indirect_call, 0
	.section	.AMDGPU.csdata,"",@progbits
; Kernel info:
; codeLenInByte = 1620
; TotalNumSgprs: 44
; NumVgprs: 17
; ScratchSize: 0
; MemoryBound: 0
; FloatMode: 240
; IeeeMode: 1
; LDSByteSize: 4096 bytes/workgroup (compile time only)
; SGPRBlocks: 5
; VGPRBlocks: 4
; NumSGPRsForWavesPerEU: 44
; NumVGPRsForWavesPerEU: 17
; Occupancy: 10
; WaveLimiterHint : 1
; COMPUTE_PGM_RSRC2:SCRATCH_EN: 0
; COMPUTE_PGM_RSRC2:USER_SGPR: 6
; COMPUTE_PGM_RSRC2:TRAP_HANDLER: 0
; COMPUTE_PGM_RSRC2:TGID_X_EN: 1
; COMPUTE_PGM_RSRC2:TGID_Y_EN: 0
; COMPUTE_PGM_RSRC2:TGID_Z_EN: 0
; COMPUTE_PGM_RSRC2:TIDIG_COMP_CNT: 0
	.section	.text._ZN9rocsparseL22csrmvn_adaptive_kernelIiiddddEEvbT_PKS1_PjPKT0_NS_24const_host_device_scalarIT4_EES3_S7_PKT1_PKT2_SA_PT3_21rocsparse_index_base_b,"axG",@progbits,_ZN9rocsparseL22csrmvn_adaptive_kernelIiiddddEEvbT_PKS1_PjPKT0_NS_24const_host_device_scalarIT4_EES3_S7_PKT1_PKT2_SA_PT3_21rocsparse_index_base_b,comdat
	.globl	_ZN9rocsparseL22csrmvn_adaptive_kernelIiiddddEEvbT_PKS1_PjPKT0_NS_24const_host_device_scalarIT4_EES3_S7_PKT1_PKT2_SA_PT3_21rocsparse_index_base_b ; -- Begin function _ZN9rocsparseL22csrmvn_adaptive_kernelIiiddddEEvbT_PKS1_PjPKT0_NS_24const_host_device_scalarIT4_EES3_S7_PKT1_PKT2_SA_PT3_21rocsparse_index_base_b
	.p2align	8
	.type	_ZN9rocsparseL22csrmvn_adaptive_kernelIiiddddEEvbT_PKS1_PjPKT0_NS_24const_host_device_scalarIT4_EES3_S7_PKT1_PKT2_SA_PT3_21rocsparse_index_base_b,@function
_ZN9rocsparseL22csrmvn_adaptive_kernelIiiddddEEvbT_PKS1_PjPKT0_NS_24const_host_device_scalarIT4_EES3_S7_PKT1_PKT2_SA_PT3_21rocsparse_index_base_b: ; @_ZN9rocsparseL22csrmvn_adaptive_kernelIiiddddEEvbT_PKS1_PjPKT0_NS_24const_host_device_scalarIT4_EES3_S7_PKT1_PKT2_SA_PT3_21rocsparse_index_base_b
; %bb.0:
	s_load_dwordx2 s[40:41], s[4:5], 0x58
	s_load_dwordx2 s[8:9], s[4:5], 0x20
	;; [unrolled: 1-line block ×3, first 2 shown]
	s_waitcnt lgkmcnt(0)
	s_bitcmp1_b32 s41, 0
	s_cselect_b64 s[10:11], -1, 0
	v_mov_b32_e32 v7, s8
	s_xor_b64 s[2:3], s[10:11], -1
	s_and_b64 vcc, exec, s[10:11]
	v_mov_b32_e32 v8, s9
	s_cbranch_vccnz .LBB11_2
; %bb.1:
	v_mov_b32_e32 v1, s8
	v_mov_b32_e32 v2, s9
	flat_load_dwordx2 v[7:8], v[1:2]
.LBB11_2:
	v_mov_b32_e32 v6, s1
	s_andn2_b64 vcc, exec, s[2:3]
	v_mov_b32_e32 v5, s0
	s_cbranch_vccnz .LBB11_4
; %bb.3:
	v_mov_b32_e32 v2, s1
	v_mov_b32_e32 v1, s0
	flat_load_dwordx2 v[5:6], v[1:2]
.LBB11_4:
	s_waitcnt vmcnt(0) lgkmcnt(0)
	v_cmp_neq_f64_e32 vcc, 0, v[7:8]
	v_cmp_neq_f64_e64 s[0:1], 1.0, v[5:6]
	s_or_b64 s[0:1], vcc, s[0:1]
	s_and_saveexec_b64 s[2:3], s[0:1]
	s_cbranch_execz .LBB11_115
; %bb.5:
	s_load_dwordx2 s[0:1], s[4:5], 0x8
	s_load_dwordx2 s[8:9], s[4:5], 0x18
	s_ashr_i32 s7, s6, 31
	s_lshl_b64 s[44:45], s[6:7], 2
	s_waitcnt lgkmcnt(0)
	s_add_u32 s0, s0, s44
	s_addc_u32 s1, s1, s45
	s_load_dwordx2 s[36:37], s[0:1], 0x0
	s_load_dwordx2 s[34:35], s[4:5], 0x50
	s_load_dwordx8 s[24:31], s[4:5], 0x28
	s_waitcnt lgkmcnt(0)
	s_sub_i32 s2, s37, s36
	s_add_u32 s0, s8, s44
	s_mov_b32 s42, s36
	s_addc_u32 s1, s9, s45
	s_ashr_i32 s43, s36, 31
	s_load_dword s33, s[0:1], 0x0
	s_lshl_b64 s[0:1], s[42:43], 2
	s_add_u32 s38, s24, s0
	s_addc_u32 s39, s25, s1
	s_load_dword s41, s[38:39], 0x0
	s_cmp_lt_i32 s2, 2
	s_mov_b64 s[0:1], -1
	s_cbranch_scc0 .LBB11_71
; %bb.6:
	s_cmp_lg_u32 s2, 1
	s_cselect_b64 s[0:1], -1, 0
	s_waitcnt lgkmcnt(0)
	s_cmp_lg_u32 s33, 0
	s_cselect_b64 s[2:3], -1, 0
	s_or_b64 s[0:1], s[0:1], s[2:3]
	s_mov_b64 s[18:19], -1
	s_and_b64 vcc, exec, s[0:1]
	v_cmp_gt_u32_e64 s[0:1], 64, v0
	v_cmp_gt_u32_e64 s[2:3], 32, v0
	;; [unrolled: 1-line block ×6, first 2 shown]
	v_cmp_eq_u32_e64 s[16:17], 0, v0
	s_cbranch_vccnz .LBB11_34
; %bb.7:
	v_cmp_neq_f64_e64 s[18:19], 0, v[5:6]
	s_movk_i32 s7, 0x80
	v_subrev_u32_e32 v4, s40, v0
	v_lshlrev_b32_e32 v13, 3, v0
	v_cmp_gt_u32_e64 s[20:21], s7, v0
	v_mov_b32_e32 v14, 0
	s_mov_b32 s46, s36
	s_branch .LBB11_10
.LBB11_8:                               ;   in Loop: Header=BB11_10 Depth=1
	s_or_b64 exec, exec, s[48:49]
	s_lshl_b64 s[48:49], s[46:47], 3
	s_add_u32 s48, s34, s48
	s_addc_u32 s49, s35, s49
	s_waitcnt lgkmcnt(0)
	global_store_dwordx2 v14, v[1:2], s[48:49]
.LBB11_9:                               ;   in Loop: Header=BB11_10 Depth=1
	s_or_b64 exec, exec, s[22:23]
	s_add_i32 s46, s46, 1
	s_cmp_ge_i32 s46, s37
	s_cbranch_scc1 .LBB11_33
.LBB11_10:                              ; =>This Loop Header: Depth=1
                                        ;     Child Loop BB11_12 Depth 2
	s_ashr_i32 s47, s46, 31
	s_lshl_b64 s[22:23], s[46:47], 2
	s_add_u32 s22, s24, s22
	s_addc_u32 s23, s25, s23
	s_load_dwordx2 s[48:49], s[22:23], 0x0
	v_mov_b32_e32 v2, 0
	v_mov_b32_e32 v3, 0
	s_waitcnt lgkmcnt(0)
	s_sub_i32 s7, s49, s40
	v_add_u32_e32 v1, s48, v4
	v_cmp_gt_i32_e32 vcc, s7, v1
	s_and_saveexec_b64 s[48:49], vcc
	s_cbranch_execz .LBB11_14
; %bb.11:                               ;   in Loop: Header=BB11_10 Depth=1
	v_ashrrev_i32_e32 v2, 31, v1
	v_lshlrev_b64 v[9:10], 3, v[1:2]
	v_mov_b32_e32 v3, s29
	v_add_co_u32_e32 v9, vcc, s28, v9
	v_addc_co_u32_e32 v10, vcc, v3, v10, vcc
	v_lshlrev_b64 v[2:3], 2, v[1:2]
	v_mov_b32_e32 v12, s27
	v_add_co_u32_e32 v11, vcc, s26, v2
	v_addc_co_u32_e32 v12, vcc, v12, v3, vcc
	v_mov_b32_e32 v2, 0
	v_mov_b32_e32 v3, 0
	s_mov_b64 s[50:51], 0
.LBB11_12:                              ;   Parent Loop BB11_10 Depth=1
                                        ; =>  This Inner Loop Header: Depth=2
	global_load_dword v17, v[11:12], off
	global_load_dwordx2 v[15:16], v[9:10], off
	v_mov_b32_e32 v19, s31
	v_add_u32_e32 v1, 0x100, v1
	v_cmp_le_i32_e64 s[22:23], s7, v1
	s_or_b64 s[50:51], s[22:23], s[50:51]
	s_waitcnt vmcnt(1)
	v_subrev_u32_e32 v17, s40, v17
	v_ashrrev_i32_e32 v18, 31, v17
	v_lshlrev_b64 v[17:18], 3, v[17:18]
	s_waitcnt vmcnt(0)
	v_mul_f64 v[15:16], v[7:8], v[15:16]
	v_add_co_u32_e32 v17, vcc, s30, v17
	v_addc_co_u32_e32 v18, vcc, v19, v18, vcc
	global_load_dwordx2 v[17:18], v[17:18], off
	v_add_co_u32_e32 v9, vcc, 0x800, v9
	v_addc_co_u32_e32 v10, vcc, 0, v10, vcc
	v_add_co_u32_e32 v11, vcc, 0x400, v11
	v_addc_co_u32_e32 v12, vcc, 0, v12, vcc
	s_waitcnt vmcnt(0)
	v_fma_f64 v[2:3], v[15:16], v[17:18], v[2:3]
	s_andn2_b64 exec, exec, s[50:51]
	s_cbranch_execnz .LBB11_12
; %bb.13:                               ;   in Loop: Header=BB11_10 Depth=1
	s_or_b64 exec, exec, s[50:51]
.LBB11_14:                              ;   in Loop: Header=BB11_10 Depth=1
	s_or_b64 exec, exec, s[48:49]
	ds_write_b64 v13, v[2:3]
	s_waitcnt vmcnt(0) lgkmcnt(0)
	s_barrier
	s_and_saveexec_b64 s[22:23], s[20:21]
	s_cbranch_execz .LBB11_16
; %bb.15:                               ;   in Loop: Header=BB11_10 Depth=1
	ds_read2st64_b64 v[9:12], v13 offset1:2
	s_waitcnt lgkmcnt(0)
	v_add_f64 v[1:2], v[9:10], v[11:12]
	ds_write_b64 v13, v[1:2]
.LBB11_16:                              ;   in Loop: Header=BB11_10 Depth=1
	s_or_b64 exec, exec, s[22:23]
	s_waitcnt lgkmcnt(0)
	s_barrier
	s_and_saveexec_b64 s[22:23], s[0:1]
	s_cbranch_execz .LBB11_18
; %bb.17:                               ;   in Loop: Header=BB11_10 Depth=1
	ds_read2st64_b64 v[9:12], v13 offset1:1
	s_waitcnt lgkmcnt(0)
	v_add_f64 v[1:2], v[9:10], v[11:12]
	ds_write_b64 v13, v[1:2]
.LBB11_18:                              ;   in Loop: Header=BB11_10 Depth=1
	s_or_b64 exec, exec, s[22:23]
	s_waitcnt lgkmcnt(0)
	s_barrier
	s_and_saveexec_b64 s[22:23], s[2:3]
	s_cbranch_execz .LBB11_20
; %bb.19:                               ;   in Loop: Header=BB11_10 Depth=1
	ds_read2_b64 v[9:12], v13 offset1:32
	s_waitcnt lgkmcnt(0)
	v_add_f64 v[1:2], v[9:10], v[11:12]
	ds_write_b64 v13, v[1:2]
.LBB11_20:                              ;   in Loop: Header=BB11_10 Depth=1
	s_or_b64 exec, exec, s[22:23]
	s_waitcnt lgkmcnt(0)
	s_barrier
	s_and_saveexec_b64 s[22:23], s[8:9]
	s_cbranch_execz .LBB11_22
; %bb.21:                               ;   in Loop: Header=BB11_10 Depth=1
	ds_read2_b64 v[9:12], v13 offset1:16
	s_waitcnt lgkmcnt(0)
	v_add_f64 v[1:2], v[9:10], v[11:12]
	ds_write_b64 v13, v[1:2]
.LBB11_22:                              ;   in Loop: Header=BB11_10 Depth=1
	;; [unrolled: 11-line block ×5, first 2 shown]
	s_or_b64 exec, exec, s[22:23]
	s_waitcnt lgkmcnt(0)
	s_barrier
	s_and_saveexec_b64 s[22:23], s[16:17]
	s_cbranch_execz .LBB11_30
; %bb.29:                               ;   in Loop: Header=BB11_10 Depth=1
	ds_read_b128 v[9:12], v14
	s_waitcnt lgkmcnt(0)
	v_add_f64 v[1:2], v[9:10], v[11:12]
	ds_write_b64 v14, v[1:2]
.LBB11_30:                              ;   in Loop: Header=BB11_10 Depth=1
	s_or_b64 exec, exec, s[22:23]
	s_waitcnt lgkmcnt(0)
	s_barrier
	s_and_saveexec_b64 s[22:23], s[16:17]
	s_cbranch_execz .LBB11_9
; %bb.31:                               ;   in Loop: Header=BB11_10 Depth=1
	ds_read_b64 v[1:2], v14
	s_and_saveexec_b64 s[48:49], s[18:19]
	s_cbranch_execz .LBB11_8
; %bb.32:                               ;   in Loop: Header=BB11_10 Depth=1
	s_lshl_b64 s[50:51], s[46:47], 3
	s_add_u32 s50, s34, s50
	s_addc_u32 s51, s35, s51
	global_load_dwordx2 v[9:10], v14, s[50:51]
	s_waitcnt vmcnt(0) lgkmcnt(0)
	v_fma_f64 v[1:2], v[5:6], v[9:10], v[1:2]
	s_branch .LBB11_8
.LBB11_33:
	s_mov_b64 s[18:19], 0
.LBB11_34:
	s_and_b64 vcc, exec, s[18:19]
	s_cbranch_vccz .LBB11_70
; %bb.35:
	s_load_dwordx2 s[8:9], s[4:5], 0x10
	s_sub_i32 s6, s6, s33
	v_mov_b32_e32 v3, 0
	v_or_b32_e32 v4, s33, v0
	v_mov_b32_e32 v1, 0
	s_waitcnt lgkmcnt(0)
	s_add_u32 s2, s8, s44
	s_addc_u32 s3, s9, s45
	global_load_dword v13, v3, s[2:3]
	v_mov_b32_e32 v2, 0
	v_cmp_eq_u32_e32 vcc, 0, v4
	s_and_saveexec_b64 s[0:1], vcc
	s_cbranch_execz .LBB11_39
; %bb.36:
	s_lshl_b64 s[12:13], s[42:43], 3
	s_add_u32 s12, s34, s12
	s_addc_u32 s13, s35, s13
	global_load_dwordx2 v[1:2], v3, s[12:13]
	v_add_f64 v[3:4], v[5:6], -1.0
	s_mov_b64 s[10:11], exec
	v_mbcnt_lo_u32_b32 v9, s10, 0
	v_mbcnt_hi_u32_b32 v9, s11, v9
	v_cmp_eq_u32_e32 vcc, 0, v9
	s_waitcnt vmcnt(0) expcnt(0) lgkmcnt(0)
	s_and_saveexec_b64 s[12:13], vcc
	s_cbranch_execz .LBB11_38
; %bb.37:
	s_ashr_i32 s7, s6, 31
	s_lshl_b64 s[14:15], s[6:7], 2
	s_add_u32 s14, s8, s14
	s_addc_u32 s15, s9, s15
	s_bcnt1_i32_b64 s7, s[10:11]
	s_and_b32 s7, s7, 1
	v_mov_b32_e32 v9, 0
	v_mov_b32_e32 v10, s7
	global_atomic_xor v9, v10, s[14:15]
.LBB11_38:
	s_or_b64 exec, exec, s[12:13]
	v_mul_f64 v[1:2], v[3:4], v[1:2]
.LBB11_39:
	s_or_b64 exec, exec, s[0:1]
	s_load_dword s1, s[38:39], 0x4
	s_mul_i32 s0, s33, 0xc00
	s_sub_i32 s7, s41, s40
	s_add_i32 s0, s7, s0
	v_add_u32_e32 v3, s0, v0
	s_waitcnt lgkmcnt(0)
	s_sub_i32 s1, s1, s40
	v_cmp_gt_i32_e32 vcc, s1, v3
	s_and_saveexec_b64 s[10:11], vcc
	s_cbranch_execz .LBB11_43
; %bb.40:
	v_ashrrev_i32_e32 v4, 31, v3
	v_lshlrev_b64 v[9:10], 3, v[3:4]
	v_mov_b32_e32 v11, s29
	v_add_co_u32_e32 v9, vcc, s28, v9
	v_addc_co_u32_e32 v10, vcc, v11, v10, vcc
	v_lshlrev_b64 v[11:12], 2, v[3:4]
	s_addk_i32 s0, 0xc00
	v_mov_b32_e32 v4, s27
	v_add_co_u32_e32 v11, vcc, s26, v11
	s_min_i32 s7, s0, s1
	v_addc_co_u32_e32 v12, vcc, v4, v12, vcc
	s_mov_b64 s[12:13], 0
	v_mov_b32_e32 v4, s31
.LBB11_41:                              ; =>This Inner Loop Header: Depth=1
	global_load_dword v16, v[11:12], off
	global_load_dwordx2 v[14:15], v[9:10], off
	v_add_u32_e32 v3, 0x100, v3
	v_cmp_le_i32_e64 s[0:1], s7, v3
	s_or_b64 s[12:13], s[0:1], s[12:13]
	s_waitcnt vmcnt(1)
	v_subrev_u32_e32 v16, s40, v16
	v_ashrrev_i32_e32 v17, 31, v16
	v_lshlrev_b64 v[16:17], 3, v[16:17]
	s_waitcnt vmcnt(0)
	v_mul_f64 v[14:15], v[7:8], v[14:15]
	v_add_co_u32_e32 v16, vcc, s30, v16
	v_addc_co_u32_e32 v17, vcc, v4, v17, vcc
	global_load_dwordx2 v[16:17], v[16:17], off
	v_add_co_u32_e32 v9, vcc, 0x800, v9
	v_addc_co_u32_e32 v10, vcc, 0, v10, vcc
	v_add_co_u32_e32 v11, vcc, 0x400, v11
	v_addc_co_u32_e32 v12, vcc, 0, v12, vcc
	s_waitcnt vmcnt(0)
	v_fma_f64 v[1:2], v[14:15], v[16:17], v[1:2]
	s_andn2_b64 exec, exec, s[12:13]
	s_cbranch_execnz .LBB11_41
; %bb.42:
	s_or_b64 exec, exec, s[12:13]
.LBB11_43:
	s_or_b64 exec, exec, s[10:11]
	s_movk_i32 s0, 0x80
	v_lshlrev_b32_e32 v3, 3, v0
	v_cmp_gt_u32_e32 vcc, s0, v0
	ds_write_b64 v3, v[1:2]
	s_waitcnt vmcnt(0) lgkmcnt(0)
	s_barrier
	s_and_saveexec_b64 s[0:1], vcc
	s_cbranch_execz .LBB11_45
; %bb.44:
	ds_read2st64_b64 v[9:12], v3 offset1:2
	s_waitcnt lgkmcnt(0)
	v_add_f64 v[1:2], v[9:10], v[11:12]
	ds_write_b64 v3, v[1:2]
.LBB11_45:
	s_or_b64 exec, exec, s[0:1]
	v_cmp_gt_u32_e32 vcc, 64, v0
	s_waitcnt lgkmcnt(0)
	s_barrier
	s_and_saveexec_b64 s[0:1], vcc
	s_cbranch_execz .LBB11_47
; %bb.46:
	ds_read2st64_b64 v[9:12], v3 offset1:1
	s_waitcnt lgkmcnt(0)
	v_add_f64 v[1:2], v[9:10], v[11:12]
	ds_write_b64 v3, v[1:2]
.LBB11_47:
	s_or_b64 exec, exec, s[0:1]
	v_cmp_gt_u32_e32 vcc, 32, v0
	s_waitcnt lgkmcnt(0)
	s_barrier
	s_and_saveexec_b64 s[0:1], vcc
	s_cbranch_execz .LBB11_49
; %bb.48:
	ds_read2_b64 v[9:12], v3 offset1:32
	s_waitcnt lgkmcnt(0)
	v_add_f64 v[1:2], v[9:10], v[11:12]
	ds_write_b64 v3, v[1:2]
.LBB11_49:
	s_or_b64 exec, exec, s[0:1]
	v_cmp_gt_u32_e32 vcc, 16, v0
	s_waitcnt lgkmcnt(0)
	s_barrier
	s_and_saveexec_b64 s[0:1], vcc
	s_cbranch_execz .LBB11_51
; %bb.50:
	ds_read2_b64 v[9:12], v3 offset1:16
	s_waitcnt lgkmcnt(0)
	v_add_f64 v[1:2], v[9:10], v[11:12]
	ds_write_b64 v3, v[1:2]
.LBB11_51:
	;; [unrolled: 12-line block ×5, first 2 shown]
	s_or_b64 exec, exec, s[0:1]
	v_cmp_eq_u32_e32 vcc, 0, v0
	s_waitcnt lgkmcnt(0)
	s_barrier
	s_and_saveexec_b64 s[0:1], vcc
	s_cbranch_execz .LBB11_59
; %bb.58:
	v_mov_b32_e32 v9, 0
	ds_read_b128 v[1:4], v9
	s_waitcnt lgkmcnt(0)
	v_add_f64 v[1:2], v[1:2], v[3:4]
	ds_write_b64 v9, v[1:2]
.LBB11_59:
	s_or_b64 exec, exec, s[0:1]
	s_waitcnt lgkmcnt(0)
	s_barrier
	s_and_saveexec_b64 s[0:1], vcc
	s_cbranch_execz .LBB11_69
; %bb.60:
	s_cmp_eq_u32 s33, 0
	s_cbranch_scc1 .LBB11_66
; %bb.61:
	s_ashr_i32 s7, s6, 31
	s_lshl_b64 s[6:7], s[6:7], 2
	s_add_u32 s6, s8, s6
	s_addc_u32 s7, s9, s7
	v_mov_b32_e32 v1, 0
	s_branch .LBB11_63
.LBB11_62:                              ;   in Loop: Header=BB11_63 Depth=1
	s_or_b64 exec, exec, s[8:9]
	s_waitcnt vmcnt(0)
	v_readfirstlane_b32 s8, v2
	v_cmp_eq_u32_e32 vcc, s8, v13
	s_cbranch_vccz .LBB11_65
.LBB11_63:                              ; =>This Inner Loop Header: Depth=1
	v_mbcnt_lo_u32_b32 v2, exec_lo, 0
	v_mbcnt_hi_u32_b32 v2, exec_hi, v2
	v_cmp_eq_u32_e32 vcc, 0, v2
                                        ; implicit-def: $vgpr2
	s_and_saveexec_b64 s[8:9], vcc
	s_cbranch_execz .LBB11_62
; %bb.64:                               ;   in Loop: Header=BB11_63 Depth=1
	global_load_dword v2, v1, s[6:7] glc
	s_branch .LBB11_62
.LBB11_65:
	v_mov_b32_e32 v1, 0
	global_load_ushort v2, v1, s[2:3]
	s_waitcnt vmcnt(0)
	v_xor_b32_e32 v2, 1, v2
	global_store_short v1, v2, s[2:3]
.LBB11_66:
	s_mov_b64 s[6:7], exec
	v_mbcnt_lo_u32_b32 v1, s6, 0
	v_mbcnt_hi_u32_b32 v1, s7, v1
	v_cmp_eq_u32_e32 vcc, 0, v1
	s_and_b64 s[2:3], exec, vcc
	s_mov_b64 exec, s[2:3]
	s_cbranch_execz .LBB11_69
; %bb.67:
	s_lshl_b64 s[2:3], s[42:43], 3
	s_add_u32 s2, s34, s2
	s_addc_u32 s3, s35, s3
	v_mov_b32_e32 v11, 0
	global_load_dwordx2 v[3:4], v11, s[2:3]
	ds_read_b64 v[1:2], v11
	s_bcnt1_i32_b64 s6, s[6:7]
	v_cvt_f64_u32_e32 v[9:10], s6
	s_mov_b64 s[6:7], 0
	s_waitcnt lgkmcnt(0)
	v_mul_f64 v[9:10], v[1:2], v[9:10]
.LBB11_68:                              ; =>This Inner Loop Header: Depth=1
	s_waitcnt vmcnt(0)
	v_add_f64 v[1:2], v[3:4], v[9:10]
	global_atomic_cmpswap_x2 v[1:2], v11, v[1:4], s[2:3] glc
	s_waitcnt vmcnt(0)
	v_cmp_eq_u64_e32 vcc, v[1:2], v[3:4]
	v_mov_b32_e32 v4, v2
	s_or_b64 s[6:7], vcc, s[6:7]
	v_mov_b32_e32 v3, v1
	s_andn2_b64 exec, exec, s[6:7]
	s_cbranch_execnz .LBB11_68
.LBB11_69:
	s_or_b64 exec, exec, s[0:1]
.LBB11_70:
	s_mov_b64 s[0:1], 0
.LBB11_71:
	s_andn2_b64 vcc, exec, s[0:1]
	s_cbranch_vccnz .LBB11_115
; %bb.72:
	s_load_dword s0, s[4:5], 0x4
	v_subrev_u32_e32 v1, s40, v0
	s_waitcnt lgkmcnt(0)
	v_add_u32_e32 v1, s41, v1
	v_add_u32_e32 v2, 0x300, v1
	v_cmp_le_i32_e32 vcc, s0, v2
	s_and_saveexec_b64 s[0:1], vcc
	s_xor_b64 s[0:1], exec, s[0:1]
	s_cbranch_execz .LBB11_77
; %bb.73:
	s_ashr_i32 s3, s37, 31
	s_mov_b32 s2, s37
	s_lshl_b64 s[2:3], s[2:3], 2
	s_add_u32 s2, s24, s2
	s_addc_u32 s3, s25, s3
	s_load_dword s2, s[2:3], 0x0
	s_waitcnt lgkmcnt(0)
	s_sub_i32 s6, s2, s40
	v_cmp_gt_i32_e32 vcc, s6, v1
	s_and_saveexec_b64 s[2:3], vcc
	s_cbranch_execz .LBB11_76
; %bb.74:
	v_lshlrev_b32_e32 v3, 3, v0
	s_mov_b64 s[4:5], 0
	v_mov_b32_e32 v4, s29
	v_mov_b32_e32 v9, s27
	;; [unrolled: 1-line block ×3, first 2 shown]
.LBB11_75:                              ; =>This Inner Loop Header: Depth=1
	v_ashrrev_i32_e32 v2, 31, v1
	v_lshlrev_b64 v[11:12], 2, v[1:2]
	v_add_co_u32_e32 v11, vcc, s26, v11
	v_addc_co_u32_e32 v12, vcc, v9, v12, vcc
	global_load_dword v13, v[11:12], off
	v_lshlrev_b64 v[11:12], 3, v[1:2]
	v_add_u32_e32 v1, 0x100, v1
	v_add_co_u32_e32 v11, vcc, s28, v11
	v_addc_co_u32_e32 v12, vcc, v4, v12, vcc
	global_load_dwordx2 v[11:12], v[11:12], off
	s_waitcnt vmcnt(1)
	v_subrev_u32_e32 v13, s40, v13
	v_ashrrev_i32_e32 v14, 31, v13
	v_lshlrev_b64 v[13:14], 3, v[13:14]
	v_add_co_u32_e32 v13, vcc, s30, v13
	v_addc_co_u32_e32 v14, vcc, v10, v14, vcc
	global_load_dwordx2 v[13:14], v[13:14], off
	s_waitcnt vmcnt(1)
	v_mul_f64 v[11:12], v[7:8], v[11:12]
	v_cmp_le_i32_e32 vcc, s6, v1
	s_or_b64 s[4:5], vcc, s[4:5]
	s_waitcnt vmcnt(0)
	v_mul_f64 v[11:12], v[11:12], v[13:14]
	ds_write_b64 v3, v[11:12]
	v_add_u32_e32 v3, 0x800, v3
	s_andn2_b64 exec, exec, s[4:5]
	s_cbranch_execnz .LBB11_75
.LBB11_76:
	s_or_b64 exec, exec, s[2:3]
                                        ; implicit-def: $vgpr1
                                        ; implicit-def: $vgpr7_vgpr8
.LBB11_77:
	s_or_saveexec_b64 s[0:1], s[0:1]
	v_lshlrev_b32_e32 v9, 3, v0
	s_xor_b64 exec, exec, s[0:1]
	s_cbranch_execz .LBB11_79
; %bb.78:
	v_ashrrev_i32_e32 v2, 31, v1
	v_lshlrev_b64 v[3:4], 2, v[1:2]
	v_mov_b32_e32 v10, s27
	v_add_co_u32_e32 v3, vcc, s26, v3
	v_addc_co_u32_e32 v4, vcc, v10, v4, vcc
	global_load_dword v16, v[3:4], off
	global_load_dword v17, v[3:4], off offset:1024
	global_load_dword v18, v[3:4], off offset:2048
	;; [unrolled: 1-line block ×3, first 2 shown]
	v_lshlrev_b64 v[1:2], 3, v[1:2]
	v_mov_b32_e32 v3, s29
	v_add_co_u32_e32 v1, vcc, s28, v1
	s_movk_i32 s2, 0x1000
	v_addc_co_u32_e32 v2, vcc, v3, v2, vcc
	global_load_dwordx2 v[3:4], v[1:2], off
	global_load_dwordx2 v[10:11], v[1:2], off offset:2048
	v_add_co_u32_e32 v1, vcc, s2, v1
	v_addc_co_u32_e32 v2, vcc, 0, v2, vcc
	global_load_dwordx2 v[12:13], v[1:2], off
	global_load_dwordx2 v[14:15], v[1:2], off offset:2048
	v_mov_b32_e32 v22, s31
	v_mov_b32_e32 v23, s31
	;; [unrolled: 1-line block ×4, first 2 shown]
	s_waitcnt vmcnt(7)
	v_subrev_u32_e32 v1, s40, v16
	v_ashrrev_i32_e32 v2, 31, v1
	s_waitcnt vmcnt(6)
	v_subrev_u32_e32 v16, s40, v17
	v_lshlrev_b64 v[1:2], 3, v[1:2]
	v_ashrrev_i32_e32 v17, 31, v16
	s_waitcnt vmcnt(5)
	v_subrev_u32_e32 v18, s40, v18
	v_lshlrev_b64 v[16:17], 3, v[16:17]
	v_add_co_u32_e32 v1, vcc, s30, v1
	s_waitcnt vmcnt(4)
	v_subrev_u32_e32 v20, s40, v19
	v_ashrrev_i32_e32 v19, 31, v18
	v_addc_co_u32_e32 v2, vcc, v22, v2, vcc
	v_lshlrev_b64 v[18:19], 3, v[18:19]
	v_add_co_u32_e32 v16, vcc, s30, v16
	v_ashrrev_i32_e32 v21, 31, v20
	v_addc_co_u32_e32 v17, vcc, v23, v17, vcc
	v_lshlrev_b64 v[20:21], 3, v[20:21]
	v_add_co_u32_e32 v18, vcc, s30, v18
	v_addc_co_u32_e32 v19, vcc, v24, v19, vcc
	v_add_co_u32_e32 v20, vcc, s30, v20
	v_addc_co_u32_e32 v21, vcc, v25, v21, vcc
	global_load_dwordx2 v[22:23], v[1:2], off
	global_load_dwordx2 v[24:25], v[16:17], off
	;; [unrolled: 1-line block ×4, first 2 shown]
	s_waitcnt vmcnt(7)
	v_mul_f64 v[1:2], v[7:8], v[3:4]
	s_waitcnt vmcnt(6)
	v_mul_f64 v[3:4], v[7:8], v[10:11]
	s_waitcnt vmcnt(5)
	v_mul_f64 v[10:11], v[7:8], v[12:13]
	s_waitcnt vmcnt(4)
	v_mul_f64 v[7:8], v[7:8], v[14:15]
	s_waitcnt vmcnt(3)
	v_mul_f64 v[1:2], v[1:2], v[22:23]
	s_waitcnt vmcnt(2)
	v_mul_f64 v[3:4], v[3:4], v[24:25]
	s_waitcnt vmcnt(1)
	v_mul_f64 v[10:11], v[10:11], v[26:27]
	s_waitcnt vmcnt(0)
	v_mul_f64 v[7:8], v[7:8], v[28:29]
	ds_write2st64_b64 v9, v[1:2], v[3:4] offset1:4
	ds_write2st64_b64 v9, v[10:11], v[7:8] offset0:8 offset1:12
.LBB11_79:
	s_or_b64 exec, exec, s[0:1]
	s_cmp_lt_i32 s33, 2
	s_mov_b64 s[0:1], -1
	s_waitcnt vmcnt(0) lgkmcnt(0)
	s_barrier
	s_cbranch_scc0 .LBB11_90
; %bb.80:
	v_add_u32_e32 v1, s36, v0
	v_cmp_gt_i32_e32 vcc, s37, v1
	s_and_saveexec_b64 s[2:3], vcc
	s_cbranch_execz .LBB11_89
; %bb.81:
	v_cmp_neq_f64_e32 vcc, 0, v[5:6]
	s_lshl_b32 s0, s41, 3
	s_mov_b64 s[4:5], 0
	s_sub_i32 s10, 0, s0
	v_mov_b32_e32 v10, s25
	v_mov_b32_e32 v11, s35
	s_branch .LBB11_83
.LBB11_82:                              ;   in Loop: Header=BB11_83 Depth=1
	s_or_b64 exec, exec, s[6:7]
	v_add_co_u32_e64 v7, s[0:1], s34, v7
	v_addc_co_u32_e64 v8, s[0:1], v11, v8, s[0:1]
	v_add_u32_e32 v1, 0x100, v1
	v_cmp_le_i32_e64 s[0:1], s37, v1
	s_or_b64 s[4:5], s[0:1], s[4:5]
	global_store_dwordx2 v[7:8], v[3:4], off
	s_andn2_b64 exec, exec, s[4:5]
	s_cbranch_execz .LBB11_89
.LBB11_83:                              ; =>This Loop Header: Depth=1
                                        ;     Child Loop BB11_85 Depth 2
	v_ashrrev_i32_e32 v2, 31, v1
	v_lshlrev_b64 v[3:4], 2, v[1:2]
	v_add_co_u32_e64 v3, s[0:1], s24, v3
	v_addc_co_u32_e64 v4, s[0:1], v10, v4, s[0:1]
	global_load_dwordx2 v[7:8], v[3:4], off
	v_mov_b32_e32 v3, 0
	v_mov_b32_e32 v4, 0
	s_waitcnt vmcnt(0)
	v_cmp_lt_i32_e64 s[0:1], v7, v8
	s_and_saveexec_b64 s[6:7], s[0:1]
	s_cbranch_execz .LBB11_87
; %bb.84:                               ;   in Loop: Header=BB11_83 Depth=1
	v_mov_b32_e32 v3, 0
	v_subrev_u32_e32 v8, s41, v8
	v_subrev_u32_e32 v12, s41, v7
	v_lshl_add_u32 v7, v7, 3, s10
	v_mov_b32_e32 v4, 0
	s_mov_b64 s[8:9], 0
.LBB11_85:                              ;   Parent Loop BB11_83 Depth=1
                                        ; =>  This Inner Loop Header: Depth=2
	ds_read_b64 v[13:14], v7
	v_add_u32_e32 v12, 1, v12
	v_cmp_ge_i32_e64 s[0:1], v12, v8
	s_or_b64 s[8:9], s[0:1], s[8:9]
	v_add_u32_e32 v7, 8, v7
	s_waitcnt lgkmcnt(0)
	v_add_f64 v[3:4], v[3:4], v[13:14]
	s_andn2_b64 exec, exec, s[8:9]
	s_cbranch_execnz .LBB11_85
; %bb.86:                               ;   in Loop: Header=BB11_83 Depth=1
	s_or_b64 exec, exec, s[8:9]
.LBB11_87:                              ;   in Loop: Header=BB11_83 Depth=1
	s_or_b64 exec, exec, s[6:7]
	v_lshlrev_b64 v[7:8], 3, v[1:2]
	s_and_saveexec_b64 s[6:7], vcc
	s_cbranch_execz .LBB11_82
; %bb.88:                               ;   in Loop: Header=BB11_83 Depth=1
	v_mov_b32_e32 v2, s35
	v_add_co_u32_e64 v12, s[0:1], s34, v7
	v_addc_co_u32_e64 v13, s[0:1], v2, v8, s[0:1]
	global_load_dwordx2 v[12:13], v[12:13], off
	s_waitcnt vmcnt(0)
	v_fma_f64 v[3:4], v[5:6], v[12:13], v[3:4]
	s_branch .LBB11_82
.LBB11_89:
	s_or_b64 exec, exec, s[2:3]
	s_mov_b64 s[0:1], 0
.LBB11_90:
	s_andn2_b64 vcc, exec, s[0:1]
	s_cbranch_vccnz .LBB11_115
; %bb.91:
	s_flbit_i32_b32 s0, s33
	s_xor_b32 s0, s0, 31
	v_lshrrev_b32_e32 v4, s0, v0
	v_add_u32_e32 v1, s36, v4
	s_add_i32 s0, s33, -1
	v_mov_b32_e32 v2, 0
	v_and_b32_e32 v0, s0, v0
	v_cmp_le_i32_e32 vcc, s37, v1
	v_mov_b32_e32 v3, 0
	v_cmp_gt_i32_e64 s[0:1], s37, v1
	s_and_saveexec_b64 s[2:3], s[0:1]
	s_cbranch_execz .LBB11_97
; %bb.92:
	v_lshlrev_b32_e32 v2, 2, v4
	global_load_dwordx2 v[2:3], v2, s[38:39]
	v_subrev_u32_e32 v7, s41, v0
	s_waitcnt vmcnt(0)
	v_subrev_u32_e32 v4, s41, v3
	v_add_u32_e32 v7, v2, v7
	v_mov_b32_e32 v2, 0
	v_mov_b32_e32 v3, 0
	v_cmp_lt_i32_e64 s[0:1], v7, v4
	s_and_saveexec_b64 s[4:5], s[0:1]
	s_cbranch_execz .LBB11_96
; %bb.93:
	v_mov_b32_e32 v2, 0
	v_lshlrev_b32_e32 v8, 3, v7
	s_lshl_b32 s8, s33, 3
	v_mov_b32_e32 v3, 0
	s_mov_b64 s[6:7], 0
.LBB11_94:                              ; =>This Inner Loop Header: Depth=1
	ds_read_b64 v[10:11], v8
	v_add_u32_e32 v7, s33, v7
	v_cmp_ge_i32_e64 s[0:1], v7, v4
	s_or_b64 s[6:7], s[0:1], s[6:7]
	v_add_u32_e32 v8, s8, v8
	s_waitcnt lgkmcnt(0)
	v_add_f64 v[2:3], v[2:3], v[10:11]
	s_andn2_b64 exec, exec, s[6:7]
	s_cbranch_execnz .LBB11_94
; %bb.95:
	s_or_b64 exec, exec, s[6:7]
.LBB11_96:
	s_or_b64 exec, exec, s[4:5]
.LBB11_97:
	s_or_b64 exec, exec, s[2:3]
	s_cmpk_lt_u32 s33, 0x81
	s_waitcnt vmcnt(0)
	s_barrier
	ds_write_b64 v9, v[2:3]
	s_waitcnt lgkmcnt(0)
	s_barrier
	s_cbranch_scc1 .LBB11_99
; %bb.98:
	ds_read_b64 v[7:8], v9 offset:1024
	s_waitcnt lgkmcnt(0)
	s_barrier
	v_add_f64 v[2:3], v[2:3], v[7:8]
	ds_write_b64 v9, v[2:3]
.LBB11_99:
	s_cmpk_lt_u32 s33, 0x41
	s_waitcnt lgkmcnt(0)
	s_barrier
	s_cbranch_scc1 .LBB11_101
; %bb.100:
	ds_read_b64 v[7:8], v9 offset:512
	s_waitcnt lgkmcnt(0)
	s_barrier
	v_add_f64 v[2:3], v[2:3], v[7:8]
	ds_write_b64 v9, v[2:3]
.LBB11_101:
	s_cmp_lt_u32 s33, 33
	s_waitcnt lgkmcnt(0)
	s_barrier
	s_cbranch_scc1 .LBB11_103
; %bb.102:
	ds_read_b64 v[7:8], v9 offset:256
	s_waitcnt lgkmcnt(0)
	s_barrier
	v_add_f64 v[2:3], v[2:3], v[7:8]
	ds_write_b64 v9, v[2:3]
.LBB11_103:
	s_cmp_lt_u32 s33, 17
	;; [unrolled: 11-line block ×4, first 2 shown]
	s_waitcnt lgkmcnt(0)
	s_barrier
	s_cbranch_scc1 .LBB11_109
; %bb.108:
	ds_read_b64 v[7:8], v9 offset:32
	s_waitcnt lgkmcnt(0)
	s_barrier
	v_add_f64 v[2:3], v[2:3], v[7:8]
	ds_write_b64 v9, v[2:3]
.LBB11_109:
	s_cmp_eq_u32 s33, 2
	s_waitcnt lgkmcnt(0)
	s_barrier
	s_cbranch_scc1 .LBB11_111
; %bb.110:
	ds_read_b64 v[7:8], v9 offset:16
	s_waitcnt lgkmcnt(0)
	s_barrier
	v_add_f64 v[2:3], v[2:3], v[7:8]
	ds_write_b64 v9, v[2:3]
.LBB11_111:
	s_waitcnt lgkmcnt(0)
	s_barrier
	ds_read_b64 v[7:8], v9 offset:8
	v_cmp_eq_u32_e64 s[0:1], 0, v0
	s_xor_b64 s[2:3], vcc, -1
	s_and_b64 s[0:1], s[0:1], s[2:3]
	s_waitcnt lgkmcnt(0)
	v_add_f64 v[3:4], v[2:3], v[7:8]
	s_barrier
	ds_write_b64 v9, v[3:4]
	s_and_b64 exec, exec, s[0:1]
	s_cbranch_execz .LBB11_115
; %bb.112:
	v_cmp_neq_f64_e32 vcc, 0, v[5:6]
	v_ashrrev_i32_e32 v2, 31, v1
	v_lshlrev_b64 v[0:1], 3, v[1:2]
	s_and_saveexec_b64 s[0:1], vcc
	s_cbranch_execz .LBB11_114
; %bb.113:
	v_mov_b32_e32 v2, s35
	v_add_co_u32_e32 v7, vcc, s34, v0
	v_addc_co_u32_e32 v8, vcc, v2, v1, vcc
	global_load_dwordx2 v[7:8], v[7:8], off
	s_waitcnt vmcnt(0)
	v_fma_f64 v[3:4], v[5:6], v[7:8], v[3:4]
.LBB11_114:
	s_or_b64 exec, exec, s[0:1]
	v_mov_b32_e32 v2, s35
	v_add_co_u32_e32 v0, vcc, s34, v0
	v_addc_co_u32_e32 v1, vcc, v2, v1, vcc
	global_store_dwordx2 v[0:1], v[3:4], off
.LBB11_115:
	s_endpgm
	.section	.rodata,"a",@progbits
	.p2align	6, 0x0
	.amdhsa_kernel _ZN9rocsparseL22csrmvn_adaptive_kernelIiiddddEEvbT_PKS1_PjPKT0_NS_24const_host_device_scalarIT4_EES3_S7_PKT1_PKT2_SA_PT3_21rocsparse_index_base_b
		.amdhsa_group_segment_fixed_size 8192
		.amdhsa_private_segment_fixed_size 0
		.amdhsa_kernarg_size 96
		.amdhsa_user_sgpr_count 6
		.amdhsa_user_sgpr_private_segment_buffer 1
		.amdhsa_user_sgpr_dispatch_ptr 0
		.amdhsa_user_sgpr_queue_ptr 0
		.amdhsa_user_sgpr_kernarg_segment_ptr 1
		.amdhsa_user_sgpr_dispatch_id 0
		.amdhsa_user_sgpr_flat_scratch_init 0
		.amdhsa_user_sgpr_private_segment_size 0
		.amdhsa_uses_dynamic_stack 0
		.amdhsa_system_sgpr_private_segment_wavefront_offset 0
		.amdhsa_system_sgpr_workgroup_id_x 1
		.amdhsa_system_sgpr_workgroup_id_y 0
		.amdhsa_system_sgpr_workgroup_id_z 0
		.amdhsa_system_sgpr_workgroup_info 0
		.amdhsa_system_vgpr_workitem_id 0
		.amdhsa_next_free_vgpr 30
		.amdhsa_next_free_sgpr 61
		.amdhsa_reserve_vcc 1
		.amdhsa_reserve_flat_scratch 0
		.amdhsa_float_round_mode_32 0
		.amdhsa_float_round_mode_16_64 0
		.amdhsa_float_denorm_mode_32 3
		.amdhsa_float_denorm_mode_16_64 3
		.amdhsa_dx10_clamp 1
		.amdhsa_ieee_mode 1
		.amdhsa_fp16_overflow 0
		.amdhsa_exception_fp_ieee_invalid_op 0
		.amdhsa_exception_fp_denorm_src 0
		.amdhsa_exception_fp_ieee_div_zero 0
		.amdhsa_exception_fp_ieee_overflow 0
		.amdhsa_exception_fp_ieee_underflow 0
		.amdhsa_exception_fp_ieee_inexact 0
		.amdhsa_exception_int_div_zero 0
	.end_amdhsa_kernel
	.section	.text._ZN9rocsparseL22csrmvn_adaptive_kernelIiiddddEEvbT_PKS1_PjPKT0_NS_24const_host_device_scalarIT4_EES3_S7_PKT1_PKT2_SA_PT3_21rocsparse_index_base_b,"axG",@progbits,_ZN9rocsparseL22csrmvn_adaptive_kernelIiiddddEEvbT_PKS1_PjPKT0_NS_24const_host_device_scalarIT4_EES3_S7_PKT1_PKT2_SA_PT3_21rocsparse_index_base_b,comdat
.Lfunc_end11:
	.size	_ZN9rocsparseL22csrmvn_adaptive_kernelIiiddddEEvbT_PKS1_PjPKT0_NS_24const_host_device_scalarIT4_EES3_S7_PKT1_PKT2_SA_PT3_21rocsparse_index_base_b, .Lfunc_end11-_ZN9rocsparseL22csrmvn_adaptive_kernelIiiddddEEvbT_PKS1_PjPKT0_NS_24const_host_device_scalarIT4_EES3_S7_PKT1_PKT2_SA_PT3_21rocsparse_index_base_b
                                        ; -- End function
	.set _ZN9rocsparseL22csrmvn_adaptive_kernelIiiddddEEvbT_PKS1_PjPKT0_NS_24const_host_device_scalarIT4_EES3_S7_PKT1_PKT2_SA_PT3_21rocsparse_index_base_b.num_vgpr, 30
	.set _ZN9rocsparseL22csrmvn_adaptive_kernelIiiddddEEvbT_PKS1_PjPKT0_NS_24const_host_device_scalarIT4_EES3_S7_PKT1_PKT2_SA_PT3_21rocsparse_index_base_b.num_agpr, 0
	.set _ZN9rocsparseL22csrmvn_adaptive_kernelIiiddddEEvbT_PKS1_PjPKT0_NS_24const_host_device_scalarIT4_EES3_S7_PKT1_PKT2_SA_PT3_21rocsparse_index_base_b.numbered_sgpr, 52
	.set _ZN9rocsparseL22csrmvn_adaptive_kernelIiiddddEEvbT_PKS1_PjPKT0_NS_24const_host_device_scalarIT4_EES3_S7_PKT1_PKT2_SA_PT3_21rocsparse_index_base_b.num_named_barrier, 0
	.set _ZN9rocsparseL22csrmvn_adaptive_kernelIiiddddEEvbT_PKS1_PjPKT0_NS_24const_host_device_scalarIT4_EES3_S7_PKT1_PKT2_SA_PT3_21rocsparse_index_base_b.private_seg_size, 0
	.set _ZN9rocsparseL22csrmvn_adaptive_kernelIiiddddEEvbT_PKS1_PjPKT0_NS_24const_host_device_scalarIT4_EES3_S7_PKT1_PKT2_SA_PT3_21rocsparse_index_base_b.uses_vcc, 1
	.set _ZN9rocsparseL22csrmvn_adaptive_kernelIiiddddEEvbT_PKS1_PjPKT0_NS_24const_host_device_scalarIT4_EES3_S7_PKT1_PKT2_SA_PT3_21rocsparse_index_base_b.uses_flat_scratch, 0
	.set _ZN9rocsparseL22csrmvn_adaptive_kernelIiiddddEEvbT_PKS1_PjPKT0_NS_24const_host_device_scalarIT4_EES3_S7_PKT1_PKT2_SA_PT3_21rocsparse_index_base_b.has_dyn_sized_stack, 0
	.set _ZN9rocsparseL22csrmvn_adaptive_kernelIiiddddEEvbT_PKS1_PjPKT0_NS_24const_host_device_scalarIT4_EES3_S7_PKT1_PKT2_SA_PT3_21rocsparse_index_base_b.has_recursion, 0
	.set _ZN9rocsparseL22csrmvn_adaptive_kernelIiiddddEEvbT_PKS1_PjPKT0_NS_24const_host_device_scalarIT4_EES3_S7_PKT1_PKT2_SA_PT3_21rocsparse_index_base_b.has_indirect_call, 0
	.section	.AMDGPU.csdata,"",@progbits
; Kernel info:
; codeLenInByte = 4016
; TotalNumSgprs: 56
; NumVgprs: 30
; ScratchSize: 0
; MemoryBound: 0
; FloatMode: 240
; IeeeMode: 1
; LDSByteSize: 8192 bytes/workgroup (compile time only)
; SGPRBlocks: 8
; VGPRBlocks: 7
; NumSGPRsForWavesPerEU: 65
; NumVGPRsForWavesPerEU: 30
; Occupancy: 8
; WaveLimiterHint : 1
; COMPUTE_PGM_RSRC2:SCRATCH_EN: 0
; COMPUTE_PGM_RSRC2:USER_SGPR: 6
; COMPUTE_PGM_RSRC2:TRAP_HANDLER: 0
; COMPUTE_PGM_RSRC2:TGID_X_EN: 1
; COMPUTE_PGM_RSRC2:TGID_Y_EN: 0
; COMPUTE_PGM_RSRC2:TGID_Z_EN: 0
; COMPUTE_PGM_RSRC2:TIDIG_COMP_CNT: 0
	.section	.text._ZN9rocsparseL22partial_scale_y_kernelIiddEEvT_S1_S1_NS_24const_host_device_scalarIT1_EEPT0_b,"axG",@progbits,_ZN9rocsparseL22partial_scale_y_kernelIiddEEvT_S1_S1_NS_24const_host_device_scalarIT1_EEPT0_b,comdat
	.globl	_ZN9rocsparseL22partial_scale_y_kernelIiddEEvT_S1_S1_NS_24const_host_device_scalarIT1_EEPT0_b ; -- Begin function _ZN9rocsparseL22partial_scale_y_kernelIiddEEvT_S1_S1_NS_24const_host_device_scalarIT1_EEPT0_b
	.p2align	8
	.type	_ZN9rocsparseL22partial_scale_y_kernelIiddEEvT_S1_S1_NS_24const_host_device_scalarIT1_EEPT0_b,@function
_ZN9rocsparseL22partial_scale_y_kernelIiddEEvT_S1_S1_NS_24const_host_device_scalarIT1_EEPT0_b: ; @_ZN9rocsparseL22partial_scale_y_kernelIiddEEvT_S1_S1_NS_24const_host_device_scalarIT1_EEPT0_b
; %bb.0:
	s_load_dword s2, s[4:5], 0x20
	s_load_dwordx2 s[0:1], s[4:5], 0x10
	s_waitcnt lgkmcnt(0)
	s_bitcmp1_b32 s2, 0
	s_cselect_b64 s[2:3], -1, 0
	v_mov_b32_e32 v2, s1
	s_and_b64 vcc, exec, s[2:3]
	v_mov_b32_e32 v1, s0
	s_cbranch_vccnz .LBB12_2
; %bb.1:
	v_mov_b32_e32 v2, s1
	v_mov_b32_e32 v1, s0
	flat_load_dwordx2 v[1:2], v[1:2]
.LBB12_2:
	s_waitcnt vmcnt(0) lgkmcnt(0)
	v_cmp_neq_f64_e32 vcc, 1.0, v[1:2]
	s_and_saveexec_b64 s[0:1], vcc
	s_cbranch_execz .LBB12_15
; %bb.3:
	s_load_dwordx4 s[8:11], s[4:5], 0x0
	v_lshl_or_b32 v3, s6, 8, v0
	s_waitcnt lgkmcnt(0)
	s_add_i32 s0, s9, s8
	s_sub_i32 s0, s0, s10
	v_cmp_gt_i32_e32 vcc, s0, v3
	s_and_b64 exec, exec, vcc
	s_cbranch_execz .LBB12_15
; %bb.4:
	v_cmp_neq_f64_e32 vcc, 0, v[1:2]
	s_load_dwordx2 s[2:3], s[4:5], 0x18
	v_cmp_le_i32_e64 s[0:1], s9, v3
	s_and_saveexec_b64 s[4:5], s[0:1]
	s_xor_b64 s[4:5], exec, s[4:5]
	s_cbranch_execz .LBB12_10
; %bb.5:
	v_subrev_u32_e32 v0, s9, v3
	v_add_u32_e32 v3, s10, v0
	v_ashrrev_i32_e32 v4, 31, v3
	v_lshlrev_b64 v[3:4], 3, v[3:4]
	s_waitcnt lgkmcnt(0)
	v_mov_b32_e32 v0, s3
	v_add_co_u32_e64 v3, s[0:1], s2, v3
	v_addc_co_u32_e64 v4, s[0:1], v0, v4, s[0:1]
	s_and_saveexec_b64 s[0:1], vcc
	s_xor_b64 s[0:1], exec, s[0:1]
	s_cbranch_execz .LBB12_7
; %bb.6:
	global_load_dwordx2 v[5:6], v[3:4], off
	s_waitcnt vmcnt(0)
	v_mul_f64 v[0:1], v[1:2], v[5:6]
	global_store_dwordx2 v[3:4], v[0:1], off
                                        ; implicit-def: $vgpr3_vgpr4
.LBB12_7:
	s_andn2_saveexec_b64 s[0:1], s[0:1]
	s_cbranch_execz .LBB12_9
; %bb.8:
	v_mov_b32_e32 v0, 0
	v_mov_b32_e32 v1, v0
	global_store_dwordx2 v[3:4], v[0:1], off
.LBB12_9:
	s_or_b64 exec, exec, s[0:1]
                                        ; implicit-def: $vgpr3
                                        ; implicit-def: $vgpr1_vgpr2
.LBB12_10:
	s_andn2_saveexec_b64 s[0:1], s[4:5]
	s_cbranch_execz .LBB12_15
; %bb.11:
	v_ashrrev_i32_e32 v4, 31, v3
	v_lshlrev_b64 v[3:4], 3, v[3:4]
	s_waitcnt lgkmcnt(0)
	v_mov_b32_e32 v0, s3
	v_add_co_u32_e64 v3, s[0:1], s2, v3
	v_addc_co_u32_e64 v4, s[0:1], v0, v4, s[0:1]
	s_and_saveexec_b64 s[0:1], vcc
	s_xor_b64 s[0:1], exec, s[0:1]
	s_cbranch_execz .LBB12_13
; %bb.12:
	global_load_dwordx2 v[5:6], v[3:4], off
	s_waitcnt vmcnt(0)
	v_mul_f64 v[0:1], v[1:2], v[5:6]
	global_store_dwordx2 v[3:4], v[0:1], off
                                        ; implicit-def: $vgpr3_vgpr4
.LBB12_13:
	s_andn2_saveexec_b64 s[0:1], s[0:1]
	s_cbranch_execz .LBB12_15
; %bb.14:
	v_mov_b32_e32 v0, 0
	v_mov_b32_e32 v1, v0
	global_store_dwordx2 v[3:4], v[0:1], off
.LBB12_15:
	s_endpgm
	.section	.rodata,"a",@progbits
	.p2align	6, 0x0
	.amdhsa_kernel _ZN9rocsparseL22partial_scale_y_kernelIiddEEvT_S1_S1_NS_24const_host_device_scalarIT1_EEPT0_b
		.amdhsa_group_segment_fixed_size 0
		.amdhsa_private_segment_fixed_size 0
		.amdhsa_kernarg_size 36
		.amdhsa_user_sgpr_count 6
		.amdhsa_user_sgpr_private_segment_buffer 1
		.amdhsa_user_sgpr_dispatch_ptr 0
		.amdhsa_user_sgpr_queue_ptr 0
		.amdhsa_user_sgpr_kernarg_segment_ptr 1
		.amdhsa_user_sgpr_dispatch_id 0
		.amdhsa_user_sgpr_flat_scratch_init 0
		.amdhsa_user_sgpr_private_segment_size 0
		.amdhsa_uses_dynamic_stack 0
		.amdhsa_system_sgpr_private_segment_wavefront_offset 0
		.amdhsa_system_sgpr_workgroup_id_x 1
		.amdhsa_system_sgpr_workgroup_id_y 0
		.amdhsa_system_sgpr_workgroup_id_z 0
		.amdhsa_system_sgpr_workgroup_info 0
		.amdhsa_system_vgpr_workitem_id 0
		.amdhsa_next_free_vgpr 7
		.amdhsa_next_free_sgpr 12
		.amdhsa_reserve_vcc 1
		.amdhsa_reserve_flat_scratch 0
		.amdhsa_float_round_mode_32 0
		.amdhsa_float_round_mode_16_64 0
		.amdhsa_float_denorm_mode_32 3
		.amdhsa_float_denorm_mode_16_64 3
		.amdhsa_dx10_clamp 1
		.amdhsa_ieee_mode 1
		.amdhsa_fp16_overflow 0
		.amdhsa_exception_fp_ieee_invalid_op 0
		.amdhsa_exception_fp_denorm_src 0
		.amdhsa_exception_fp_ieee_div_zero 0
		.amdhsa_exception_fp_ieee_overflow 0
		.amdhsa_exception_fp_ieee_underflow 0
		.amdhsa_exception_fp_ieee_inexact 0
		.amdhsa_exception_int_div_zero 0
	.end_amdhsa_kernel
	.section	.text._ZN9rocsparseL22partial_scale_y_kernelIiddEEvT_S1_S1_NS_24const_host_device_scalarIT1_EEPT0_b,"axG",@progbits,_ZN9rocsparseL22partial_scale_y_kernelIiddEEvT_S1_S1_NS_24const_host_device_scalarIT1_EEPT0_b,comdat
.Lfunc_end12:
	.size	_ZN9rocsparseL22partial_scale_y_kernelIiddEEvT_S1_S1_NS_24const_host_device_scalarIT1_EEPT0_b, .Lfunc_end12-_ZN9rocsparseL22partial_scale_y_kernelIiddEEvT_S1_S1_NS_24const_host_device_scalarIT1_EEPT0_b
                                        ; -- End function
	.set _ZN9rocsparseL22partial_scale_y_kernelIiddEEvT_S1_S1_NS_24const_host_device_scalarIT1_EEPT0_b.num_vgpr, 7
	.set _ZN9rocsparseL22partial_scale_y_kernelIiddEEvT_S1_S1_NS_24const_host_device_scalarIT1_EEPT0_b.num_agpr, 0
	.set _ZN9rocsparseL22partial_scale_y_kernelIiddEEvT_S1_S1_NS_24const_host_device_scalarIT1_EEPT0_b.numbered_sgpr, 12
	.set _ZN9rocsparseL22partial_scale_y_kernelIiddEEvT_S1_S1_NS_24const_host_device_scalarIT1_EEPT0_b.num_named_barrier, 0
	.set _ZN9rocsparseL22partial_scale_y_kernelIiddEEvT_S1_S1_NS_24const_host_device_scalarIT1_EEPT0_b.private_seg_size, 0
	.set _ZN9rocsparseL22partial_scale_y_kernelIiddEEvT_S1_S1_NS_24const_host_device_scalarIT1_EEPT0_b.uses_vcc, 1
	.set _ZN9rocsparseL22partial_scale_y_kernelIiddEEvT_S1_S1_NS_24const_host_device_scalarIT1_EEPT0_b.uses_flat_scratch, 0
	.set _ZN9rocsparseL22partial_scale_y_kernelIiddEEvT_S1_S1_NS_24const_host_device_scalarIT1_EEPT0_b.has_dyn_sized_stack, 0
	.set _ZN9rocsparseL22partial_scale_y_kernelIiddEEvT_S1_S1_NS_24const_host_device_scalarIT1_EEPT0_b.has_recursion, 0
	.set _ZN9rocsparseL22partial_scale_y_kernelIiddEEvT_S1_S1_NS_24const_host_device_scalarIT1_EEPT0_b.has_indirect_call, 0
	.section	.AMDGPU.csdata,"",@progbits
; Kernel info:
; codeLenInByte = 372
; TotalNumSgprs: 16
; NumVgprs: 7
; ScratchSize: 0
; MemoryBound: 0
; FloatMode: 240
; IeeeMode: 1
; LDSByteSize: 0 bytes/workgroup (compile time only)
; SGPRBlocks: 1
; VGPRBlocks: 1
; NumSGPRsForWavesPerEU: 16
; NumVGPRsForWavesPerEU: 7
; Occupancy: 10
; WaveLimiterHint : 0
; COMPUTE_PGM_RSRC2:SCRATCH_EN: 0
; COMPUTE_PGM_RSRC2:USER_SGPR: 6
; COMPUTE_PGM_RSRC2:TRAP_HANDLER: 0
; COMPUTE_PGM_RSRC2:TGID_X_EN: 1
; COMPUTE_PGM_RSRC2:TGID_Y_EN: 0
; COMPUTE_PGM_RSRC2:TGID_Z_EN: 0
; COMPUTE_PGM_RSRC2:TIDIG_COMP_CNT: 0
	.section	.text._ZN9rocsparseL27csrmvn_symm_adaptive_kernelIiiddddEEvbT_S1_PKS1_NS_24const_host_device_scalarIT4_EES3_PKT0_PKT1_PKT2_S6_PT3_21rocsparse_index_base_b,"axG",@progbits,_ZN9rocsparseL27csrmvn_symm_adaptive_kernelIiiddddEEvbT_S1_PKS1_NS_24const_host_device_scalarIT4_EES3_PKT0_PKT1_PKT2_S6_PT3_21rocsparse_index_base_b,comdat
	.globl	_ZN9rocsparseL27csrmvn_symm_adaptive_kernelIiiddddEEvbT_S1_PKS1_NS_24const_host_device_scalarIT4_EES3_PKT0_PKT1_PKT2_S6_PT3_21rocsparse_index_base_b ; -- Begin function _ZN9rocsparseL27csrmvn_symm_adaptive_kernelIiiddddEEvbT_S1_PKS1_NS_24const_host_device_scalarIT4_EES3_PKT0_PKT1_PKT2_S6_PT3_21rocsparse_index_base_b
	.p2align	8
	.type	_ZN9rocsparseL27csrmvn_symm_adaptive_kernelIiiddddEEvbT_S1_PKS1_NS_24const_host_device_scalarIT4_EES3_PKT0_PKT1_PKT2_S6_PT3_21rocsparse_index_base_b,@function
_ZN9rocsparseL27csrmvn_symm_adaptive_kernelIiiddddEEvbT_S1_PKS1_NS_24const_host_device_scalarIT4_EES3_PKT0_PKT1_PKT2_S6_PT3_21rocsparse_index_base_b: ; @_ZN9rocsparseL27csrmvn_symm_adaptive_kernelIiiddddEEvbT_S1_PKS1_NS_24const_host_device_scalarIT4_EES3_PKT0_PKT1_PKT2_S6_PT3_21rocsparse_index_base_b
; %bb.0:
	s_load_dwordx2 s[24:25], s[4:5], 0x50
	s_load_dwordx2 s[8:9], s[4:5], 0x18
	s_load_dwordx2 s[0:1], s[4:5], 0x40
	s_waitcnt lgkmcnt(0)
	s_bitcmp1_b32 s25, 0
	s_cselect_b64 s[10:11], -1, 0
	v_mov_b32_e32 v7, s8
	s_xor_b64 s[2:3], s[10:11], -1
	s_and_b64 vcc, exec, s[10:11]
	v_mov_b32_e32 v8, s9
	s_cbranch_vccnz .LBB13_2
; %bb.1:
	v_mov_b32_e32 v1, s8
	v_mov_b32_e32 v2, s9
	flat_load_dwordx2 v[7:8], v[1:2]
.LBB13_2:
	v_mov_b32_e32 v2, s1
	s_andn2_b64 vcc, exec, s[2:3]
	v_mov_b32_e32 v1, s0
	s_cbranch_vccnz .LBB13_4
; %bb.3:
	v_mov_b32_e32 v2, s1
	v_mov_b32_e32 v1, s0
	flat_load_dwordx2 v[1:2], v[1:2]
.LBB13_4:
	s_waitcnt vmcnt(0) lgkmcnt(0)
	v_cmp_neq_f64_e32 vcc, 0, v[7:8]
	v_cmp_neq_f64_e64 s[0:1], 1.0, v[1:2]
	s_or_b64 s[0:1], vcc, s[0:1]
	s_and_saveexec_b64 s[2:3], s[0:1]
	s_cbranch_execz .LBB13_171
; %bb.5:
	s_load_dwordx2 s[0:1], s[4:5], 0x10
	s_mov_b32 s2, 0
	s_mov_b32 s3, s2
	v_mov_b32_e32 v1, s2
	s_ashr_i32 s7, s6, 31
	v_mov_b32_e32 v2, s3
	s_lshl_b64 s[2:3], s[6:7], 2
	s_waitcnt lgkmcnt(0)
	s_add_u32 s0, s0, s2
	v_lshlrev_b32_e32 v16, 3, v0
	s_addc_u32 s1, s1, s3
	ds_write2st64_b64 v16, v[1:2], v[1:2] offset1:4
	ds_write2st64_b64 v16, v[1:2], v[1:2] offset0:8 offset1:12
	s_waitcnt lgkmcnt(0)
	s_barrier
	s_load_dwordx2 s[22:23], s[0:1], 0x0
	s_load_dwordx8 s[12:19], s[4:5], 0x20
	s_load_dwordx2 s[20:21], s[4:5], 0x48
	s_mov_b64 s[0:1], -1
	v_subrev_u32_e32 v13, s24, v0
	s_waitcnt lgkmcnt(0)
	s_sub_i32 s25, s23, s22
	s_cmp_gt_i32 s25, 2
	s_cbranch_scc1 .LBB13_39
; %bb.6:
	s_cmp_le_i32 s23, s22
	s_cbranch_scc1 .LBB13_28
; %bb.7:
	v_cmp_gt_u32_e64 s[0:1], 64, v0
	v_cmp_gt_u32_e64 s[2:3], 16, v0
	;; [unrolled: 1-line block ×3, first 2 shown]
	v_cmp_eq_u32_e64 s[8:9], 0, v0
	v_mov_b32_e32 v11, 0
	s_mov_b32 s26, s22
	s_branch .LBB13_9
.LBB13_8:                               ;   in Loop: Header=BB13_9 Depth=1
	s_or_b64 exec, exec, s[10:11]
	s_add_i32 s26, s26, 1
	s_cmp_ge_i32 s26, s23
	s_cbranch_scc1 .LBB13_28
.LBB13_9:                               ; =>This Loop Header: Depth=1
                                        ;     Child Loop BB13_11 Depth 2
                                        ;     Child Loop BB13_23 Depth 2
	;; [unrolled: 1-line block ×3, first 2 shown]
	s_ashr_i32 s27, s26, 31
	s_lshl_b64 s[10:11], s[26:27], 2
	s_add_u32 s10, s12, s10
	s_addc_u32 s11, s13, s11
	s_load_dwordx2 s[28:29], s[10:11], 0x0
	v_mov_b32_e32 v2, 0
	v_mov_b32_e32 v3, 0
	s_waitcnt lgkmcnt(0)
	s_sub_i32 s33, s29, s24
	v_add_u32_e32 v1, s28, v13
	v_cmp_gt_i32_e32 vcc, s33, v1
	s_and_saveexec_b64 s[28:29], vcc
	s_cbranch_execz .LBB13_13
; %bb.10:                               ;   in Loop: Header=BB13_9 Depth=1
	v_ashrrev_i32_e32 v2, 31, v1
	v_lshlrev_b64 v[4:5], 2, v[1:2]
	v_mov_b32_e32 v3, s15
	v_add_co_u32_e32 v4, vcc, s14, v4
	v_addc_co_u32_e32 v5, vcc, v3, v5, vcc
	v_lshlrev_b64 v[2:3], 3, v[1:2]
	v_mov_b32_e32 v6, s17
	v_add_co_u32_e32 v9, vcc, s16, v2
	v_addc_co_u32_e32 v10, vcc, v6, v3, vcc
	v_mov_b32_e32 v2, 0
	v_mov_b32_e32 v3, 0
	s_mov_b64 s[30:31], 0
.LBB13_11:                              ;   Parent Loop BB13_9 Depth=1
                                        ; =>  This Inner Loop Header: Depth=2
	global_load_dword v6, v[4:5], off
	global_load_dwordx2 v[14:15], v[9:10], off
	v_mov_b32_e32 v12, s19
	v_add_u32_e32 v1, 0x100, v1
	v_cmp_le_i32_e64 s[10:11], s33, v1
	s_or_b64 s[30:31], s[10:11], s[30:31]
	s_waitcnt vmcnt(1)
	v_subrev_u32_e32 v17, s24, v6
	v_ashrrev_i32_e32 v18, 31, v17
	v_lshlrev_b64 v[17:18], 3, v[17:18]
	v_add_co_u32_e32 v17, vcc, s18, v17
	v_addc_co_u32_e32 v18, vcc, v12, v18, vcc
	global_load_dwordx2 v[17:18], v[17:18], off
	v_add_co_u32_e32 v4, vcc, 0x400, v4
	v_addc_co_u32_e32 v5, vcc, 0, v5, vcc
	v_add_co_u32_e32 v9, vcc, 0x800, v9
	v_addc_co_u32_e32 v10, vcc, 0, v10, vcc
	s_waitcnt vmcnt(0)
	v_fma_f64 v[2:3], v[14:15], v[17:18], v[2:3]
	s_andn2_b64 exec, exec, s[30:31]
	s_cbranch_execnz .LBB13_11
; %bb.12:                               ;   in Loop: Header=BB13_9 Depth=1
	s_or_b64 exec, exec, s[30:31]
.LBB13_13:                              ;   in Loop: Header=BB13_9 Depth=1
	s_or_b64 exec, exec, s[28:29]
	ds_write_b64 v16, v[2:3]
	s_waitcnt lgkmcnt(0)
	s_barrier
	ds_read2st64_b64 v[1:4], v16 offset1:4
	ds_read2st64_b64 v[17:20], v16 offset0:8 offset1:12
	s_waitcnt lgkmcnt(0)
	v_add_f64 v[3:4], v[3:4], v[17:18]
	v_add_f64 v[3:4], v[3:4], v[19:20]
	;; [unrolled: 1-line block ×3, first 2 shown]
	ds_write_b64 v16, v[1:2]
	s_waitcnt lgkmcnt(0)
	s_barrier
	s_and_saveexec_b64 s[10:11], s[0:1]
	s_cbranch_execz .LBB13_15
; %bb.14:                               ;   in Loop: Header=BB13_9 Depth=1
	ds_read2st64_b64 v[1:4], v16 offset1:1
	ds_read2st64_b64 v[17:20], v16 offset0:2 offset1:3
	s_waitcnt lgkmcnt(0)
	v_add_f64 v[3:4], v[3:4], v[17:18]
	v_add_f64 v[3:4], v[3:4], v[19:20]
	;; [unrolled: 1-line block ×3, first 2 shown]
	ds_write_b64 v16, v[1:2]
.LBB13_15:                              ;   in Loop: Header=BB13_9 Depth=1
	s_or_b64 exec, exec, s[10:11]
	s_waitcnt lgkmcnt(0)
	s_barrier
	s_and_saveexec_b64 s[10:11], s[2:3]
	s_cbranch_execz .LBB13_17
; %bb.16:                               ;   in Loop: Header=BB13_9 Depth=1
	ds_read2_b64 v[1:4], v16 offset1:16
	ds_read2_b64 v[17:20], v16 offset0:32 offset1:48
	s_waitcnt lgkmcnt(0)
	v_add_f64 v[3:4], v[3:4], v[17:18]
	v_add_f64 v[3:4], v[3:4], v[19:20]
	;; [unrolled: 1-line block ×3, first 2 shown]
	ds_write_b64 v16, v[1:2]
.LBB13_17:                              ;   in Loop: Header=BB13_9 Depth=1
	s_or_b64 exec, exec, s[10:11]
	s_waitcnt lgkmcnt(0)
	s_barrier
	s_and_saveexec_b64 s[10:11], s[6:7]
	s_cbranch_execz .LBB13_19
; %bb.18:                               ;   in Loop: Header=BB13_9 Depth=1
	ds_read2_b64 v[1:4], v16 offset1:4
	ds_read2_b64 v[17:20], v16 offset0:8 offset1:12
	s_waitcnt lgkmcnt(0)
	v_add_f64 v[3:4], v[3:4], v[17:18]
	v_add_f64 v[3:4], v[3:4], v[19:20]
	;; [unrolled: 1-line block ×3, first 2 shown]
	ds_write_b64 v16, v[1:2]
.LBB13_19:                              ;   in Loop: Header=BB13_9 Depth=1
	s_or_b64 exec, exec, s[10:11]
	s_waitcnt lgkmcnt(0)
	s_barrier
	s_and_saveexec_b64 s[10:11], s[8:9]
	s_cbranch_execz .LBB13_21
; %bb.20:                               ;   in Loop: Header=BB13_9 Depth=1
	ds_read2_b64 v[1:4], v11 offset0:1 offset1:2
	ds_read_b64 v[5:6], v16
	s_waitcnt lgkmcnt(1)
	v_add_f64 v[1:2], v[1:2], v[3:4]
	ds_read_b64 v[3:4], v11 offset:24
	s_waitcnt lgkmcnt(0)
	v_add_f64 v[1:2], v[1:2], v[3:4]
	v_add_f64 v[1:2], v[5:6], v[1:2]
	ds_write_b64 v16, v[1:2]
.LBB13_21:                              ;   in Loop: Header=BB13_9 Depth=1
	s_or_b64 exec, exec, s[10:11]
	s_waitcnt lgkmcnt(0)
	s_barrier
	s_and_saveexec_b64 s[10:11], s[8:9]
	s_cbranch_execz .LBB13_8
; %bb.22:                               ;   in Loop: Header=BB13_9 Depth=1
	ds_read_b64 v[1:2], v11
	v_mov_b32_e32 v5, 0
	s_mov_b64 s[28:29], exec
	v_bfrev_b32_e32 v6, 1
	s_waitcnt lgkmcnt(0)
	v_mul_f64 v[1:2], v[7:8], v[1:2]
.LBB13_23:                              ;   Parent Loop BB13_9 Depth=1
                                        ; =>  This Inner Loop Header: Depth=2
	s_ff1_i32_b64 s33, s[28:29]
	v_readlane_b32 s31, v2, s33
	v_readlane_b32 s30, v1, s33
	v_add_f64 v[5:6], v[5:6], s[30:31]
	s_lshl_b64 s[30:31], 1, s33
	s_andn2_b64 s[28:29], s[28:29], s[30:31]
	s_cmp_lg_u64 s[28:29], 0
	s_cbranch_scc1 .LBB13_23
; %bb.24:                               ;   in Loop: Header=BB13_9 Depth=1
	v_mbcnt_lo_u32_b32 v1, exec_lo, 0
	v_mbcnt_hi_u32_b32 v1, exec_hi, v1
	v_cmp_eq_u32_e32 vcc, 0, v1
	s_and_saveexec_b64 s[28:29], vcc
	s_xor_b64 s[28:29], exec, s[28:29]
	s_cbranch_execz .LBB13_8
; %bb.25:                               ;   in Loop: Header=BB13_9 Depth=1
	s_lshl_b64 s[28:29], s[26:27], 3
	s_add_u32 s28, s20, s28
	s_addc_u32 s29, s21, s29
	global_load_dwordx2 v[3:4], v11, s[28:29]
	s_mov_b64 s[30:31], 0
.LBB13_26:                              ;   Parent Loop BB13_9 Depth=1
                                        ; =>  This Inner Loop Header: Depth=2
	s_waitcnt vmcnt(0)
	v_add_f64 v[1:2], v[3:4], v[5:6]
	global_atomic_cmpswap_x2 v[1:2], v11, v[1:4], s[28:29] glc
	s_waitcnt vmcnt(0)
	v_cmp_eq_u64_e32 vcc, v[1:2], v[3:4]
	v_mov_b32_e32 v4, v2
	s_or_b64 s[30:31], vcc, s[30:31]
	v_mov_b32_e32 v3, v1
	s_andn2_b64 exec, exec, s[30:31]
	s_cbranch_execnz .LBB13_26
; %bb.27:                               ;   in Loop: Header=BB13_9 Depth=1
	s_or_b64 exec, exec, s[30:31]
	s_branch .LBB13_8
.LBB13_28:
	s_ashr_i32 s1, s22, 31
	s_mov_b32 s0, s22
	s_lshl_b64 s[0:1], s[0:1], 2
	s_add_u32 s0, s12, s0
	s_addc_u32 s1, s13, s1
	s_ashr_i32 s3, s23, 31
	s_mov_b32 s2, s23
	s_lshl_b64 s[2:3], s[2:3], 2
	s_add_u32 s2, s12, s2
	s_addc_u32 s3, s13, s3
	s_load_dword s6, s[2:3], 0x0
	s_load_dword s7, s[0:1], 0x0
	s_waitcnt lgkmcnt(0)
	s_sub_i32 s26, s6, s24
	v_add_u32_e32 v5, s7, v13
	v_cmp_gt_i32_e32 vcc, s26, v5
	s_and_saveexec_b64 s[6:7], vcc
	s_cbranch_execz .LBB13_38
; %bb.29:
	s_add_i32 s27, s23, -1
	s_cmp_lt_i32 s22, s27
	s_cselect_b64 s[0:1], -1, 0
	s_add_i32 s2, s23, -2
	s_cmp_lg_u32 s22, s2
	s_cselect_b64 s[2:3], -1, 0
	s_and_b64 s[0:1], s[0:1], s[2:3]
	v_cndmask_b32_e64 v1, 0, 1, s[0:1]
	s_mov_b64 s[8:9], 0
	v_cmp_ne_u32_e64 s[0:1], 1, v1
	v_mov_b32_e32 v14, s13
	v_mov_b32_e32 v15, s15
	s_branch .LBB13_31
.LBB13_30:                              ;   in Loop: Header=BB13_31 Depth=1
	s_or_b64 exec, exec, s[2:3]
	v_add_u32_e32 v5, 0x100, v5
	v_cmp_le_i32_e32 vcc, s26, v5
	s_or_b64 s[8:9], vcc, s[8:9]
	s_andn2_b64 exec, exec, s[8:9]
	s_cbranch_execz .LBB13_38
.LBB13_31:                              ; =>This Loop Header: Depth=1
                                        ;     Child Loop BB13_33 Depth 2
                                        ;     Child Loop BB13_37 Depth 2
	s_and_b64 vcc, exec, s[0:1]
	v_mov_b32_e32 v3, s22
	v_mov_b32_e32 v1, s27
	s_cbranch_vccnz .LBB13_35
; %bb.32:                               ;   in Loop: Header=BB13_31 Depth=1
	s_mov_b64 s[10:11], 0
	v_mov_b32_e32 v3, s22
	v_mov_b32_e32 v1, s27
.LBB13_33:                              ;   Parent Loop BB13_31 Depth=1
                                        ; =>  This Inner Loop Header: Depth=2
	v_add_u32_e32 v2, v1, v3
	v_lshrrev_b32_e32 v6, 31, v2
	v_add_u32_e32 v2, v2, v6
	v_ashrrev_i32_e32 v9, 1, v2
	v_ashrrev_i32_e32 v10, 31, v9
	v_lshlrev_b64 v[10:11], 2, v[9:10]
	v_mov_b32_e32 v4, s13
	v_add_co_u32_e32 v10, vcc, s12, v10
	v_addc_co_u32_e32 v11, vcc, v4, v11, vcc
	global_load_dword v2, v[10:11], off
	s_waitcnt vmcnt(0)
	v_subrev_u32_e32 v2, s24, v2
	v_cmp_lt_i32_e32 vcc, v5, v2
	v_cndmask_b32_e32 v1, v1, v9, vcc
	v_cndmask_b32_e32 v3, v9, v3, vcc
	v_add_u32_e32 v2, -1, v1
	v_cmp_ge_i32_e32 vcc, v3, v1
	v_cmp_eq_u32_e64 s[2:3], v3, v2
	s_or_b64 s[2:3], vcc, s[2:3]
	s_and_b64 s[2:3], exec, s[2:3]
	s_or_b64 s[10:11], s[2:3], s[10:11]
	s_andn2_b64 exec, exec, s[10:11]
	s_cbranch_execnz .LBB13_33
; %bb.34:                               ;   in Loop: Header=BB13_31 Depth=1
	s_or_b64 exec, exec, s[10:11]
.LBB13_35:                              ;   in Loop: Header=BB13_31 Depth=1
	v_ashrrev_i32_e32 v2, 31, v1
	v_lshlrev_b64 v[9:10], 2, v[1:2]
	v_ashrrev_i32_e32 v6, 31, v5
	v_add_co_u32_e32 v9, vcc, s12, v9
	v_addc_co_u32_e32 v10, vcc, v14, v10, vcc
	global_load_dword v2, v[9:10], off
	v_lshlrev_b64 v[9:10], 2, v[5:6]
	v_add_co_u32_e32 v9, vcc, s14, v9
	v_addc_co_u32_e32 v10, vcc, v15, v10, vcc
	global_load_dword v4, v[9:10], off
	s_waitcnt vmcnt(1)
	v_subrev_u32_e32 v2, s24, v2
	v_cmp_lt_i32_e32 vcc, v5, v2
	v_cndmask_b32_e32 v2, v1, v3, vcc
	s_waitcnt vmcnt(0)
	v_subrev_u32_e32 v1, s24, v4
	v_cmp_ne_u32_e32 vcc, v1, v2
	s_and_saveexec_b64 s[2:3], vcc
	s_cbranch_execz .LBB13_30
; %bb.36:                               ;   in Loop: Header=BB13_31 Depth=1
	v_lshlrev_b64 v[3:4], 3, v[5:6]
	v_mov_b32_e32 v6, s17
	v_add_co_u32_e32 v3, vcc, s16, v3
	v_addc_co_u32_e32 v4, vcc, v6, v4, vcc
	global_load_dwordx2 v[11:12], v[3:4], off
	v_ashrrev_i32_e32 v3, 31, v2
	v_lshlrev_b64 v[2:3], 3, v[2:3]
	v_mov_b32_e32 v4, s19
	v_add_co_u32_e32 v2, vcc, s18, v2
	v_addc_co_u32_e32 v3, vcc, v4, v3, vcc
	global_load_dwordx2 v[17:18], v[2:3], off
	v_ashrrev_i32_e32 v2, 31, v1
	v_lshlrev_b64 v[1:2], 3, v[1:2]
	v_mov_b32_e32 v3, s21
	v_add_co_u32_e32 v9, vcc, s20, v1
	v_addc_co_u32_e32 v10, vcc, v3, v2, vcc
	global_load_dwordx2 v[3:4], v[9:10], off
	s_mov_b64 s[10:11], 0
	s_waitcnt vmcnt(2)
	v_mul_f64 v[1:2], v[7:8], v[11:12]
	s_waitcnt vmcnt(1)
	v_mul_f64 v[11:12], v[1:2], v[17:18]
.LBB13_37:                              ;   Parent Loop BB13_31 Depth=1
                                        ; =>  This Inner Loop Header: Depth=2
	s_waitcnt vmcnt(0)
	v_add_f64 v[1:2], v[3:4], v[11:12]
	global_atomic_cmpswap_x2 v[1:2], v[9:10], v[1:4], off glc
	s_waitcnt vmcnt(0)
	v_cmp_eq_u64_e32 vcc, v[1:2], v[3:4]
	v_mov_b32_e32 v4, v2
	s_or_b64 s[10:11], vcc, s[10:11]
	v_mov_b32_e32 v3, v1
	s_andn2_b64 exec, exec, s[10:11]
	s_cbranch_execnz .LBB13_37
	s_branch .LBB13_30
.LBB13_38:
	s_or_b64 exec, exec, s[6:7]
	s_mov_b64 s[0:1], 0
.LBB13_39:
	s_and_b64 vcc, exec, s[0:1]
	s_cbranch_vccz .LBB13_171
; %bb.40:
	v_cvt_f32_u32_e32 v1, s25
	s_ashr_i32 s1, s22, 31
	s_mov_b32 s0, s22
	s_sub_i32 s2, 0, s25
	v_rcp_iflag_f32_e32 v1, v1
	s_lshl_b64 s[0:1], s[0:1], 2
	s_add_u32 s6, s12, s0
	s_addc_u32 s7, s13, s1
	v_mul_f32_e32 v1, 0x4f7ffffe, v1
	v_cvt_u32_f32_e32 v1, v1
	s_load_dword s30, s[6:7], 0x0
	s_load_dwordx2 s[8:9], s[4:5], 0x4
	s_load_dword s26, s[4:5], 0x64
	s_waitcnt lgkmcnt(0)
	v_add_u32_e32 v5, s30, v13
	v_readfirstlane_b32 s27, v1
	s_mul_i32 s2, s2, s27
	v_add_u32_e32 v17, 0x300, v5
	s_mul_hi_u32 s28, s27, s2
	v_cmp_le_i32_e64 s[0:1], s8, v17
	s_and_saveexec_b64 s[2:3], s[0:1]
	s_xor_b64 s[2:3], exec, s[2:3]
	s_cbranch_execz .LBB13_45
; %bb.41:
	s_ashr_i32 s5, s23, 31
	s_mov_b32 s4, s23
	s_lshl_b64 s[4:5], s[4:5], 2
	s_add_u32 s4, s12, s4
	s_addc_u32 s5, s13, s5
	s_load_dword s4, s[4:5], 0x0
	s_waitcnt lgkmcnt(0)
	s_sub_i32 s8, s4, s30
	v_cmp_gt_i32_e32 vcc, s8, v0
	s_and_saveexec_b64 s[4:5], vcc
	s_cbranch_execz .LBB13_44
; %bb.42:
	s_sub_i32 s29, s30, s24
	s_mov_b64 s[10:11], 0
	v_mov_b32_e32 v1, s17
	v_mov_b32_e32 v2, v16
	;; [unrolled: 1-line block ×3, first 2 shown]
.LBB13_43:                              ; =>This Inner Loop Header: Depth=1
	v_add_u32_e32 v9, s29, v3
	v_ashrrev_i32_e32 v10, 31, v9
	v_lshlrev_b64 v[9:10], 3, v[9:10]
	v_add_u32_e32 v3, 0x100, v3
	v_add_co_u32_e32 v9, vcc, s16, v9
	v_addc_co_u32_e32 v10, vcc, v1, v10, vcc
	global_load_dwordx2 v[9:10], v[9:10], off
	v_cmp_le_i32_e32 vcc, s8, v3
	s_or_b64 s[10:11], vcc, s[10:11]
	s_waitcnt vmcnt(0)
	v_mul_f64 v[9:10], v[7:8], v[9:10]
	ds_write_b64 v2, v[9:10]
	v_add_u32_e32 v2, 0x800, v2
	s_andn2_b64 exec, exec, s[10:11]
	s_cbranch_execnz .LBB13_43
.LBB13_44:
	s_or_b64 exec, exec, s[4:5]
                                        ; implicit-def: $vgpr7_vgpr8
.LBB13_45:
	s_or_saveexec_b64 s[2:3], s[2:3]
	s_and_b32 s31, s26, 0xffff
	s_add_i32 s27, s27, s28
	v_ashrrev_i32_e32 v6, 31, v5
	s_xor_b64 exec, exec, s[2:3]
	s_cbranch_execz .LBB13_47
; %bb.46:
	v_lshlrev_b64 v[1:2], 3, v[5:6]
	v_mov_b32_e32 v3, s17
	v_add_co_u32_e32 v1, vcc, s16, v1
	v_addc_co_u32_e32 v2, vcc, v3, v2, vcc
	v_add_co_u32_e32 v3, vcc, 0x1000, v1
	v_addc_co_u32_e32 v4, vcc, 0, v2, vcc
	global_load_dwordx2 v[9:10], v[1:2], off
	global_load_dwordx2 v[11:12], v[1:2], off offset:2048
	global_load_dwordx2 v[13:14], v[3:4], off
	global_load_dwordx2 v[18:19], v[3:4], off offset:2048
	s_waitcnt vmcnt(3)
	v_mul_f64 v[1:2], v[7:8], v[9:10]
	s_waitcnt vmcnt(2)
	v_mul_f64 v[3:4], v[7:8], v[11:12]
	;; [unrolled: 2-line block ×4, first 2 shown]
	ds_write2st64_b64 v16, v[1:2], v[3:4] offset1:4
	ds_write2st64_b64 v16, v[9:10], v[7:8] offset0:8 offset1:12
.LBB13_47:
	s_or_b64 exec, exec, s[2:3]
	s_mul_hi_u32 s8, s31, s27
	v_cmp_gt_i32_e32 vcc, s9, v0
	s_and_saveexec_b64 s[2:3], vcc
	s_cbranch_execz .LBB13_50
; %bb.48:
	v_mov_b32_e32 v1, 0x2000
	v_lshl_add_u32 v3, v0, 3, v1
	v_mov_b32_e32 v1, 0
	s_mov_b64 s[4:5], 0
	v_mov_b32_e32 v2, v1
	v_mov_b32_e32 v4, v0
.LBB13_49:                              ; =>This Inner Loop Header: Depth=1
	v_add_u32_e32 v4, 0x100, v4
	v_cmp_le_i32_e32 vcc, s9, v4
	ds_write_b64 v3, v[1:2]
	s_or_b64 s[4:5], vcc, s[4:5]
	v_add_u32_e32 v3, 0x800, v3
	s_andn2_b64 exec, exec, s[4:5]
	s_cbranch_execnz .LBB13_49
.LBB13_50:
	s_or_b64 exec, exec, s[2:3]
	s_sub_i32 s2, s23, s9
	s_cmp_ge_i32 s23, s9
	s_cselect_b32 s33, s2, 0
	s_waitcnt lgkmcnt(0)
	s_barrier
	s_and_saveexec_b64 s[2:3], s[0:1]
	s_xor_b64 s[4:5], exec, s[2:3]
	s_cbranch_execz .LBB13_71
; %bb.51:
	s_ashr_i32 s1, s23, 31
	s_mov_b32 s0, s23
	s_lshl_b64 s[0:1], s[0:1], 2
	s_add_u32 s0, s12, s0
	s_addc_u32 s1, s13, s1
	s_load_dword s0, s[0:1], 0x0
	s_waitcnt lgkmcnt(0)
	s_sub_i32 s34, s0, s30
	v_cmp_gt_i32_e32 vcc, s34, v0
	s_and_saveexec_b64 s[10:11], vcc
	s_cbranch_execz .LBB13_70
; %bb.52:
	s_add_i32 s35, s23, -1
	s_add_i32 s1, s23, -2
	s_cmp_lg_u32 s22, s1
	s_cselect_b64 s[2:3], -1, 0
	v_cndmask_b32_e64 v1, 0, 1, s[2:3]
	s_sub_i32 s36, s0, s24
	s_mov_b32 s37, 0
	s_mov_b64 s[16:17], 0
	v_cmp_ne_u32_e64 s[0:1], 1, v1
	v_mov_b32_e32 v14, s13
	v_mov_b32_e32 v15, s15
	;; [unrolled: 1-line block ×4, first 2 shown]
	s_branch .LBB13_55
.LBB13_53:                              ;   in Loop: Header=BB13_55 Depth=1
	s_or_b64 exec, exec, s[2:3]
.LBB13_54:                              ;   in Loop: Header=BB13_55 Depth=1
	s_or_b64 exec, exec, s[26:27]
	v_ashrrev_i32_e32 v7, 31, v6
	v_lshlrev_b64 v[1:2], 3, v[6:7]
	s_addk_i32 s37, 0x100
	v_add_co_u32_e32 v1, vcc, s18, v1
	v_addc_co_u32_e32 v2, vcc, v17, v2, vcc
	global_load_dwordx2 v[1:2], v[1:2], off
	v_add_u32_e32 v3, s37, v0
	v_cmp_le_i32_e32 vcc, s34, v3
	s_or_b64 s[16:17], vcc, s[16:17]
	s_waitcnt vmcnt(0) lgkmcnt(0)
	v_mul_f64 v[1:2], v[1:2], v[8:9]
	ds_write_b64 v19, v[1:2]
	s_andn2_b64 exec, exec, s[16:17]
	s_cbranch_execz .LBB13_70
.LBB13_55:                              ; =>This Loop Header: Depth=1
                                        ;     Child Loop BB13_57 Depth 2
                                        ;     Child Loop BB13_64 Depth 2
	;; [unrolled: 1-line block ×3, first 2 shown]
	v_add_u32_e32 v1, s37, v5
	s_and_b64 vcc, exec, s[0:1]
	v_mov_b32_e32 v7, s22
	v_mov_b32_e32 v3, s35
	s_cbranch_vccnz .LBB13_59
; %bb.56:                               ;   in Loop: Header=BB13_55 Depth=1
	s_mov_b64 s[26:27], 0
	v_mov_b32_e32 v7, s22
	v_mov_b32_e32 v3, s35
.LBB13_57:                              ;   Parent Loop BB13_55 Depth=1
                                        ; =>  This Inner Loop Header: Depth=2
	v_add_u32_e32 v2, v3, v7
	v_lshrrev_b32_e32 v6, 31, v2
	v_add_u32_e32 v2, v2, v6
	v_ashrrev_i32_e32 v8, 1, v2
	v_ashrrev_i32_e32 v9, 31, v8
	v_lshlrev_b64 v[9:10], 2, v[8:9]
	v_mov_b32_e32 v4, s13
	v_add_co_u32_e32 v9, vcc, s12, v9
	v_addc_co_u32_e32 v10, vcc, v4, v10, vcc
	global_load_dword v2, v[9:10], off
	s_waitcnt vmcnt(0)
	v_subrev_u32_e32 v2, s24, v2
	v_cmp_lt_i32_e32 vcc, v1, v2
	v_cndmask_b32_e32 v3, v3, v8, vcc
	v_cndmask_b32_e32 v7, v8, v7, vcc
	v_add_u32_e32 v2, -1, v3
	v_cmp_ge_i32_e32 vcc, v7, v3
	v_cmp_eq_u32_e64 s[2:3], v7, v2
	s_or_b64 s[2:3], vcc, s[2:3]
	s_and_b64 s[2:3], exec, s[2:3]
	s_or_b64 s[26:27], s[2:3], s[26:27]
	s_andn2_b64 exec, exec, s[26:27]
	s_cbranch_execnz .LBB13_57
; %bb.58:                               ;   in Loop: Header=BB13_55 Depth=1
	s_or_b64 exec, exec, s[26:27]
.LBB13_59:                              ;   in Loop: Header=BB13_55 Depth=1
	v_ashrrev_i32_e32 v4, 31, v3
	v_lshlrev_b64 v[8:9], 2, v[3:4]
	v_ashrrev_i32_e32 v2, 31, v1
	v_add_co_u32_e32 v8, vcc, s12, v8
	v_addc_co_u32_e32 v9, vcc, v14, v9, vcc
	global_load_dword v4, v[8:9], off
	v_lshlrev_b64 v[8:9], 2, v[1:2]
	v_lshl_add_u32 v19, s37, 3, v16
	v_add_co_u32_e32 v8, vcc, s14, v8
	v_addc_co_u32_e32 v9, vcc, v15, v9, vcc
	global_load_dword v2, v[8:9], off
	v_cmp_le_i32_e32 vcc, s36, v1
                                        ; implicit-def: $vgpr8_vgpr9
	s_waitcnt vmcnt(1)
	v_subrev_u32_e32 v4, s24, v4
	v_cmp_lt_i32_e64 s[2:3], v1, v4
	v_cndmask_b32_e64 v1, v3, v7, s[2:3]
	s_waitcnt vmcnt(0)
	v_subrev_u32_e32 v6, s24, v2
	v_cmp_eq_u32_e64 s[2:3], v6, v1
	s_or_b64 s[2:3], s[2:3], vcc
	s_and_saveexec_b64 s[26:27], s[2:3]
	s_xor_b64 s[2:3], exec, s[26:27]
; %bb.60:                               ;   in Loop: Header=BB13_55 Depth=1
	ds_read_b64 v[8:9], v19
                                        ; implicit-def: $vgpr1
; %bb.61:                               ;   in Loop: Header=BB13_55 Depth=1
	s_andn2_saveexec_b64 s[26:27], s[2:3]
	s_cbranch_execz .LBB13_54
; %bb.62:                               ;   in Loop: Header=BB13_55 Depth=1
	v_ashrrev_i32_e32 v2, 31, v1
	v_lshlrev_b64 v[1:2], 3, v[1:2]
	v_mov_b32_e32 v3, s19
	v_add_co_u32_e32 v1, vcc, s18, v1
	v_addc_co_u32_e32 v2, vcc, v3, v2, vcc
	global_load_dwordx2 v[1:2], v[1:2], off
	s_waitcnt lgkmcnt(0)
	ds_read_b64 v[8:9], v19
	v_cmp_gt_i32_e32 vcc, s33, v6
	v_cmp_le_i32_e64 s[2:3], s23, v6
	s_or_b64 s[2:3], vcc, s[2:3]
	s_waitcnt vmcnt(0) lgkmcnt(0)
	v_mul_f64 v[10:11], v[8:9], v[1:2]
	s_and_saveexec_b64 s[28:29], s[2:3]
	s_xor_b64 s[2:3], exec, s[28:29]
	s_cbranch_execz .LBB13_66
; %bb.63:                               ;   in Loop: Header=BB13_55 Depth=1
	v_ashrrev_i32_e32 v7, 31, v6
	v_lshlrev_b64 v[1:2], 3, v[6:7]
	v_mov_b32_e32 v3, s21
	v_add_co_u32_e32 v12, vcc, s20, v1
	v_addc_co_u32_e32 v13, vcc, v3, v2, vcc
	global_load_dwordx2 v[3:4], v[12:13], off
	s_mov_b64 s[28:29], 0
.LBB13_64:                              ;   Parent Loop BB13_55 Depth=1
                                        ; =>  This Inner Loop Header: Depth=2
	s_waitcnt vmcnt(0)
	v_add_f64 v[1:2], v[3:4], v[10:11]
	global_atomic_cmpswap_x2 v[1:2], v[12:13], v[1:4], off glc
	s_waitcnt vmcnt(0)
	v_cmp_eq_u64_e32 vcc, v[1:2], v[3:4]
	v_mov_b32_e32 v4, v2
	s_or_b64 s[28:29], vcc, s[28:29]
	v_mov_b32_e32 v3, v1
	s_andn2_b64 exec, exec, s[28:29]
	s_cbranch_execnz .LBB13_64
; %bb.65:                               ;   in Loop: Header=BB13_55 Depth=1
	s_or_b64 exec, exec, s[28:29]
                                        ; implicit-def: $vgpr10_vgpr11
.LBB13_66:                              ;   in Loop: Header=BB13_55 Depth=1
	s_andn2_saveexec_b64 s[2:3], s[2:3]
	s_cbranch_execz .LBB13_53
; %bb.67:                               ;   in Loop: Header=BB13_55 Depth=1
	v_subrev_u32_e32 v1, s33, v6
	v_lshl_add_u32 v3, v1, 3, v18
	ds_read_b64 v[1:2], v3
	s_mov_b64 s[28:29], 0
.LBB13_68:                              ;   Parent Loop BB13_55 Depth=1
                                        ; =>  This Inner Loop Header: Depth=2
	s_waitcnt lgkmcnt(0)
	v_add_f64 v[12:13], v[1:2], v[10:11]
	ds_cmpst_rtn_b64 v[12:13], v3, v[1:2], v[12:13]
	s_waitcnt lgkmcnt(0)
	v_cmp_eq_u64_e32 vcc, v[12:13], v[1:2]
	v_mov_b32_e32 v1, v12
	s_or_b64 s[28:29], vcc, s[28:29]
	v_mov_b32_e32 v2, v13
	s_andn2_b64 exec, exec, s[28:29]
	s_cbranch_execnz .LBB13_68
; %bb.69:                               ;   in Loop: Header=BB13_55 Depth=1
	s_or_b64 exec, exec, s[28:29]
	s_branch .LBB13_53
.LBB13_70:
	s_or_b64 exec, exec, s[10:11]
                                        ; implicit-def: $vgpr17
                                        ; implicit-def: $vgpr5
.LBB13_71:
	s_andn2_saveexec_b64 s[4:5], s[4:5]
	s_cbranch_execz .LBB13_141
; %bb.72:
	s_add_i32 s28, s23, -1
	s_add_i32 s0, s23, -2
	s_cmp_lg_u32 s22, s0
	s_cselect_b64 s[2:3], -1, 0
	s_cmp_eq_u32 s22, s0
	v_mov_b32_e32 v3, s22
	v_mov_b32_e32 v1, s28
	s_cbranch_scc1 .LBB13_76
; %bb.73:
	s_mov_b64 s[10:11], 0
	v_mov_b32_e32 v3, s22
	v_mov_b32_e32 v1, s28
	;; [unrolled: 1-line block ×3, first 2 shown]
.LBB13_74:                              ; =>This Inner Loop Header: Depth=1
	v_add_u32_e32 v4, v1, v3
	v_lshrrev_b32_e32 v7, 31, v4
	v_add_u32_e32 v4, v4, v7
	v_ashrrev_i32_e32 v7, 1, v4
	v_ashrrev_i32_e32 v8, 31, v7
	v_lshlrev_b64 v[8:9], 2, v[7:8]
	v_add_co_u32_e32 v8, vcc, s12, v8
	v_addc_co_u32_e32 v9, vcc, v2, v9, vcc
	global_load_dword v4, v[8:9], off
	s_waitcnt vmcnt(0)
	v_subrev_u32_e32 v4, s24, v4
	v_cmp_lt_i32_e32 vcc, v5, v4
	v_cndmask_b32_e32 v1, v1, v7, vcc
	v_cndmask_b32_e32 v3, v7, v3, vcc
	v_add_u32_e32 v4, -1, v1
	v_cmp_ge_i32_e32 vcc, v3, v1
	v_cmp_eq_u32_e64 s[0:1], v3, v4
	s_or_b64 s[0:1], vcc, s[0:1]
	s_and_b64 s[0:1], exec, s[0:1]
	s_or_b64 s[10:11], s[0:1], s[10:11]
	s_andn2_b64 exec, exec, s[10:11]
	s_cbranch_execnz .LBB13_74
; %bb.75:
	s_or_b64 exec, exec, s[10:11]
.LBB13_76:
	v_ashrrev_i32_e32 v2, 31, v1
	v_lshlrev_b64 v[7:8], 2, v[1:2]
	v_mov_b32_e32 v2, s13
	v_add_co_u32_e32 v7, vcc, s12, v7
	v_addc_co_u32_e32 v8, vcc, v2, v8, vcc
	global_load_dword v2, v[7:8], off
	v_lshlrev_b64 v[6:7], 2, v[5:6]
	v_mov_b32_e32 v4, s15
	v_add_co_u32_e32 v6, vcc, s14, v6
	v_addc_co_u32_e32 v7, vcc, v4, v7, vcc
	global_load_dword v4, v[6:7], off
	s_ashr_i32 s1, s23, 31
	s_mov_b32 s0, s23
	s_lshl_b64 s[0:1], s[0:1], 2
	s_add_u32 s10, s12, s0
	s_addc_u32 s11, s13, s1
                                        ; implicit-def: $vgpr8_vgpr9
	s_waitcnt vmcnt(1)
	v_subrev_u32_e32 v2, s24, v2
	v_cmp_lt_i32_e32 vcc, v5, v2
	v_cndmask_b32_e32 v1, v1, v3, vcc
	s_waitcnt vmcnt(0)
	v_subrev_u32_e32 v10, s24, v4
	v_cmp_ne_u32_e32 vcc, v10, v1
	s_and_saveexec_b64 s[0:1], vcc
	s_xor_b64 s[14:15], exec, s[0:1]
	s_cbranch_execz .LBB13_87
; %bb.77:
	s_load_dword s0, s[10:11], 0x0
	ds_read_b64 v[8:9], v16
	s_waitcnt lgkmcnt(0)
	s_sub_i32 s0, s0, s24
	v_cmp_gt_i32_e32 vcc, s0, v5
	s_and_saveexec_b64 s[16:17], vcc
	s_cbranch_execz .LBB13_86
; %bb.78:
	v_ashrrev_i32_e32 v2, 31, v1
	v_lshlrev_b64 v[1:2], 3, v[1:2]
	v_mov_b32_e32 v3, s19
	v_add_co_u32_e32 v1, vcc, s18, v1
	v_addc_co_u32_e32 v2, vcc, v3, v2, vcc
	global_load_dwordx2 v[1:2], v[1:2], off
	v_cmp_gt_i32_e32 vcc, s33, v10
	v_cmp_le_i32_e64 s[0:1], s23, v10
	s_or_b64 s[0:1], vcc, s[0:1]
	s_waitcnt vmcnt(0)
	v_mul_f64 v[12:13], v[8:9], v[1:2]
	s_and_saveexec_b64 s[26:27], s[0:1]
	s_xor_b64 s[0:1], exec, s[26:27]
	s_cbranch_execz .LBB13_82
; %bb.79:
	v_ashrrev_i32_e32 v11, 31, v10
	v_lshlrev_b64 v[1:2], 3, v[10:11]
	v_mov_b32_e32 v3, s21
	v_add_co_u32_e32 v14, vcc, s20, v1
	v_addc_co_u32_e32 v15, vcc, v3, v2, vcc
	global_load_dwordx2 v[3:4], v[14:15], off
	s_mov_b64 s[26:27], 0
.LBB13_80:                              ; =>This Inner Loop Header: Depth=1
	s_waitcnt vmcnt(0)
	v_add_f64 v[1:2], v[3:4], v[12:13]
	global_atomic_cmpswap_x2 v[1:2], v[14:15], v[1:4], off glc
	s_waitcnt vmcnt(0)
	v_cmp_eq_u64_e32 vcc, v[1:2], v[3:4]
	v_mov_b32_e32 v4, v2
	s_or_b64 s[26:27], vcc, s[26:27]
	v_mov_b32_e32 v3, v1
	s_andn2_b64 exec, exec, s[26:27]
	s_cbranch_execnz .LBB13_80
; %bb.81:
	s_or_b64 exec, exec, s[26:27]
                                        ; implicit-def: $vgpr12_vgpr13
.LBB13_82:
	s_andn2_saveexec_b64 s[0:1], s[0:1]
	s_cbranch_execz .LBB13_86
; %bb.83:
	v_subrev_u32_e32 v1, s33, v10
	v_mov_b32_e32 v2, 0x2000
	v_lshl_add_u32 v3, v1, 3, v2
	ds_read_b64 v[1:2], v3
	s_mov_b64 s[0:1], 0
.LBB13_84:                              ; =>This Inner Loop Header: Depth=1
	s_waitcnt lgkmcnt(0)
	v_add_f64 v[14:15], v[1:2], v[12:13]
	ds_cmpst_rtn_b64 v[14:15], v3, v[1:2], v[14:15]
	s_waitcnt lgkmcnt(0)
	v_cmp_eq_u64_e32 vcc, v[14:15], v[1:2]
	v_mov_b32_e32 v1, v14
	s_or_b64 s[0:1], vcc, s[0:1]
	v_mov_b32_e32 v2, v15
	s_andn2_b64 exec, exec, s[0:1]
	s_cbranch_execnz .LBB13_84
; %bb.85:
	s_or_b64 exec, exec, s[0:1]
.LBB13_86:
	s_or_b64 exec, exec, s[16:17]
.LBB13_87:
	s_andn2_saveexec_b64 s[0:1], s[14:15]
; %bb.88:
	ds_read_b64 v[8:9], v16
; %bb.89:
	s_or_b64 exec, exec, s[0:1]
	v_ashrrev_i32_e32 v11, 31, v10
	v_lshlrev_b64 v[1:2], 3, v[10:11]
	v_mov_b32_e32 v3, s19
	v_add_co_u32_e32 v1, vcc, s18, v1
	v_addc_co_u32_e32 v2, vcc, v3, v2, vcc
	global_load_dwordx2 v[1:2], v[1:2], off
	v_add_u32_e32 v3, 0x100, v5
	v_mov_b32_e32 v4, s22
	s_andn2_b64 vcc, exec, s[2:3]
	s_waitcnt vmcnt(0) lgkmcnt(0)
	v_mul_f64 v[1:2], v[1:2], v[8:9]
	v_cndmask_b32_e64 v8, 0, 1, s[2:3]
	v_cmp_ne_u32_e64 s[0:1], 1, v8
	ds_write_b64 v16, v[1:2]
	v_mov_b32_e32 v1, s28
	s_cbranch_vccnz .LBB13_93
; %bb.90:
	s_mov_b64 s[14:15], 0
	v_mov_b32_e32 v4, s22
	v_mov_b32_e32 v1, s28
	;; [unrolled: 1-line block ×3, first 2 shown]
.LBB13_91:                              ; =>This Inner Loop Header: Depth=1
	v_add_u32_e32 v8, v1, v4
	v_lshrrev_b32_e32 v9, 31, v8
	v_add_u32_e32 v8, v8, v9
	v_ashrrev_i32_e32 v8, 1, v8
	v_ashrrev_i32_e32 v9, 31, v8
	v_lshlrev_b64 v[9:10], 2, v[8:9]
	v_add_co_u32_e32 v9, vcc, s12, v9
	v_addc_co_u32_e32 v10, vcc, v2, v10, vcc
	global_load_dword v9, v[9:10], off
	s_waitcnt vmcnt(0)
	v_subrev_u32_e32 v9, s24, v9
	v_cmp_lt_i32_e32 vcc, v3, v9
	v_cndmask_b32_e32 v1, v1, v8, vcc
	v_cndmask_b32_e32 v4, v8, v4, vcc
	v_add_u32_e32 v8, -1, v1
	v_cmp_ge_i32_e32 vcc, v4, v1
	v_cmp_eq_u32_e64 s[2:3], v4, v8
	s_or_b64 s[2:3], vcc, s[2:3]
	s_and_b64 s[2:3], exec, s[2:3]
	s_or_b64 s[14:15], s[2:3], s[14:15]
	s_andn2_b64 exec, exec, s[14:15]
	s_cbranch_execnz .LBB13_91
; %bb.92:
	s_or_b64 exec, exec, s[14:15]
.LBB13_93:
	v_ashrrev_i32_e32 v2, 31, v1
	v_lshlrev_b64 v[8:9], 2, v[1:2]
	v_mov_b32_e32 v2, s13
	v_add_co_u32_e32 v8, vcc, s12, v8
	v_addc_co_u32_e32 v9, vcc, v2, v9, vcc
	global_load_dword v2, v[8:9], off
	global_load_dword v10, v[6:7], off offset:1024
                                        ; implicit-def: $vgpr8_vgpr9
	s_waitcnt vmcnt(1)
	v_subrev_u32_e32 v2, s24, v2
	v_cmp_lt_i32_e32 vcc, v3, v2
	v_cndmask_b32_e32 v1, v1, v4, vcc
	s_waitcnt vmcnt(0)
	v_subrev_u32_e32 v10, s24, v10
	v_cmp_ne_u32_e32 vcc, v10, v1
	s_and_saveexec_b64 s[2:3], vcc
	s_xor_b64 s[14:15], exec, s[2:3]
	s_cbranch_execz .LBB13_104
; %bb.94:
	s_load_dword s2, s[10:11], 0x0
	ds_read_b64 v[8:9], v16 offset:2048
	s_waitcnt lgkmcnt(0)
	s_sub_i32 s2, s2, s24
	v_cmp_gt_i32_e32 vcc, s2, v3
	s_and_saveexec_b64 s[16:17], vcc
	s_cbranch_execz .LBB13_103
; %bb.95:
	v_ashrrev_i32_e32 v2, 31, v1
	v_lshlrev_b64 v[1:2], 3, v[1:2]
	v_mov_b32_e32 v3, s19
	v_add_co_u32_e32 v1, vcc, s18, v1
	v_addc_co_u32_e32 v2, vcc, v3, v2, vcc
	global_load_dwordx2 v[1:2], v[1:2], off
	v_cmp_gt_i32_e32 vcc, s33, v10
	v_cmp_le_i32_e64 s[2:3], s23, v10
	s_or_b64 s[2:3], vcc, s[2:3]
	s_waitcnt vmcnt(0)
	v_mul_f64 v[12:13], v[8:9], v[1:2]
	s_and_saveexec_b64 s[26:27], s[2:3]
	s_xor_b64 s[2:3], exec, s[26:27]
	s_cbranch_execz .LBB13_99
; %bb.96:
	v_ashrrev_i32_e32 v11, 31, v10
	v_lshlrev_b64 v[1:2], 3, v[10:11]
	v_mov_b32_e32 v3, s21
	v_add_co_u32_e32 v14, vcc, s20, v1
	v_addc_co_u32_e32 v15, vcc, v3, v2, vcc
	global_load_dwordx2 v[3:4], v[14:15], off
	s_mov_b64 s[26:27], 0
.LBB13_97:                              ; =>This Inner Loop Header: Depth=1
	s_waitcnt vmcnt(0)
	v_add_f64 v[1:2], v[3:4], v[12:13]
	global_atomic_cmpswap_x2 v[1:2], v[14:15], v[1:4], off glc
	s_waitcnt vmcnt(0)
	v_cmp_eq_u64_e32 vcc, v[1:2], v[3:4]
	v_mov_b32_e32 v4, v2
	s_or_b64 s[26:27], vcc, s[26:27]
	v_mov_b32_e32 v3, v1
	s_andn2_b64 exec, exec, s[26:27]
	s_cbranch_execnz .LBB13_97
; %bb.98:
	s_or_b64 exec, exec, s[26:27]
                                        ; implicit-def: $vgpr12_vgpr13
.LBB13_99:
	s_andn2_saveexec_b64 s[2:3], s[2:3]
	s_cbranch_execz .LBB13_103
; %bb.100:
	v_subrev_u32_e32 v1, s33, v10
	v_mov_b32_e32 v2, 0x2000
	v_lshl_add_u32 v3, v1, 3, v2
	ds_read_b64 v[1:2], v3
	s_mov_b64 s[2:3], 0
.LBB13_101:                             ; =>This Inner Loop Header: Depth=1
	s_waitcnt lgkmcnt(0)
	v_add_f64 v[14:15], v[1:2], v[12:13]
	ds_cmpst_rtn_b64 v[14:15], v3, v[1:2], v[14:15]
	s_waitcnt lgkmcnt(0)
	v_cmp_eq_u64_e32 vcc, v[14:15], v[1:2]
	v_mov_b32_e32 v1, v14
	s_or_b64 s[2:3], vcc, s[2:3]
	v_mov_b32_e32 v2, v15
	s_andn2_b64 exec, exec, s[2:3]
	s_cbranch_execnz .LBB13_101
; %bb.102:
	s_or_b64 exec, exec, s[2:3]
.LBB13_103:
	s_or_b64 exec, exec, s[16:17]
.LBB13_104:
	s_andn2_saveexec_b64 s[2:3], s[14:15]
; %bb.105:
	ds_read_b64 v[8:9], v16 offset:2048
; %bb.106:
	s_or_b64 exec, exec, s[2:3]
	v_ashrrev_i32_e32 v11, 31, v10
	v_lshlrev_b64 v[1:2], 3, v[10:11]
	v_mov_b32_e32 v3, s19
	v_add_co_u32_e32 v1, vcc, s18, v1
	v_addc_co_u32_e32 v2, vcc, v3, v2, vcc
	global_load_dwordx2 v[1:2], v[1:2], off
	v_add_u32_e32 v3, 0x200, v5
	s_and_b64 vcc, exec, s[0:1]
	v_mov_b32_e32 v4, s22
	s_waitcnt vmcnt(0) lgkmcnt(0)
	v_mul_f64 v[1:2], v[1:2], v[8:9]
	ds_write_b64 v16, v[1:2] offset:2048
	v_mov_b32_e32 v1, s28
	s_cbranch_vccnz .LBB13_110
; %bb.107:
	s_mov_b64 s[14:15], 0
	v_mov_b32_e32 v4, s22
	v_mov_b32_e32 v1, s28
	;; [unrolled: 1-line block ×3, first 2 shown]
.LBB13_108:                             ; =>This Inner Loop Header: Depth=1
	v_add_u32_e32 v5, v1, v4
	v_lshrrev_b32_e32 v8, 31, v5
	v_add_u32_e32 v5, v5, v8
	v_ashrrev_i32_e32 v8, 1, v5
	v_ashrrev_i32_e32 v9, 31, v8
	v_lshlrev_b64 v[9:10], 2, v[8:9]
	v_add_co_u32_e32 v9, vcc, s12, v9
	v_addc_co_u32_e32 v10, vcc, v2, v10, vcc
	global_load_dword v5, v[9:10], off
	s_waitcnt vmcnt(0)
	v_subrev_u32_e32 v5, s24, v5
	v_cmp_lt_i32_e32 vcc, v3, v5
	v_cndmask_b32_e32 v1, v1, v8, vcc
	v_cndmask_b32_e32 v4, v8, v4, vcc
	v_add_u32_e32 v5, -1, v1
	v_cmp_ge_i32_e32 vcc, v4, v1
	v_cmp_eq_u32_e64 s[2:3], v4, v5
	s_or_b64 s[2:3], vcc, s[2:3]
	s_and_b64 s[2:3], exec, s[2:3]
	s_or_b64 s[14:15], s[2:3], s[14:15]
	s_andn2_b64 exec, exec, s[14:15]
	s_cbranch_execnz .LBB13_108
; %bb.109:
	s_or_b64 exec, exec, s[14:15]
.LBB13_110:
	v_ashrrev_i32_e32 v2, 31, v1
	v_lshlrev_b64 v[8:9], 2, v[1:2]
	v_mov_b32_e32 v2, s13
	v_add_co_u32_e32 v8, vcc, s12, v8
	v_addc_co_u32_e32 v9, vcc, v2, v9, vcc
	global_load_dword v2, v[8:9], off
	global_load_dword v5, v[6:7], off offset:2048
                                        ; implicit-def: $vgpr8_vgpr9
	s_waitcnt vmcnt(1)
	v_subrev_u32_e32 v2, s24, v2
	v_cmp_lt_i32_e32 vcc, v3, v2
	v_cndmask_b32_e32 v1, v1, v4, vcc
	s_waitcnt vmcnt(0)
	v_subrev_u32_e32 v10, s24, v5
	v_cmp_ne_u32_e32 vcc, v10, v1
	s_and_saveexec_b64 s[2:3], vcc
	s_xor_b64 s[14:15], exec, s[2:3]
	s_cbranch_execz .LBB13_121
; %bb.111:
	s_load_dword s2, s[10:11], 0x0
	ds_read_b64 v[8:9], v16 offset:4096
	s_waitcnt lgkmcnt(0)
	s_sub_i32 s2, s2, s24
	v_cmp_gt_i32_e32 vcc, s2, v3
	s_and_saveexec_b64 s[16:17], vcc
	s_cbranch_execz .LBB13_120
; %bb.112:
	v_ashrrev_i32_e32 v2, 31, v1
	v_lshlrev_b64 v[1:2], 3, v[1:2]
	v_mov_b32_e32 v3, s19
	v_add_co_u32_e32 v1, vcc, s18, v1
	v_addc_co_u32_e32 v2, vcc, v3, v2, vcc
	global_load_dwordx2 v[1:2], v[1:2], off
	v_cmp_gt_i32_e32 vcc, s33, v10
	v_cmp_le_i32_e64 s[2:3], s23, v10
	s_or_b64 s[2:3], vcc, s[2:3]
	s_waitcnt vmcnt(0)
	v_mul_f64 v[12:13], v[8:9], v[1:2]
	s_and_saveexec_b64 s[26:27], s[2:3]
	s_xor_b64 s[2:3], exec, s[26:27]
	s_cbranch_execz .LBB13_116
; %bb.113:
	v_ashrrev_i32_e32 v11, 31, v10
	v_lshlrev_b64 v[1:2], 3, v[10:11]
	v_mov_b32_e32 v3, s21
	v_add_co_u32_e32 v14, vcc, s20, v1
	v_addc_co_u32_e32 v15, vcc, v3, v2, vcc
	global_load_dwordx2 v[3:4], v[14:15], off
	s_mov_b64 s[26:27], 0
.LBB13_114:                             ; =>This Inner Loop Header: Depth=1
	s_waitcnt vmcnt(0)
	v_add_f64 v[1:2], v[3:4], v[12:13]
	global_atomic_cmpswap_x2 v[1:2], v[14:15], v[1:4], off glc
	s_waitcnt vmcnt(0)
	v_cmp_eq_u64_e32 vcc, v[1:2], v[3:4]
	v_mov_b32_e32 v4, v2
	s_or_b64 s[26:27], vcc, s[26:27]
	v_mov_b32_e32 v3, v1
	s_andn2_b64 exec, exec, s[26:27]
	s_cbranch_execnz .LBB13_114
; %bb.115:
	s_or_b64 exec, exec, s[26:27]
                                        ; implicit-def: $vgpr12_vgpr13
.LBB13_116:
	s_andn2_saveexec_b64 s[2:3], s[2:3]
	s_cbranch_execz .LBB13_120
; %bb.117:
	v_subrev_u32_e32 v1, s33, v10
	v_mov_b32_e32 v2, 0x2000
	v_lshl_add_u32 v3, v1, 3, v2
	ds_read_b64 v[1:2], v3
	s_mov_b64 s[2:3], 0
.LBB13_118:                             ; =>This Inner Loop Header: Depth=1
	s_waitcnt lgkmcnt(0)
	v_add_f64 v[4:5], v[1:2], v[12:13]
	ds_cmpst_rtn_b64 v[4:5], v3, v[1:2], v[4:5]
	s_waitcnt lgkmcnt(0)
	v_cmp_eq_u64_e32 vcc, v[4:5], v[1:2]
	v_mov_b32_e32 v1, v4
	s_or_b64 s[2:3], vcc, s[2:3]
	v_mov_b32_e32 v2, v5
	s_andn2_b64 exec, exec, s[2:3]
	s_cbranch_execnz .LBB13_118
; %bb.119:
	s_or_b64 exec, exec, s[2:3]
.LBB13_120:
	s_or_b64 exec, exec, s[16:17]
.LBB13_121:
	s_andn2_saveexec_b64 s[2:3], s[14:15]
; %bb.122:
	ds_read_b64 v[8:9], v16 offset:4096
; %bb.123:
	s_or_b64 exec, exec, s[2:3]
	v_ashrrev_i32_e32 v11, 31, v10
	v_lshlrev_b64 v[1:2], 3, v[10:11]
	v_mov_b32_e32 v3, s19
	v_add_co_u32_e32 v1, vcc, s18, v1
	v_addc_co_u32_e32 v2, vcc, v3, v2, vcc
	global_load_dwordx2 v[1:2], v[1:2], off
	s_and_b64 vcc, exec, s[0:1]
	v_mov_b32_e32 v3, s22
	s_waitcnt vmcnt(0) lgkmcnt(0)
	v_mul_f64 v[1:2], v[1:2], v[8:9]
	ds_write_b64 v16, v[1:2] offset:4096
	v_mov_b32_e32 v1, s28
	s_cbranch_vccnz .LBB13_127
; %bb.124:
	s_mov_b64 s[2:3], 0
	v_mov_b32_e32 v3, s22
	v_mov_b32_e32 v1, s28
	;; [unrolled: 1-line block ×3, first 2 shown]
.LBB13_125:                             ; =>This Inner Loop Header: Depth=1
	v_add_u32_e32 v4, v1, v3
	v_lshrrev_b32_e32 v5, 31, v4
	v_add_u32_e32 v4, v4, v5
	v_ashrrev_i32_e32 v4, 1, v4
	v_ashrrev_i32_e32 v5, 31, v4
	v_lshlrev_b64 v[8:9], 2, v[4:5]
	v_add_co_u32_e32 v8, vcc, s12, v8
	v_addc_co_u32_e32 v9, vcc, v2, v9, vcc
	global_load_dword v5, v[8:9], off
	s_waitcnt vmcnt(0)
	v_subrev_u32_e32 v5, s24, v5
	v_cmp_lt_i32_e32 vcc, v17, v5
	v_cndmask_b32_e32 v1, v1, v4, vcc
	v_cndmask_b32_e32 v3, v4, v3, vcc
	v_add_u32_e32 v4, -1, v1
	v_cmp_ge_i32_e32 vcc, v3, v1
	v_cmp_eq_u32_e64 s[0:1], v3, v4
	s_or_b64 s[0:1], vcc, s[0:1]
	s_and_b64 s[0:1], exec, s[0:1]
	s_or_b64 s[2:3], s[0:1], s[2:3]
	s_andn2_b64 exec, exec, s[2:3]
	s_cbranch_execnz .LBB13_125
; %bb.126:
	s_or_b64 exec, exec, s[2:3]
.LBB13_127:
	v_ashrrev_i32_e32 v2, 31, v1
	v_lshlrev_b64 v[4:5], 2, v[1:2]
	v_mov_b32_e32 v2, s13
	v_add_co_u32_e32 v4, vcc, s12, v4
	v_addc_co_u32_e32 v5, vcc, v2, v5, vcc
	global_load_dword v2, v[4:5], off
	global_load_dword v8, v[6:7], off offset:3072
                                        ; implicit-def: $vgpr5_vgpr6
	s_waitcnt vmcnt(1)
	v_subrev_u32_e32 v2, s24, v2
	v_cmp_lt_i32_e32 vcc, v17, v2
	v_cndmask_b32_e32 v1, v1, v3, vcc
	s_waitcnt vmcnt(0)
	v_subrev_u32_e32 v7, s24, v8
	v_cmp_ne_u32_e32 vcc, v7, v1
	s_and_saveexec_b64 s[0:1], vcc
	s_xor_b64 s[2:3], exec, s[0:1]
	s_cbranch_execz .LBB13_138
; %bb.128:
	s_load_dword s0, s[10:11], 0x0
	ds_read_b64 v[5:6], v16 offset:6144
	s_waitcnt lgkmcnt(0)
	s_sub_i32 s0, s0, s24
	v_cmp_gt_i32_e32 vcc, s0, v17
	s_and_saveexec_b64 s[10:11], vcc
	s_cbranch_execz .LBB13_137
; %bb.129:
	v_ashrrev_i32_e32 v2, 31, v1
	v_lshlrev_b64 v[1:2], 3, v[1:2]
	v_mov_b32_e32 v3, s19
	v_add_co_u32_e32 v1, vcc, s18, v1
	v_addc_co_u32_e32 v2, vcc, v3, v2, vcc
	global_load_dwordx2 v[1:2], v[1:2], off
	v_cmp_gt_i32_e32 vcc, s33, v7
	v_cmp_le_i32_e64 s[0:1], s23, v7
	s_or_b64 s[0:1], vcc, s[0:1]
	s_waitcnt vmcnt(0)
	v_mul_f64 v[9:10], v[5:6], v[1:2]
	s_and_saveexec_b64 s[14:15], s[0:1]
	s_xor_b64 s[0:1], exec, s[14:15]
	s_cbranch_execz .LBB13_133
; %bb.130:
	v_ashrrev_i32_e32 v8, 31, v7
	v_lshlrev_b64 v[1:2], 3, v[7:8]
	v_mov_b32_e32 v3, s21
	v_add_co_u32_e32 v11, vcc, s20, v1
	v_addc_co_u32_e32 v12, vcc, v3, v2, vcc
	global_load_dwordx2 v[3:4], v[11:12], off
	s_mov_b64 s[14:15], 0
.LBB13_131:                             ; =>This Inner Loop Header: Depth=1
	s_waitcnt vmcnt(0)
	v_add_f64 v[1:2], v[3:4], v[9:10]
	global_atomic_cmpswap_x2 v[1:2], v[11:12], v[1:4], off glc
	s_waitcnt vmcnt(0)
	v_cmp_eq_u64_e32 vcc, v[1:2], v[3:4]
	v_mov_b32_e32 v4, v2
	s_or_b64 s[14:15], vcc, s[14:15]
	v_mov_b32_e32 v3, v1
	s_andn2_b64 exec, exec, s[14:15]
	s_cbranch_execnz .LBB13_131
; %bb.132:
	s_or_b64 exec, exec, s[14:15]
                                        ; implicit-def: $vgpr9_vgpr10
.LBB13_133:
	s_andn2_saveexec_b64 s[0:1], s[0:1]
	s_cbranch_execz .LBB13_137
; %bb.134:
	v_subrev_u32_e32 v1, s33, v7
	v_mov_b32_e32 v2, 0x2000
	v_lshl_add_u32 v3, v1, 3, v2
	ds_read_b64 v[1:2], v3
	s_mov_b64 s[0:1], 0
.LBB13_135:                             ; =>This Inner Loop Header: Depth=1
	s_waitcnt lgkmcnt(0)
	v_add_f64 v[11:12], v[1:2], v[9:10]
	ds_cmpst_rtn_b64 v[11:12], v3, v[1:2], v[11:12]
	s_waitcnt lgkmcnt(0)
	v_cmp_eq_u64_e32 vcc, v[11:12], v[1:2]
	v_mov_b32_e32 v1, v11
	s_or_b64 s[0:1], vcc, s[0:1]
	v_mov_b32_e32 v2, v12
	s_andn2_b64 exec, exec, s[0:1]
	s_cbranch_execnz .LBB13_135
; %bb.136:
	s_or_b64 exec, exec, s[0:1]
.LBB13_137:
	s_or_b64 exec, exec, s[10:11]
.LBB13_138:
	s_andn2_saveexec_b64 s[0:1], s[2:3]
; %bb.139:
	ds_read_b64 v[5:6], v16 offset:6144
; %bb.140:
	s_or_b64 exec, exec, s[0:1]
	v_ashrrev_i32_e32 v8, 31, v7
	v_lshlrev_b64 v[1:2], 3, v[7:8]
	v_mov_b32_e32 v3, s19
	v_add_co_u32_e32 v1, vcc, s18, v1
	v_addc_co_u32_e32 v2, vcc, v3, v2, vcc
	global_load_dwordx2 v[1:2], v[1:2], off
	s_waitcnt vmcnt(0) lgkmcnt(0)
	v_mul_f64 v[1:2], v[1:2], v[5:6]
	ds_write_b64 v16, v[1:2] offset:6144
.LBB13_141:
	s_or_b64 exec, exec, s[4:5]
	s_min_i32 s9, s23, s9
	s_sub_i32 s10, s9, s25
	v_cmp_gt_i32_e32 vcc, s10, v0
	s_waitcnt lgkmcnt(0)
	s_barrier
	s_and_saveexec_b64 s[0:1], vcc
	s_cbranch_execz .LBB13_146
; %bb.142:
	s_mov_b64 s[2:3], 0
	v_mov_b32_e32 v9, s21
	v_mov_b32_e32 v10, 0x2000
	;; [unrolled: 1-line block ×3, first 2 shown]
.LBB13_143:                             ; =>This Loop Header: Depth=1
                                        ;     Child Loop BB13_144 Depth 2
	v_add_u32_e32 v1, s33, v11
	v_ashrrev_i32_e32 v2, 31, v1
	v_lshlrev_b64 v[1:2], 3, v[1:2]
	s_mov_b64 s[4:5], 0
	v_add_co_u32_e32 v5, vcc, s20, v1
	v_addc_co_u32_e32 v6, vcc, v9, v2, vcc
	global_load_dwordx2 v[3:4], v[5:6], off
	v_lshl_add_u32 v1, v11, 3, v10
	ds_read_b64 v[7:8], v1
.LBB13_144:                             ;   Parent Loop BB13_143 Depth=1
                                        ; =>  This Inner Loop Header: Depth=2
	s_waitcnt vmcnt(0) lgkmcnt(0)
	v_add_f64 v[1:2], v[3:4], v[7:8]
	global_atomic_cmpswap_x2 v[1:2], v[5:6], v[1:4], off glc
	s_waitcnt vmcnt(0)
	v_cmp_eq_u64_e32 vcc, v[1:2], v[3:4]
	v_mov_b32_e32 v4, v2
	s_or_b64 s[4:5], vcc, s[4:5]
	v_mov_b32_e32 v3, v1
	s_andn2_b64 exec, exec, s[4:5]
	s_cbranch_execnz .LBB13_144
; %bb.145:                              ;   in Loop: Header=BB13_143 Depth=1
	s_or_b64 exec, exec, s[4:5]
	v_add_u32_e32 v11, 0x100, v11
	v_cmp_le_i32_e32 vcc, s10, v11
	s_or_b64 s[2:3], vcc, s[2:3]
	s_andn2_b64 exec, exec, s[2:3]
	s_cbranch_execnz .LBB13_143
.LBB13_146:
	s_or_b64 exec, exec, s[0:1]
	s_mul_i32 s0, s8, s25
	s_sub_i32 s0, s31, s0
	s_add_i32 s1, s8, 1
	s_sub_i32 s2, s0, s25
	s_cmp_ge_u32 s0, s25
	s_cselect_b32 s1, s1, s8
	s_cselect_b32 s0, s2, s0
	s_add_i32 s2, s1, 1
	s_cmp_ge_u32 s0, s25
	s_cselect_b32 s0, s2, s1
	s_add_i32 s0, s0, -1
	s_ashr_i32 s1, s0, 1
	s_or_b32 s0, s1, s0
	s_ashr_i32 s1, s0, 2
	s_or_b32 s0, s1, s0
	;; [unrolled: 2-line block ×5, first 2 shown]
	s_add_i32 s0, s0, 1
	s_ashr_i32 s11, s0, 1
	v_add_u32_e32 v5, s22, v0
	s_cmp_gt_i32 s11, 1
	s_mov_b64 s[0:1], -1
	s_barrier
	s_cbranch_scc1 .LBB13_157
; %bb.147:
	v_cmp_gt_i32_e32 vcc, s23, v5
	s_and_saveexec_b64 s[0:1], vcc
	s_cbranch_execz .LBB13_156
; %bb.148:
	s_sub_i32 s2, s9, s23
	s_lshl_b32 s2, s2, 3
	s_add_i32 s14, s2, 0x2000
	s_lshl_b32 s2, s30, 3
	s_sub_i32 s15, 0, s2
	s_mov_b64 s[2:3], 0
	v_mov_b32_e32 v11, s13
	v_mov_b32_e32 v12, s21
	;; [unrolled: 1-line block ×3, first 2 shown]
.LBB13_149:                             ; =>This Loop Header: Depth=1
                                        ;     Child Loop BB13_151 Depth 2
                                        ;     Child Loop BB13_154 Depth 2
	v_ashrrev_i32_e32 v7, 31, v6
	v_lshlrev_b64 v[1:2], 2, v[6:7]
	v_add_co_u32_e32 v1, vcc, s12, v1
	v_addc_co_u32_e32 v2, vcc, v11, v2, vcc
	global_load_dwordx2 v[3:4], v[1:2], off
	v_mov_b32_e32 v1, 0
	v_mov_b32_e32 v2, 0
	s_waitcnt vmcnt(0)
	v_cmp_lt_i32_e32 vcc, v3, v4
	s_and_saveexec_b64 s[4:5], vcc
	s_cbranch_execz .LBB13_153
; %bb.150:                              ;   in Loop: Header=BB13_149 Depth=1
	v_mov_b32_e32 v1, 0
	v_subrev_u32_e32 v4, s30, v4
	v_subrev_u32_e32 v8, s30, v3
	v_lshl_add_u32 v3, v3, 3, s15
	v_mov_b32_e32 v2, 0
	s_mov_b64 s[8:9], 0
.LBB13_151:                             ;   Parent Loop BB13_149 Depth=1
                                        ; =>  This Inner Loop Header: Depth=2
	ds_read_b64 v[9:10], v3
	v_add_u32_e32 v8, 1, v8
	v_cmp_ge_i32_e32 vcc, v8, v4
	s_or_b64 s[8:9], vcc, s[8:9]
	v_add_u32_e32 v3, 8, v3
	s_waitcnt lgkmcnt(0)
	v_add_f64 v[1:2], v[1:2], v[9:10]
	s_andn2_b64 exec, exec, s[8:9]
	s_cbranch_execnz .LBB13_151
; %bb.152:                              ;   in Loop: Header=BB13_149 Depth=1
	s_or_b64 exec, exec, s[8:9]
.LBB13_153:                             ;   in Loop: Header=BB13_149 Depth=1
	s_or_b64 exec, exec, s[4:5]
	v_lshlrev_b64 v[3:4], 3, v[6:7]
	v_lshl_add_u32 v9, v6, 3, s14
	v_add_co_u32_e32 v7, vcc, s20, v3
	v_addc_co_u32_e32 v8, vcc, v12, v4, vcc
	global_load_dwordx2 v[3:4], v[7:8], off
	ds_read_b64 v[9:10], v9
	s_mov_b64 s[4:5], 0
	s_waitcnt lgkmcnt(0)
	v_add_f64 v[9:10], v[1:2], v[9:10]
.LBB13_154:                             ;   Parent Loop BB13_149 Depth=1
                                        ; =>  This Inner Loop Header: Depth=2
	s_waitcnt vmcnt(0)
	v_add_f64 v[1:2], v[3:4], v[9:10]
	global_atomic_cmpswap_x2 v[1:2], v[7:8], v[1:4], off glc
	s_waitcnt vmcnt(0)
	v_cmp_eq_u64_e32 vcc, v[1:2], v[3:4]
	v_mov_b32_e32 v4, v2
	s_or_b64 s[4:5], vcc, s[4:5]
	v_mov_b32_e32 v3, v1
	s_andn2_b64 exec, exec, s[4:5]
	s_cbranch_execnz .LBB13_154
; %bb.155:                              ;   in Loop: Header=BB13_149 Depth=1
	s_or_b64 exec, exec, s[4:5]
	v_add_u32_e32 v6, s31, v6
	v_cmp_le_i32_e32 vcc, s23, v6
	s_or_b64 s[2:3], vcc, s[2:3]
	s_andn2_b64 exec, exec, s[2:3]
	s_cbranch_execnz .LBB13_149
.LBB13_156:
	s_or_b64 exec, exec, s[0:1]
	s_mov_b64 s[0:1], 0
.LBB13_157:
	s_andn2_b64 vcc, exec, s[0:1]
	s_cbranch_vccnz .LBB13_171
; %bb.158:
	v_cvt_f32_u32_e32 v1, s11
	s_sub_i32 s0, 0, s11
	v_rcp_iflag_f32_e32 v1, v1
	v_mul_f32_e32 v1, 0x4f7ffffe, v1
	v_cvt_u32_f32_e32 v1, v1
	v_mul_lo_u32 v2, s0, v1
	v_mul_hi_u32 v2, v1, v2
	v_add_u32_e32 v1, v1, v2
	v_mul_hi_u32 v1, v0, v1
	v_mul_lo_u32 v2, v1, s11
	v_add_u32_e32 v3, 1, v1
	v_sub_u32_e32 v2, v0, v2
	v_cmp_le_u32_e32 vcc, s11, v2
	v_cndmask_b32_e32 v1, v1, v3, vcc
	v_subrev_u32_e32 v3, s11, v2
	v_cndmask_b32_e32 v2, v2, v3, vcc
	v_add_u32_e32 v3, 1, v1
	v_cmp_le_u32_e32 vcc, s11, v2
	v_cndmask_b32_e32 v6, v1, v3, vcc
	v_lshlrev_b32_e32 v1, 2, v6
	global_load_dwordx2 v[3:4], v1, s[6:7]
	v_mov_b32_e32 v1, 0
	v_mov_b32_e32 v2, 0
	v_cmp_gt_i32_e32 vcc, s25, v6
	s_and_saveexec_b64 s[0:1], vcc
	s_cbranch_execz .LBB13_166
; %bb.159:
	s_abs_i32 s4, s11
	v_cvt_f32_u32_e32 v1, s4
	s_sub_i32 s2, 0, s4
	s_waitcnt vmcnt(0)
	v_subrev_u32_e32 v3, s30, v3
	v_subrev_u32_e32 v6, s30, v4
	v_rcp_iflag_f32_e32 v1, v1
	v_sub_u32_e32 v4, v6, v3
	v_sub_u32_e32 v7, 0, v4
	v_max_i32_e32 v9, v4, v7
	v_mul_f32_e32 v1, 0x4f7ffffe, v1
	v_cvt_u32_f32_e32 v1, v1
	s_ashr_i32 s5, s11, 31
	v_ashrrev_i32_e32 v4, 31, v4
	v_xor_b32_e32 v4, s5, v4
	v_mul_lo_u32 v2, s2, v1
	v_mul_hi_u32 v2, v1, v2
	v_add_u32_e32 v1, v1, v2
	v_mad_u64_u32 v[7:8], s[2:3], v9, v1, 0
	s_add_i32 s2, s11, -1
	v_mov_b32_e32 v1, 0
	v_mul_lo_u32 v10, v8, s4
	v_add_u32_e32 v11, 1, v8
	v_and_b32_e32 v7, s2, v0
	v_mov_b32_e32 v2, 0
	v_sub_u32_e32 v9, v9, v10
	v_cmp_le_u32_e32 vcc, s4, v9
	v_subrev_u32_e32 v10, s4, v9
	v_cndmask_b32_e32 v8, v8, v11, vcc
	v_cndmask_b32_e32 v9, v9, v10, vcc
	v_add_u32_e32 v10, 1, v8
	v_cmp_le_u32_e32 vcc, s4, v9
	v_cndmask_b32_e32 v8, v8, v10, vcc
	v_xor_b32_e32 v8, v8, v4
	v_sub_u32_e32 v4, v8, v4
	v_cmp_lt_i32_e32 vcc, 0, v4
	v_lshlrev_b32_e32 v8, 3, v7
	s_and_saveexec_b64 s[2:3], vcc
	s_cbranch_execz .LBB13_163
; %bb.160:
	v_mov_b32_e32 v1, 0
	v_lshl_add_u32 v9, v3, 3, v8
	s_lshl_b32 s6, s11, 3
	v_mov_b32_e32 v2, 0
	s_mov_b64 s[4:5], 0
	v_mov_b32_e32 v10, v4
.LBB13_161:                             ; =>This Inner Loop Header: Depth=1
	ds_read_b64 v[11:12], v9
	v_add_u32_e32 v10, -1, v10
	v_cmp_eq_u32_e32 vcc, 0, v10
	s_or_b64 s[4:5], vcc, s[4:5]
	v_add_u32_e32 v9, s6, v9
	s_waitcnt lgkmcnt(0)
	v_add_f64 v[1:2], v[1:2], v[11:12]
	s_andn2_b64 exec, exec, s[4:5]
	s_cbranch_execnz .LBB13_161
; %bb.162:
	s_or_b64 exec, exec, s[4:5]
.LBB13_163:
	s_or_b64 exec, exec, s[2:3]
	v_mad_u64_u32 v[3:4], s[2:3], v4, s11, v[3:4]
	v_sub_u32_e32 v4, v6, v3
	v_cmp_lt_i32_e32 vcc, v7, v4
	s_and_saveexec_b64 s[2:3], vcc
	s_cbranch_execz .LBB13_165
; %bb.164:
	v_lshl_add_u32 v3, v3, 3, v8
	ds_read_b64 v[3:4], v3
	s_waitcnt lgkmcnt(0)
	v_add_f64 v[1:2], v[1:2], v[3:4]
.LBB13_165:
	s_or_b64 exec, exec, s[2:3]
.LBB13_166:
	s_or_b64 exec, exec, s[0:1]
	v_cmp_gt_i32_e32 vcc, s25, v0
	s_waitcnt vmcnt(0)
	s_barrier
	ds_write_b64 v16, v[1:2]
	s_waitcnt lgkmcnt(0)
	s_barrier
	s_and_b64 exec, exec, vcc
	s_cbranch_execz .LBB13_171
; %bb.167:
	v_mul_lo_u32 v1, s11, v0
	v_mov_b32_e32 v7, 0
	v_mov_b32_e32 v8, 0
	v_lshlrev_b32_e32 v1, 3, v1
.LBB13_168:                             ; =>This Inner Loop Header: Depth=1
	ds_read_b64 v[2:3], v1
	s_add_i32 s11, s11, -1
	s_cmp_eq_u32 s11, 0
	v_add_u32_e32 v1, 8, v1
	s_waitcnt lgkmcnt(0)
	v_add_f64 v[7:8], v[7:8], v[2:3]
	s_cbranch_scc0 .LBB13_168
; %bb.169:
	v_ashrrev_i32_e32 v6, 31, v5
	v_lshlrev_b64 v[1:2], 3, v[5:6]
	v_mov_b32_e32 v3, s21
	v_add_co_u32_e32 v4, vcc, s20, v1
	v_addc_co_u32_e32 v5, vcc, v3, v2, vcc
	global_load_dwordx2 v[2:3], v[4:5], off
	s_lshl_b32 s0, s10, 3
	s_addk_i32 s0, 0x2000
	v_lshl_add_u32 v0, v0, 3, s0
	ds_read_b64 v[0:1], v0
	s_mov_b64 s[0:1], 0
	s_waitcnt lgkmcnt(0)
	v_add_f64 v[6:7], v[7:8], v[0:1]
.LBB13_170:                             ; =>This Inner Loop Header: Depth=1
	s_waitcnt vmcnt(0)
	v_add_f64 v[0:1], v[2:3], v[6:7]
	global_atomic_cmpswap_x2 v[0:1], v[4:5], v[0:3], off glc
	s_waitcnt vmcnt(0)
	v_cmp_eq_u64_e32 vcc, v[0:1], v[2:3]
	v_mov_b32_e32 v3, v1
	s_or_b64 s[0:1], vcc, s[0:1]
	v_mov_b32_e32 v2, v0
	s_andn2_b64 exec, exec, s[0:1]
	s_cbranch_execnz .LBB13_170
.LBB13_171:
	s_endpgm
	.section	.rodata,"a",@progbits
	.p2align	6, 0x0
	.amdhsa_kernel _ZN9rocsparseL27csrmvn_symm_adaptive_kernelIiiddddEEvbT_S1_PKS1_NS_24const_host_device_scalarIT4_EES3_PKT0_PKT1_PKT2_S6_PT3_21rocsparse_index_base_b
		.amdhsa_group_segment_fixed_size 8192
		.amdhsa_private_segment_fixed_size 0
		.amdhsa_kernarg_size 344
		.amdhsa_user_sgpr_count 6
		.amdhsa_user_sgpr_private_segment_buffer 1
		.amdhsa_user_sgpr_dispatch_ptr 0
		.amdhsa_user_sgpr_queue_ptr 0
		.amdhsa_user_sgpr_kernarg_segment_ptr 1
		.amdhsa_user_sgpr_dispatch_id 0
		.amdhsa_user_sgpr_flat_scratch_init 0
		.amdhsa_user_sgpr_private_segment_size 0
		.amdhsa_uses_dynamic_stack 0
		.amdhsa_system_sgpr_private_segment_wavefront_offset 0
		.amdhsa_system_sgpr_workgroup_id_x 1
		.amdhsa_system_sgpr_workgroup_id_y 0
		.amdhsa_system_sgpr_workgroup_id_z 0
		.amdhsa_system_sgpr_workgroup_info 0
		.amdhsa_system_vgpr_workitem_id 0
		.amdhsa_next_free_vgpr 29
		.amdhsa_next_free_sgpr 61
		.amdhsa_reserve_vcc 1
		.amdhsa_reserve_flat_scratch 0
		.amdhsa_float_round_mode_32 0
		.amdhsa_float_round_mode_16_64 0
		.amdhsa_float_denorm_mode_32 3
		.amdhsa_float_denorm_mode_16_64 3
		.amdhsa_dx10_clamp 1
		.amdhsa_ieee_mode 1
		.amdhsa_fp16_overflow 0
		.amdhsa_exception_fp_ieee_invalid_op 0
		.amdhsa_exception_fp_denorm_src 0
		.amdhsa_exception_fp_ieee_div_zero 0
		.amdhsa_exception_fp_ieee_overflow 0
		.amdhsa_exception_fp_ieee_underflow 0
		.amdhsa_exception_fp_ieee_inexact 0
		.amdhsa_exception_int_div_zero 0
	.end_amdhsa_kernel
	.section	.text._ZN9rocsparseL27csrmvn_symm_adaptive_kernelIiiddddEEvbT_S1_PKS1_NS_24const_host_device_scalarIT4_EES3_PKT0_PKT1_PKT2_S6_PT3_21rocsparse_index_base_b,"axG",@progbits,_ZN9rocsparseL27csrmvn_symm_adaptive_kernelIiiddddEEvbT_S1_PKS1_NS_24const_host_device_scalarIT4_EES3_PKT0_PKT1_PKT2_S6_PT3_21rocsparse_index_base_b,comdat
.Lfunc_end13:
	.size	_ZN9rocsparseL27csrmvn_symm_adaptive_kernelIiiddddEEvbT_S1_PKS1_NS_24const_host_device_scalarIT4_EES3_PKT0_PKT1_PKT2_S6_PT3_21rocsparse_index_base_b, .Lfunc_end13-_ZN9rocsparseL27csrmvn_symm_adaptive_kernelIiiddddEEvbT_S1_PKS1_NS_24const_host_device_scalarIT4_EES3_PKT0_PKT1_PKT2_S6_PT3_21rocsparse_index_base_b
                                        ; -- End function
	.set _ZN9rocsparseL27csrmvn_symm_adaptive_kernelIiiddddEEvbT_S1_PKS1_NS_24const_host_device_scalarIT4_EES3_PKT0_PKT1_PKT2_S6_PT3_21rocsparse_index_base_b.num_vgpr, 21
	.set _ZN9rocsparseL27csrmvn_symm_adaptive_kernelIiiddddEEvbT_S1_PKS1_NS_24const_host_device_scalarIT4_EES3_PKT0_PKT1_PKT2_S6_PT3_21rocsparse_index_base_b.num_agpr, 0
	.set _ZN9rocsparseL27csrmvn_symm_adaptive_kernelIiiddddEEvbT_S1_PKS1_NS_24const_host_device_scalarIT4_EES3_PKT0_PKT1_PKT2_S6_PT3_21rocsparse_index_base_b.numbered_sgpr, 38
	.set _ZN9rocsparseL27csrmvn_symm_adaptive_kernelIiiddddEEvbT_S1_PKS1_NS_24const_host_device_scalarIT4_EES3_PKT0_PKT1_PKT2_S6_PT3_21rocsparse_index_base_b.num_named_barrier, 0
	.set _ZN9rocsparseL27csrmvn_symm_adaptive_kernelIiiddddEEvbT_S1_PKS1_NS_24const_host_device_scalarIT4_EES3_PKT0_PKT1_PKT2_S6_PT3_21rocsparse_index_base_b.private_seg_size, 0
	.set _ZN9rocsparseL27csrmvn_symm_adaptive_kernelIiiddddEEvbT_S1_PKS1_NS_24const_host_device_scalarIT4_EES3_PKT0_PKT1_PKT2_S6_PT3_21rocsparse_index_base_b.uses_vcc, 1
	.set _ZN9rocsparseL27csrmvn_symm_adaptive_kernelIiiddddEEvbT_S1_PKS1_NS_24const_host_device_scalarIT4_EES3_PKT0_PKT1_PKT2_S6_PT3_21rocsparse_index_base_b.uses_flat_scratch, 0
	.set _ZN9rocsparseL27csrmvn_symm_adaptive_kernelIiiddddEEvbT_S1_PKS1_NS_24const_host_device_scalarIT4_EES3_PKT0_PKT1_PKT2_S6_PT3_21rocsparse_index_base_b.has_dyn_sized_stack, 0
	.set _ZN9rocsparseL27csrmvn_symm_adaptive_kernelIiiddddEEvbT_S1_PKS1_NS_24const_host_device_scalarIT4_EES3_PKT0_PKT1_PKT2_S6_PT3_21rocsparse_index_base_b.has_recursion, 0
	.set _ZN9rocsparseL27csrmvn_symm_adaptive_kernelIiiddddEEvbT_S1_PKS1_NS_24const_host_device_scalarIT4_EES3_PKT0_PKT1_PKT2_S6_PT3_21rocsparse_index_base_b.has_indirect_call, 0
	.section	.AMDGPU.csdata,"",@progbits
; Kernel info:
; codeLenInByte = 6692
; TotalNumSgprs: 42
; NumVgprs: 21
; ScratchSize: 0
; MemoryBound: 0
; FloatMode: 240
; IeeeMode: 1
; LDSByteSize: 8192 bytes/workgroup (compile time only)
; SGPRBlocks: 8
; VGPRBlocks: 7
; NumSGPRsForWavesPerEU: 65
; NumVGPRsForWavesPerEU: 29
; Occupancy: 8
; WaveLimiterHint : 1
; COMPUTE_PGM_RSRC2:SCRATCH_EN: 0
; COMPUTE_PGM_RSRC2:USER_SGPR: 6
; COMPUTE_PGM_RSRC2:TRAP_HANDLER: 0
; COMPUTE_PGM_RSRC2:TGID_X_EN: 1
; COMPUTE_PGM_RSRC2:TGID_Y_EN: 0
; COMPUTE_PGM_RSRC2:TGID_Z_EN: 0
; COMPUTE_PGM_RSRC2:TIDIG_COMP_CNT: 0
	.section	.text._ZL33csrmvn_symm_large_adaptive_kernelIiiddddEvbT_PKS0_N9rocsparse24const_host_device_scalarIT4_EES2_PKT0_PKT1_PKT2_S6_PT3_21rocsparse_index_base_b,"axG",@progbits,_ZL33csrmvn_symm_large_adaptive_kernelIiiddddEvbT_PKS0_N9rocsparse24const_host_device_scalarIT4_EES2_PKT0_PKT1_PKT2_S6_PT3_21rocsparse_index_base_b,comdat
	.globl	_ZL33csrmvn_symm_large_adaptive_kernelIiiddddEvbT_PKS0_N9rocsparse24const_host_device_scalarIT4_EES2_PKT0_PKT1_PKT2_S6_PT3_21rocsparse_index_base_b ; -- Begin function _ZL33csrmvn_symm_large_adaptive_kernelIiiddddEvbT_PKS0_N9rocsparse24const_host_device_scalarIT4_EES2_PKT0_PKT1_PKT2_S6_PT3_21rocsparse_index_base_b
	.p2align	8
	.type	_ZL33csrmvn_symm_large_adaptive_kernelIiiddddEvbT_PKS0_N9rocsparse24const_host_device_scalarIT4_EES2_PKT0_PKT1_PKT2_S6_PT3_21rocsparse_index_base_b,@function
_ZL33csrmvn_symm_large_adaptive_kernelIiiddddEvbT_PKS0_N9rocsparse24const_host_device_scalarIT4_EES2_PKT0_PKT1_PKT2_S6_PT3_21rocsparse_index_base_b: ; @_ZL33csrmvn_symm_large_adaptive_kernelIiiddddEvbT_PKS0_N9rocsparse24const_host_device_scalarIT4_EES2_PKT0_PKT1_PKT2_S6_PT3_21rocsparse_index_base_b
; %bb.0:
	s_load_dwordx2 s[10:11], s[4:5], 0x48
	s_load_dwordx2 s[8:9], s[4:5], 0x10
	;; [unrolled: 1-line block ×3, first 2 shown]
	s_waitcnt lgkmcnt(0)
	s_bitcmp1_b32 s11, 0
	s_cselect_b64 s[12:13], -1, 0
	v_mov_b32_e32 v4, s8
	s_xor_b64 s[2:3], s[12:13], -1
	s_and_b64 vcc, exec, s[12:13]
	v_mov_b32_e32 v5, s9
	s_cbranch_vccnz .LBB14_2
; %bb.1:
	v_mov_b32_e32 v1, s8
	v_mov_b32_e32 v2, s9
	flat_load_dwordx2 v[4:5], v[1:2]
.LBB14_2:
	v_mov_b32_e32 v2, s1
	s_andn2_b64 vcc, exec, s[2:3]
	v_mov_b32_e32 v1, s0
	s_cbranch_vccnz .LBB14_4
; %bb.3:
	v_mov_b32_e32 v2, s1
	v_mov_b32_e32 v1, s0
	flat_load_dwordx2 v[1:2], v[1:2]
.LBB14_4:
	s_waitcnt vmcnt(0) lgkmcnt(0)
	v_cmp_neq_f64_e32 vcc, 0, v[4:5]
	v_cmp_neq_f64_e64 s[0:1], 1.0, v[1:2]
	s_or_b64 s[0:1], vcc, s[0:1]
	s_and_saveexec_b64 s[2:3], s[0:1]
	s_cbranch_execz .LBB14_37
; %bb.5:
	s_load_dwordx2 s[0:1], s[4:5], 0x8
	s_mov_b32 s2, 0
	s_mov_b32 s3, s2
	v_mov_b32_e32 v1, s2
	s_ashr_i32 s7, s6, 31
	v_mov_b32_e32 v2, s3
	s_lshl_b64 s[2:3], s[6:7], 2
	s_waitcnt lgkmcnt(0)
	s_add_u32 s0, s0, s2
	v_lshlrev_b32_e32 v10, 3, v0
	s_addc_u32 s1, s1, s3
	ds_write2st64_b64 v10, v[1:2], v[1:2] offset1:4
	ds_write2st64_b64 v10, v[1:2], v[1:2] offset0:8 offset1:12
	s_waitcnt lgkmcnt(0)
	s_barrier
	s_load_dwordx2 s[20:21], s[0:1], 0x0
	s_load_dwordx8 s[12:19], s[4:5], 0x18
	s_load_dwordx2 s[22:23], s[4:5], 0x40
	v_subrev_u32_e32 v11, s10, v0
	s_waitcnt lgkmcnt(0)
	s_cmp_ge_i32 s20, s21
	s_cbranch_scc1 .LBB14_27
; %bb.6:
	v_cmp_gt_u32_e64 s[0:1], 64, v0
	v_cmp_gt_u32_e64 s[2:3], 16, v0
	;; [unrolled: 1-line block ×3, first 2 shown]
	v_cmp_eq_u32_e64 s[6:7], 0, v0
	v_mov_b32_e32 v12, 0
	s_mov_b32 s24, s20
	s_branch .LBB14_8
.LBB14_7:                               ;   in Loop: Header=BB14_8 Depth=1
	s_or_b64 exec, exec, s[8:9]
	s_add_i32 s24, s24, 1
	s_cmp_ge_i32 s24, s21
	s_cbranch_scc1 .LBB14_27
.LBB14_8:                               ; =>This Loop Header: Depth=1
                                        ;     Child Loop BB14_10 Depth 2
                                        ;     Child Loop BB14_22 Depth 2
	;; [unrolled: 1-line block ×3, first 2 shown]
	s_ashr_i32 s25, s24, 31
	s_lshl_b64 s[8:9], s[24:25], 2
	s_add_u32 s8, s12, s8
	s_addc_u32 s9, s13, s9
	s_load_dwordx2 s[26:27], s[8:9], 0x0
	v_mov_b32_e32 v1, 0
	v_mov_b32_e32 v2, 0
	s_waitcnt lgkmcnt(0)
	s_sub_i32 s11, s27, s10
	v_add_u32_e32 v0, s26, v11
	v_cmp_gt_i32_e32 vcc, s11, v0
	s_and_saveexec_b64 s[26:27], vcc
	s_cbranch_execz .LBB14_12
; %bb.9:                                ;   in Loop: Header=BB14_8 Depth=1
	v_ashrrev_i32_e32 v1, 31, v0
	v_lshlrev_b64 v[2:3], 2, v[0:1]
	v_mov_b32_e32 v7, s15
	v_add_co_u32_e32 v6, vcc, s14, v2
	v_lshlrev_b64 v[1:2], 3, v[0:1]
	v_addc_co_u32_e32 v7, vcc, v7, v3, vcc
	v_mov_b32_e32 v3, s17
	v_add_co_u32_e32 v8, vcc, s16, v1
	v_addc_co_u32_e32 v9, vcc, v3, v2, vcc
	v_mov_b32_e32 v1, 0
	v_mov_b32_e32 v2, 0
	s_mov_b64 s[28:29], 0
.LBB14_10:                              ;   Parent Loop BB14_8 Depth=1
                                        ; =>  This Inner Loop Header: Depth=2
	global_load_dword v3, v[6:7], off
	global_load_dwordx2 v[13:14], v[8:9], off
	v_mov_b32_e32 v17, s19
	v_add_u32_e32 v0, 0x100, v0
	v_cmp_le_i32_e64 s[8:9], s11, v0
	s_or_b64 s[28:29], s[8:9], s[28:29]
	s_waitcnt vmcnt(1)
	v_subrev_u32_e32 v15, s10, v3
	v_ashrrev_i32_e32 v16, 31, v15
	v_lshlrev_b64 v[15:16], 3, v[15:16]
	v_add_co_u32_e32 v15, vcc, s18, v15
	v_addc_co_u32_e32 v16, vcc, v17, v16, vcc
	global_load_dwordx2 v[15:16], v[15:16], off
	v_add_co_u32_e32 v6, vcc, 0x400, v6
	v_addc_co_u32_e32 v7, vcc, 0, v7, vcc
	v_add_co_u32_e32 v8, vcc, 0x800, v8
	v_addc_co_u32_e32 v9, vcc, 0, v9, vcc
	s_waitcnt vmcnt(0)
	v_fma_f64 v[1:2], v[13:14], v[15:16], v[1:2]
	s_andn2_b64 exec, exec, s[28:29]
	s_cbranch_execnz .LBB14_10
; %bb.11:                               ;   in Loop: Header=BB14_8 Depth=1
	s_or_b64 exec, exec, s[28:29]
.LBB14_12:                              ;   in Loop: Header=BB14_8 Depth=1
	s_or_b64 exec, exec, s[26:27]
	ds_write_b64 v10, v[1:2]
	s_waitcnt lgkmcnt(0)
	s_barrier
	ds_read2st64_b64 v[0:3], v10 offset1:4
	ds_read2st64_b64 v[6:9], v10 offset0:8 offset1:12
	s_waitcnt lgkmcnt(0)
	v_add_f64 v[2:3], v[2:3], v[6:7]
	v_add_f64 v[2:3], v[2:3], v[8:9]
	;; [unrolled: 1-line block ×3, first 2 shown]
	ds_write_b64 v10, v[0:1]
	s_waitcnt lgkmcnt(0)
	s_barrier
	s_and_saveexec_b64 s[8:9], s[0:1]
	s_cbranch_execz .LBB14_14
; %bb.13:                               ;   in Loop: Header=BB14_8 Depth=1
	ds_read2st64_b64 v[0:3], v10 offset1:1
	ds_read2st64_b64 v[6:9], v10 offset0:2 offset1:3
	s_waitcnt lgkmcnt(0)
	v_add_f64 v[2:3], v[2:3], v[6:7]
	v_add_f64 v[2:3], v[2:3], v[8:9]
	;; [unrolled: 1-line block ×3, first 2 shown]
	ds_write_b64 v10, v[0:1]
.LBB14_14:                              ;   in Loop: Header=BB14_8 Depth=1
	s_or_b64 exec, exec, s[8:9]
	s_waitcnt lgkmcnt(0)
	s_barrier
	s_and_saveexec_b64 s[8:9], s[2:3]
	s_cbranch_execz .LBB14_16
; %bb.15:                               ;   in Loop: Header=BB14_8 Depth=1
	ds_read2_b64 v[0:3], v10 offset1:16
	ds_read2_b64 v[6:9], v10 offset0:32 offset1:48
	s_waitcnt lgkmcnt(0)
	v_add_f64 v[2:3], v[2:3], v[6:7]
	v_add_f64 v[2:3], v[2:3], v[8:9]
	;; [unrolled: 1-line block ×3, first 2 shown]
	ds_write_b64 v10, v[0:1]
.LBB14_16:                              ;   in Loop: Header=BB14_8 Depth=1
	s_or_b64 exec, exec, s[8:9]
	s_waitcnt lgkmcnt(0)
	s_barrier
	s_and_saveexec_b64 s[8:9], s[4:5]
	s_cbranch_execz .LBB14_18
; %bb.17:                               ;   in Loop: Header=BB14_8 Depth=1
	ds_read2_b64 v[0:3], v10 offset1:4
	ds_read2_b64 v[6:9], v10 offset0:8 offset1:12
	s_waitcnt lgkmcnt(0)
	v_add_f64 v[2:3], v[2:3], v[6:7]
	v_add_f64 v[2:3], v[2:3], v[8:9]
	;; [unrolled: 1-line block ×3, first 2 shown]
	ds_write_b64 v10, v[0:1]
.LBB14_18:                              ;   in Loop: Header=BB14_8 Depth=1
	s_or_b64 exec, exec, s[8:9]
	s_waitcnt lgkmcnt(0)
	s_barrier
	s_and_saveexec_b64 s[8:9], s[6:7]
	s_cbranch_execz .LBB14_20
; %bb.19:                               ;   in Loop: Header=BB14_8 Depth=1
	ds_read2_b64 v[0:3], v12 offset0:1 offset1:2
	ds_read_b64 v[6:7], v10
	s_waitcnt lgkmcnt(1)
	v_add_f64 v[0:1], v[0:1], v[2:3]
	ds_read_b64 v[2:3], v12 offset:24
	s_waitcnt lgkmcnt(0)
	v_add_f64 v[0:1], v[0:1], v[2:3]
	v_add_f64 v[0:1], v[6:7], v[0:1]
	ds_write_b64 v10, v[0:1]
.LBB14_20:                              ;   in Loop: Header=BB14_8 Depth=1
	s_or_b64 exec, exec, s[8:9]
	s_waitcnt lgkmcnt(0)
	s_barrier
	s_and_saveexec_b64 s[8:9], s[6:7]
	s_cbranch_execz .LBB14_7
; %bb.21:                               ;   in Loop: Header=BB14_8 Depth=1
	ds_read_b64 v[0:1], v12
	v_mov_b32_e32 v6, 0
	s_mov_b64 s[26:27], exec
	v_bfrev_b32_e32 v7, 1
	s_waitcnt lgkmcnt(0)
	v_mul_f64 v[0:1], v[4:5], v[0:1]
.LBB14_22:                              ;   Parent Loop BB14_8 Depth=1
                                        ; =>  This Inner Loop Header: Depth=2
	s_ff1_i32_b64 s11, s[26:27]
	v_readlane_b32 s29, v1, s11
	v_readlane_b32 s28, v0, s11
	v_add_f64 v[6:7], v[6:7], s[28:29]
	s_lshl_b64 s[28:29], 1, s11
	s_andn2_b64 s[26:27], s[26:27], s[28:29]
	s_cmp_lg_u64 s[26:27], 0
	s_cbranch_scc1 .LBB14_22
; %bb.23:                               ;   in Loop: Header=BB14_8 Depth=1
	v_mbcnt_lo_u32_b32 v0, exec_lo, 0
	v_mbcnt_hi_u32_b32 v0, exec_hi, v0
	v_cmp_eq_u32_e32 vcc, 0, v0
	s_and_saveexec_b64 s[26:27], vcc
	s_xor_b64 s[26:27], exec, s[26:27]
	s_cbranch_execz .LBB14_7
; %bb.24:                               ;   in Loop: Header=BB14_8 Depth=1
	s_lshl_b64 s[26:27], s[24:25], 3
	s_add_u32 s26, s22, s26
	s_addc_u32 s27, s23, s27
	global_load_dwordx2 v[2:3], v12, s[26:27]
	s_mov_b64 s[28:29], 0
.LBB14_25:                              ;   Parent Loop BB14_8 Depth=1
                                        ; =>  This Inner Loop Header: Depth=2
	s_waitcnt vmcnt(0)
	v_add_f64 v[0:1], v[2:3], v[6:7]
	global_atomic_cmpswap_x2 v[0:1], v12, v[0:3], s[26:27] glc
	s_waitcnt vmcnt(0)
	v_cmp_eq_u64_e32 vcc, v[0:1], v[2:3]
	v_mov_b32_e32 v3, v1
	s_or_b64 s[28:29], vcc, s[28:29]
	v_mov_b32_e32 v2, v0
	s_andn2_b64 exec, exec, s[28:29]
	s_cbranch_execnz .LBB14_25
; %bb.26:                               ;   in Loop: Header=BB14_8 Depth=1
	s_or_b64 exec, exec, s[28:29]
	s_branch .LBB14_7
.LBB14_27:
	s_ashr_i32 s1, s20, 31
	s_mov_b32 s0, s20
	s_lshl_b64 s[0:1], s[0:1], 2
	s_add_u32 s0, s12, s0
	s_addc_u32 s1, s13, s1
	s_ashr_i32 s3, s21, 31
	s_mov_b32 s2, s21
	s_lshl_b64 s[2:3], s[2:3], 2
	s_add_u32 s2, s12, s2
	s_addc_u32 s3, s13, s3
	s_load_dword s4, s[2:3], 0x0
	s_load_dword s5, s[0:1], 0x0
	s_waitcnt lgkmcnt(0)
	s_sub_i32 s8, s4, s10
	v_add_u32_e32 v6, s5, v11
	v_cmp_gt_i32_e32 vcc, s8, v6
	s_and_b64 exec, exec, vcc
	s_cbranch_execz .LBB14_37
; %bb.28:
	s_add_i32 s9, s21, -1
	s_cmp_lt_i32 s20, s9
	s_cselect_b64 s[0:1], -1, 0
	s_add_i32 s2, s21, -2
	s_cmp_lg_u32 s20, s2
	s_cselect_b64 s[2:3], -1, 0
	s_and_b64 s[0:1], s[0:1], s[2:3]
	v_cndmask_b32_e64 v0, 0, 1, s[0:1]
	s_mov_b64 s[4:5], 0
	v_cmp_ne_u32_e64 s[0:1], 1, v0
	v_mov_b32_e32 v11, s13
	v_mov_b32_e32 v12, s15
	s_branch .LBB14_30
.LBB14_29:                              ;   in Loop: Header=BB14_30 Depth=1
	s_or_b64 exec, exec, s[2:3]
	v_add_u32_e32 v6, 0x100, v6
	v_cmp_le_i32_e32 vcc, s8, v6
	s_or_b64 s[4:5], vcc, s[4:5]
	s_andn2_b64 exec, exec, s[4:5]
	s_cbranch_execz .LBB14_37
.LBB14_30:                              ; =>This Loop Header: Depth=1
                                        ;     Child Loop BB14_32 Depth 2
                                        ;     Child Loop BB14_36 Depth 2
	s_and_b64 vcc, exec, s[0:1]
	v_mov_b32_e32 v2, s20
	v_mov_b32_e32 v0, s9
	s_cbranch_vccnz .LBB14_34
; %bb.31:                               ;   in Loop: Header=BB14_30 Depth=1
	s_mov_b64 s[6:7], 0
	v_mov_b32_e32 v2, s20
	v_mov_b32_e32 v0, s9
.LBB14_32:                              ;   Parent Loop BB14_30 Depth=1
                                        ; =>  This Inner Loop Header: Depth=2
	v_add_u32_e32 v1, v0, v2
	v_lshrrev_b32_e32 v7, 31, v1
	v_add_u32_e32 v1, v1, v7
	v_ashrrev_i32_e32 v7, 1, v1
	v_ashrrev_i32_e32 v8, 31, v7
	v_lshlrev_b64 v[8:9], 2, v[7:8]
	v_mov_b32_e32 v3, s13
	v_add_co_u32_e32 v8, vcc, s12, v8
	v_addc_co_u32_e32 v9, vcc, v3, v9, vcc
	global_load_dword v1, v[8:9], off
	s_waitcnt vmcnt(0)
	v_subrev_u32_e32 v1, s10, v1
	v_cmp_lt_i32_e32 vcc, v6, v1
	v_cndmask_b32_e32 v0, v0, v7, vcc
	v_cndmask_b32_e32 v2, v7, v2, vcc
	v_add_u32_e32 v1, -1, v0
	v_cmp_ge_i32_e32 vcc, v2, v0
	v_cmp_eq_u32_e64 s[2:3], v2, v1
	s_or_b64 s[2:3], vcc, s[2:3]
	s_and_b64 s[2:3], exec, s[2:3]
	s_or_b64 s[6:7], s[2:3], s[6:7]
	s_andn2_b64 exec, exec, s[6:7]
	s_cbranch_execnz .LBB14_32
; %bb.33:                               ;   in Loop: Header=BB14_30 Depth=1
	s_or_b64 exec, exec, s[6:7]
.LBB14_34:                              ;   in Loop: Header=BB14_30 Depth=1
	v_ashrrev_i32_e32 v1, 31, v0
	v_lshlrev_b64 v[7:8], 2, v[0:1]
	v_add_co_u32_e32 v7, vcc, s12, v7
	v_addc_co_u32_e32 v8, vcc, v11, v8, vcc
	global_load_dword v1, v[7:8], off
	v_ashrrev_i32_e32 v7, 31, v6
	v_lshlrev_b64 v[8:9], 2, v[6:7]
	v_add_co_u32_e32 v8, vcc, s14, v8
	v_addc_co_u32_e32 v9, vcc, v12, v9, vcc
	global_load_dword v3, v[8:9], off
	s_waitcnt vmcnt(1)
	v_subrev_u32_e32 v1, s10, v1
	v_cmp_lt_i32_e32 vcc, v6, v1
	v_cndmask_b32_e32 v1, v0, v2, vcc
	s_waitcnt vmcnt(0)
	v_subrev_u32_e32 v0, s10, v3
	v_cmp_ne_u32_e32 vcc, v0, v1
	s_and_saveexec_b64 s[2:3], vcc
	s_cbranch_execz .LBB14_29
; %bb.35:                               ;   in Loop: Header=BB14_30 Depth=1
	v_lshlrev_b64 v[2:3], 3, v[6:7]
	v_mov_b32_e32 v7, s17
	v_add_co_u32_e32 v2, vcc, s16, v2
	v_addc_co_u32_e32 v3, vcc, v7, v3, vcc
	global_load_dwordx2 v[9:10], v[2:3], off
	v_ashrrev_i32_e32 v2, 31, v1
	v_lshlrev_b64 v[1:2], 3, v[1:2]
	v_mov_b32_e32 v3, s19
	v_add_co_u32_e32 v1, vcc, s18, v1
	v_addc_co_u32_e32 v2, vcc, v3, v2, vcc
	global_load_dwordx2 v[13:14], v[1:2], off
	v_ashrrev_i32_e32 v1, 31, v0
	v_lshlrev_b64 v[0:1], 3, v[0:1]
	v_mov_b32_e32 v2, s23
	v_add_co_u32_e32 v7, vcc, s22, v0
	v_addc_co_u32_e32 v8, vcc, v2, v1, vcc
	global_load_dwordx2 v[2:3], v[7:8], off
	s_mov_b64 s[6:7], 0
	s_waitcnt vmcnt(2)
	v_mul_f64 v[0:1], v[4:5], v[9:10]
	s_waitcnt vmcnt(1)
	v_mul_f64 v[9:10], v[0:1], v[13:14]
.LBB14_36:                              ;   Parent Loop BB14_30 Depth=1
                                        ; =>  This Inner Loop Header: Depth=2
	s_waitcnt vmcnt(0)
	v_add_f64 v[0:1], v[2:3], v[9:10]
	global_atomic_cmpswap_x2 v[0:1], v[7:8], v[0:3], off glc
	s_waitcnt vmcnt(0)
	v_cmp_eq_u64_e32 vcc, v[0:1], v[2:3]
	v_mov_b32_e32 v3, v1
	s_or_b64 s[6:7], vcc, s[6:7]
	v_mov_b32_e32 v2, v0
	s_andn2_b64 exec, exec, s[6:7]
	s_cbranch_execnz .LBB14_36
	s_branch .LBB14_29
.LBB14_37:
	s_endpgm
	.section	.rodata,"a",@progbits
	.p2align	6, 0x0
	.amdhsa_kernel _ZL33csrmvn_symm_large_adaptive_kernelIiiddddEvbT_PKS0_N9rocsparse24const_host_device_scalarIT4_EES2_PKT0_PKT1_PKT2_S6_PT3_21rocsparse_index_base_b
		.amdhsa_group_segment_fixed_size 8192
		.amdhsa_private_segment_fixed_size 0
		.amdhsa_kernarg_size 80
		.amdhsa_user_sgpr_count 6
		.amdhsa_user_sgpr_private_segment_buffer 1
		.amdhsa_user_sgpr_dispatch_ptr 0
		.amdhsa_user_sgpr_queue_ptr 0
		.amdhsa_user_sgpr_kernarg_segment_ptr 1
		.amdhsa_user_sgpr_dispatch_id 0
		.amdhsa_user_sgpr_flat_scratch_init 0
		.amdhsa_user_sgpr_private_segment_size 0
		.amdhsa_uses_dynamic_stack 0
		.amdhsa_system_sgpr_private_segment_wavefront_offset 0
		.amdhsa_system_sgpr_workgroup_id_x 1
		.amdhsa_system_sgpr_workgroup_id_y 0
		.amdhsa_system_sgpr_workgroup_id_z 0
		.amdhsa_system_sgpr_workgroup_info 0
		.amdhsa_system_vgpr_workitem_id 0
		.amdhsa_next_free_vgpr 29
		.amdhsa_next_free_sgpr 61
		.amdhsa_reserve_vcc 1
		.amdhsa_reserve_flat_scratch 0
		.amdhsa_float_round_mode_32 0
		.amdhsa_float_round_mode_16_64 0
		.amdhsa_float_denorm_mode_32 3
		.amdhsa_float_denorm_mode_16_64 3
		.amdhsa_dx10_clamp 1
		.amdhsa_ieee_mode 1
		.amdhsa_fp16_overflow 0
		.amdhsa_exception_fp_ieee_invalid_op 0
		.amdhsa_exception_fp_denorm_src 0
		.amdhsa_exception_fp_ieee_div_zero 0
		.amdhsa_exception_fp_ieee_overflow 0
		.amdhsa_exception_fp_ieee_underflow 0
		.amdhsa_exception_fp_ieee_inexact 0
		.amdhsa_exception_int_div_zero 0
	.end_amdhsa_kernel
	.section	.text._ZL33csrmvn_symm_large_adaptive_kernelIiiddddEvbT_PKS0_N9rocsparse24const_host_device_scalarIT4_EES2_PKT0_PKT1_PKT2_S6_PT3_21rocsparse_index_base_b,"axG",@progbits,_ZL33csrmvn_symm_large_adaptive_kernelIiiddddEvbT_PKS0_N9rocsparse24const_host_device_scalarIT4_EES2_PKT0_PKT1_PKT2_S6_PT3_21rocsparse_index_base_b,comdat
.Lfunc_end14:
	.size	_ZL33csrmvn_symm_large_adaptive_kernelIiiddddEvbT_PKS0_N9rocsparse24const_host_device_scalarIT4_EES2_PKT0_PKT1_PKT2_S6_PT3_21rocsparse_index_base_b, .Lfunc_end14-_ZL33csrmvn_symm_large_adaptive_kernelIiiddddEvbT_PKS0_N9rocsparse24const_host_device_scalarIT4_EES2_PKT0_PKT1_PKT2_S6_PT3_21rocsparse_index_base_b
                                        ; -- End function
	.set _ZL33csrmvn_symm_large_adaptive_kernelIiiddddEvbT_PKS0_N9rocsparse24const_host_device_scalarIT4_EES2_PKT0_PKT1_PKT2_S6_PT3_21rocsparse_index_base_b.num_vgpr, 18
	.set _ZL33csrmvn_symm_large_adaptive_kernelIiiddddEvbT_PKS0_N9rocsparse24const_host_device_scalarIT4_EES2_PKT0_PKT1_PKT2_S6_PT3_21rocsparse_index_base_b.num_agpr, 0
	.set _ZL33csrmvn_symm_large_adaptive_kernelIiiddddEvbT_PKS0_N9rocsparse24const_host_device_scalarIT4_EES2_PKT0_PKT1_PKT2_S6_PT3_21rocsparse_index_base_b.numbered_sgpr, 30
	.set _ZL33csrmvn_symm_large_adaptive_kernelIiiddddEvbT_PKS0_N9rocsparse24const_host_device_scalarIT4_EES2_PKT0_PKT1_PKT2_S6_PT3_21rocsparse_index_base_b.num_named_barrier, 0
	.set _ZL33csrmvn_symm_large_adaptive_kernelIiiddddEvbT_PKS0_N9rocsparse24const_host_device_scalarIT4_EES2_PKT0_PKT1_PKT2_S6_PT3_21rocsparse_index_base_b.private_seg_size, 0
	.set _ZL33csrmvn_symm_large_adaptive_kernelIiiddddEvbT_PKS0_N9rocsparse24const_host_device_scalarIT4_EES2_PKT0_PKT1_PKT2_S6_PT3_21rocsparse_index_base_b.uses_vcc, 1
	.set _ZL33csrmvn_symm_large_adaptive_kernelIiiddddEvbT_PKS0_N9rocsparse24const_host_device_scalarIT4_EES2_PKT0_PKT1_PKT2_S6_PT3_21rocsparse_index_base_b.uses_flat_scratch, 0
	.set _ZL33csrmvn_symm_large_adaptive_kernelIiiddddEvbT_PKS0_N9rocsparse24const_host_device_scalarIT4_EES2_PKT0_PKT1_PKT2_S6_PT3_21rocsparse_index_base_b.has_dyn_sized_stack, 0
	.set _ZL33csrmvn_symm_large_adaptive_kernelIiiddddEvbT_PKS0_N9rocsparse24const_host_device_scalarIT4_EES2_PKT0_PKT1_PKT2_S6_PT3_21rocsparse_index_base_b.has_recursion, 0
	.set _ZL33csrmvn_symm_large_adaptive_kernelIiiddddEvbT_PKS0_N9rocsparse24const_host_device_scalarIT4_EES2_PKT0_PKT1_PKT2_S6_PT3_21rocsparse_index_base_b.has_indirect_call, 0
	.section	.AMDGPU.csdata,"",@progbits
; Kernel info:
; codeLenInByte = 1688
; TotalNumSgprs: 34
; NumVgprs: 18
; ScratchSize: 0
; MemoryBound: 0
; FloatMode: 240
; IeeeMode: 1
; LDSByteSize: 8192 bytes/workgroup (compile time only)
; SGPRBlocks: 8
; VGPRBlocks: 7
; NumSGPRsForWavesPerEU: 65
; NumVGPRsForWavesPerEU: 29
; Occupancy: 8
; WaveLimiterHint : 1
; COMPUTE_PGM_RSRC2:SCRATCH_EN: 0
; COMPUTE_PGM_RSRC2:USER_SGPR: 6
; COMPUTE_PGM_RSRC2:TRAP_HANDLER: 0
; COMPUTE_PGM_RSRC2:TGID_X_EN: 1
; COMPUTE_PGM_RSRC2:TGID_Y_EN: 0
; COMPUTE_PGM_RSRC2:TGID_Z_EN: 0
; COMPUTE_PGM_RSRC2:TIDIG_COMP_CNT: 0
	.section	.text._ZN9rocsparseL22csrmvn_adaptive_kernelIliddddEEvbT_PKS1_PjPKT0_NS_24const_host_device_scalarIT4_EES3_S7_PKT1_PKT2_SA_PT3_21rocsparse_index_base_b,"axG",@progbits,_ZN9rocsparseL22csrmvn_adaptive_kernelIliddddEEvbT_PKS1_PjPKT0_NS_24const_host_device_scalarIT4_EES3_S7_PKT1_PKT2_SA_PT3_21rocsparse_index_base_b,comdat
	.globl	_ZN9rocsparseL22csrmvn_adaptive_kernelIliddddEEvbT_PKS1_PjPKT0_NS_24const_host_device_scalarIT4_EES3_S7_PKT1_PKT2_SA_PT3_21rocsparse_index_base_b ; -- Begin function _ZN9rocsparseL22csrmvn_adaptive_kernelIliddddEEvbT_PKS1_PjPKT0_NS_24const_host_device_scalarIT4_EES3_S7_PKT1_PKT2_SA_PT3_21rocsparse_index_base_b
	.p2align	8
	.type	_ZN9rocsparseL22csrmvn_adaptive_kernelIliddddEEvbT_PKS1_PjPKT0_NS_24const_host_device_scalarIT4_EES3_S7_PKT1_PKT2_SA_PT3_21rocsparse_index_base_b,@function
_ZN9rocsparseL22csrmvn_adaptive_kernelIliddddEEvbT_PKS1_PjPKT0_NS_24const_host_device_scalarIT4_EES3_S7_PKT1_PKT2_SA_PT3_21rocsparse_index_base_b: ; @_ZN9rocsparseL22csrmvn_adaptive_kernelIliddddEEvbT_PKS1_PjPKT0_NS_24const_host_device_scalarIT4_EES3_S7_PKT1_PKT2_SA_PT3_21rocsparse_index_base_b
; %bb.0:
	s_load_dwordx2 s[44:45], s[4:5], 0x60
	s_load_dwordx2 s[8:9], s[4:5], 0x28
	s_load_dwordx2 s[0:1], s[4:5], 0x50
	s_waitcnt lgkmcnt(0)
	s_bitcmp1_b32 s45, 0
	s_cselect_b64 s[10:11], -1, 0
	v_mov_b32_e32 v7, s8
	s_xor_b64 s[2:3], s[10:11], -1
	s_and_b64 vcc, exec, s[10:11]
	v_mov_b32_e32 v8, s9
	s_cbranch_vccnz .LBB15_2
; %bb.1:
	v_mov_b32_e32 v1, s8
	v_mov_b32_e32 v2, s9
	flat_load_dwordx2 v[7:8], v[1:2]
.LBB15_2:
	v_mov_b32_e32 v6, s1
	s_andn2_b64 vcc, exec, s[2:3]
	v_mov_b32_e32 v5, s0
	s_cbranch_vccnz .LBB15_4
; %bb.3:
	v_mov_b32_e32 v2, s1
	v_mov_b32_e32 v1, s0
	flat_load_dwordx2 v[5:6], v[1:2]
.LBB15_4:
	s_waitcnt vmcnt(0) lgkmcnt(0)
	v_cmp_neq_f64_e32 vcc, 0, v[7:8]
	v_cmp_neq_f64_e64 s[0:1], 1.0, v[5:6]
	s_or_b64 s[0:1], vcc, s[0:1]
	s_and_saveexec_b64 s[2:3], s[0:1]
	s_cbranch_execz .LBB15_116
; %bb.5:
	s_load_dwordx2 s[0:1], s[4:5], 0x10
	s_load_dwordx2 s[8:9], s[4:5], 0x20
	s_ashr_i32 s7, s6, 31
	s_lshl_b64 s[2:3], s[6:7], 3
	s_waitcnt lgkmcnt(0)
	s_add_u32 s0, s0, s2
	s_addc_u32 s1, s1, s3
	s_load_dwordx4 s[36:39], s[0:1], 0x0
	s_load_dwordx2 s[34:35], s[4:5], 0x58
	s_load_dwordx8 s[24:31], s[4:5], 0x30
	s_lshl_b64 s[48:49], s[6:7], 2
	s_waitcnt lgkmcnt(0)
	s_sub_i32 s2, s38, s36
	s_add_u32 s0, s8, s48
	s_addc_u32 s1, s9, s49
	s_lshl_b64 s[46:47], s[36:37], 3
	s_add_u32 s40, s24, s46
	s_addc_u32 s41, s25, s47
	s_load_dword s33, s[0:1], 0x0
	s_load_dwordx2 s[42:43], s[40:41], 0x0
	s_cmp_lt_i32 s2, 2
	s_mov_b64 s[0:1], -1
	s_cbranch_scc0 .LBB15_72
; %bb.6:
	s_cmp_lg_u32 s2, 1
	s_cselect_b64 s[0:1], -1, 0
	s_waitcnt lgkmcnt(0)
	s_cmp_lg_u32 s33, 0
	s_cselect_b64 s[2:3], -1, 0
	s_or_b64 s[2:3], s[0:1], s[2:3]
	s_mov_b64 s[0:1], -1
	s_and_b64 vcc, exec, s[2:3]
	s_cbranch_vccnz .LBB15_35
; %bb.7:
	v_mov_b32_e32 v1, s36
	v_mov_b32_e32 v2, s37
	v_cmp_le_i64_e32 vcc, s[38:39], v[1:2]
	s_cbranch_vccnz .LBB15_34
; %bb.8:
	v_cmp_neq_f64_e64 s[12:13], 0, v[5:6]
	v_subrev_co_u32_e32 v16, vcc, s44, v0
	v_subb_co_u32_e64 v17, s[0:1], 0, 0, vcc
	s_movk_i32 s0, 0x80
	v_mov_b32_e32 v1, s38
	v_mov_b32_e32 v15, 0
	v_lshlrev_b32_e32 v18, 3, v0
	v_cmp_gt_u32_e64 s[0:1], s0, v0
	v_cmp_gt_u32_e64 s[2:3], 64, v0
	;; [unrolled: 1-line block ×7, first 2 shown]
	v_cmp_eq_u32_e64 s[20:21], 0, v0
	v_mov_b32_e32 v2, s39
	s_movk_i32 s7, 0x100
	s_mov_b64 s[50:51], s[36:37]
	s_branch .LBB15_11
.LBB15_9:                               ;   in Loop: Header=BB15_11 Depth=1
	s_or_b64 exec, exec, s[54:55]
	s_add_u32 s52, s34, s52
	s_addc_u32 s53, s35, s53
	s_waitcnt lgkmcnt(0)
	global_store_dwordx2 v15, v[3:4], s[52:53]
.LBB15_10:                              ;   in Loop: Header=BB15_11 Depth=1
	s_or_b64 exec, exec, s[22:23]
	s_add_u32 s50, s50, 1
	s_addc_u32 s51, s51, 0
	v_cmp_ge_i64_e32 vcc, s[50:51], v[1:2]
	s_cbranch_vccnz .LBB15_34
.LBB15_11:                              ; =>This Loop Header: Depth=1
                                        ;     Child Loop BB15_13 Depth 2
	s_lshl_b64 s[52:53], s[50:51], 3
	s_add_u32 s22, s24, s52
	s_addc_u32 s23, s25, s53
	s_load_dwordx4 s[56:59], s[22:23], 0x0
	v_mov_b32_e32 v9, 0
	v_mov_b32_e32 v10, 0
	s_waitcnt lgkmcnt(0)
	s_sub_u32 s54, s58, s44
	v_mov_b32_e32 v4, s57
	v_add_co_u32_e32 v3, vcc, s56, v16
	s_subb_u32 s55, s59, 0
	v_addc_co_u32_e32 v4, vcc, v4, v17, vcc
	v_cmp_gt_i64_e32 vcc, s[54:55], v[3:4]
	s_and_saveexec_b64 s[56:57], vcc
	s_cbranch_execz .LBB15_15
; %bb.12:                               ;   in Loop: Header=BB15_11 Depth=1
	v_lshlrev_b64 v[9:10], 3, v[3:4]
	v_mov_b32_e32 v12, s29
	v_add_co_u32_e32 v11, vcc, s28, v9
	v_addc_co_u32_e32 v12, vcc, v12, v10, vcc
	v_lshlrev_b64 v[9:10], 2, v[3:4]
	v_mov_b32_e32 v14, s27
	v_add_co_u32_e32 v13, vcc, s26, v9
	v_addc_co_u32_e32 v14, vcc, v14, v10, vcc
	v_mov_b32_e32 v9, 0
	v_mov_b32_e32 v10, 0
	s_mov_b64 s[58:59], 0
.LBB15_13:                              ;   Parent Loop BB15_11 Depth=1
                                        ; =>  This Inner Loop Header: Depth=2
	global_load_dword v21, v[13:14], off
	global_load_dwordx2 v[19:20], v[11:12], off
	v_mov_b32_e32 v23, s31
	s_waitcnt vmcnt(1)
	v_subrev_u32_e32 v21, s44, v21
	v_ashrrev_i32_e32 v22, 31, v21
	v_lshlrev_b64 v[21:22], 3, v[21:22]
	s_waitcnt vmcnt(0)
	v_mul_f64 v[19:20], v[7:8], v[19:20]
	v_add_co_u32_e32 v21, vcc, s30, v21
	v_addc_co_u32_e32 v22, vcc, v23, v22, vcc
	global_load_dwordx2 v[21:22], v[21:22], off
	v_add_co_u32_e32 v3, vcc, s7, v3
	v_addc_co_u32_e32 v4, vcc, 0, v4, vcc
	v_add_co_u32_e32 v11, vcc, 0x800, v11
	v_addc_co_u32_e32 v12, vcc, 0, v12, vcc
	v_cmp_le_i64_e64 s[22:23], s[54:55], v[3:4]
	v_add_co_u32_e32 v13, vcc, 0x400, v13
	s_or_b64 s[58:59], s[22:23], s[58:59]
	v_addc_co_u32_e32 v14, vcc, 0, v14, vcc
	s_waitcnt vmcnt(0)
	v_fma_f64 v[9:10], v[19:20], v[21:22], v[9:10]
	s_andn2_b64 exec, exec, s[58:59]
	s_cbranch_execnz .LBB15_13
; %bb.14:                               ;   in Loop: Header=BB15_11 Depth=1
	s_or_b64 exec, exec, s[58:59]
.LBB15_15:                              ;   in Loop: Header=BB15_11 Depth=1
	s_or_b64 exec, exec, s[56:57]
	ds_write_b64 v18, v[9:10]
	s_waitcnt vmcnt(0) lgkmcnt(0)
	s_barrier
	s_and_saveexec_b64 s[22:23], s[0:1]
	s_cbranch_execz .LBB15_17
; %bb.16:                               ;   in Loop: Header=BB15_11 Depth=1
	ds_read2st64_b64 v[9:12], v18 offset1:2
	s_waitcnt lgkmcnt(0)
	v_add_f64 v[3:4], v[9:10], v[11:12]
	ds_write_b64 v18, v[3:4]
.LBB15_17:                              ;   in Loop: Header=BB15_11 Depth=1
	s_or_b64 exec, exec, s[22:23]
	s_waitcnt lgkmcnt(0)
	s_barrier
	s_and_saveexec_b64 s[22:23], s[2:3]
	s_cbranch_execz .LBB15_19
; %bb.18:                               ;   in Loop: Header=BB15_11 Depth=1
	ds_read2st64_b64 v[9:12], v18 offset1:1
	s_waitcnt lgkmcnt(0)
	v_add_f64 v[3:4], v[9:10], v[11:12]
	ds_write_b64 v18, v[3:4]
.LBB15_19:                              ;   in Loop: Header=BB15_11 Depth=1
	s_or_b64 exec, exec, s[22:23]
	s_waitcnt lgkmcnt(0)
	s_barrier
	s_and_saveexec_b64 s[22:23], s[8:9]
	s_cbranch_execz .LBB15_21
; %bb.20:                               ;   in Loop: Header=BB15_11 Depth=1
	ds_read2_b64 v[9:12], v18 offset1:32
	s_waitcnt lgkmcnt(0)
	v_add_f64 v[3:4], v[9:10], v[11:12]
	ds_write_b64 v18, v[3:4]
.LBB15_21:                              ;   in Loop: Header=BB15_11 Depth=1
	s_or_b64 exec, exec, s[22:23]
	s_waitcnt lgkmcnt(0)
	s_barrier
	s_and_saveexec_b64 s[22:23], s[10:11]
	s_cbranch_execz .LBB15_23
; %bb.22:                               ;   in Loop: Header=BB15_11 Depth=1
	ds_read2_b64 v[9:12], v18 offset1:16
	s_waitcnt lgkmcnt(0)
	v_add_f64 v[3:4], v[9:10], v[11:12]
	ds_write_b64 v18, v[3:4]
.LBB15_23:                              ;   in Loop: Header=BB15_11 Depth=1
	;; [unrolled: 11-line block ×5, first 2 shown]
	s_or_b64 exec, exec, s[22:23]
	s_waitcnt lgkmcnt(0)
	s_barrier
	s_and_saveexec_b64 s[22:23], s[20:21]
	s_cbranch_execz .LBB15_31
; %bb.30:                               ;   in Loop: Header=BB15_11 Depth=1
	ds_read_b128 v[9:12], v15
	s_waitcnt lgkmcnt(0)
	v_add_f64 v[3:4], v[9:10], v[11:12]
	ds_write_b64 v15, v[3:4]
.LBB15_31:                              ;   in Loop: Header=BB15_11 Depth=1
	s_or_b64 exec, exec, s[22:23]
	s_waitcnt lgkmcnt(0)
	s_barrier
	s_and_saveexec_b64 s[22:23], s[20:21]
	s_cbranch_execz .LBB15_10
; %bb.32:                               ;   in Loop: Header=BB15_11 Depth=1
	ds_read_b64 v[3:4], v15
	s_and_saveexec_b64 s[54:55], s[12:13]
	s_cbranch_execz .LBB15_9
; %bb.33:                               ;   in Loop: Header=BB15_11 Depth=1
	s_add_u32 s56, s34, s52
	s_addc_u32 s57, s35, s53
	global_load_dwordx2 v[9:10], v15, s[56:57]
	s_waitcnt vmcnt(0) lgkmcnt(0)
	v_fma_f64 v[3:4], v[5:6], v[9:10], v[3:4]
	s_branch .LBB15_9
.LBB15_34:
	s_mov_b64 s[0:1], 0
.LBB15_35:
	s_andn2_b64 vcc, exec, s[0:1]
	s_cbranch_vccnz .LBB15_71
; %bb.36:
	s_load_dwordx2 s[8:9], s[4:5], 0x18
	s_sub_i32 s6, s6, s33
	v_mov_b32_e32 v3, 0
	v_or_b32_e32 v4, s33, v0
	v_mov_b32_e32 v1, 0
	s_waitcnt lgkmcnt(0)
	s_add_u32 s2, s8, s48
	s_addc_u32 s3, s9, s49
	global_load_dword v13, v3, s[2:3]
	v_mov_b32_e32 v2, 0
	v_cmp_eq_u32_e32 vcc, 0, v4
	s_and_saveexec_b64 s[0:1], vcc
	s_cbranch_execz .LBB15_40
; %bb.37:
	s_add_u32 s12, s34, s46
	s_addc_u32 s13, s35, s47
	global_load_dwordx2 v[1:2], v3, s[12:13]
	v_add_f64 v[3:4], v[5:6], -1.0
	s_mov_b64 s[10:11], exec
	v_mbcnt_lo_u32_b32 v9, s10, 0
	v_mbcnt_hi_u32_b32 v9, s11, v9
	v_cmp_eq_u32_e32 vcc, 0, v9
	s_waitcnt vmcnt(0) expcnt(0) lgkmcnt(0)
	s_and_saveexec_b64 s[12:13], vcc
	s_cbranch_execz .LBB15_39
; %bb.38:
	s_ashr_i32 s7, s6, 31
	s_lshl_b64 s[14:15], s[6:7], 2
	s_add_u32 s14, s8, s14
	s_addc_u32 s15, s9, s15
	s_bcnt1_i32_b64 s7, s[10:11]
	s_and_b32 s7, s7, 1
	v_mov_b32_e32 v9, 0
	v_mov_b32_e32 v10, s7
	global_atomic_xor v9, v10, s[14:15]
.LBB15_39:
	s_or_b64 exec, exec, s[12:13]
	v_mul_f64 v[1:2], v[3:4], v[1:2]
.LBB15_40:
	s_or_b64 exec, exec, s[0:1]
	s_load_dwordx2 s[0:1], s[40:41], 0x8
	s_sub_u32 s11, s42, s44
	s_mul_i32 s7, s33, 0xc00
	s_subb_u32 s12, s43, 0
	s_mul_hi_i32 s10, s33, 0xc00
	s_add_u32 s7, s11, s7
	s_addc_u32 s12, s12, s10
	s_waitcnt lgkmcnt(0)
	s_sub_u32 s0, s0, s44
	v_mov_b32_e32 v4, s12
	v_add_co_u32_e32 v3, vcc, s7, v0
	s_subb_u32 s1, s1, 0
	v_addc_co_u32_e32 v4, vcc, 0, v4, vcc
	v_cmp_gt_i64_e32 vcc, s[0:1], v[3:4]
	s_and_saveexec_b64 s[10:11], vcc
	s_cbranch_execz .LBB15_44
; %bb.41:
	s_add_u32 s14, s7, 0xc00
	v_mov_b32_e32 v10, s1
	s_addc_u32 s15, s12, 0
	v_mov_b32_e32 v9, s0
	v_cmp_lt_i64_e32 vcc, s[14:15], v[9:10]
	v_lshlrev_b64 v[9:10], 3, v[3:4]
	s_and_b64 s[12:13], vcc, exec
	v_mov_b32_e32 v11, s29
	v_add_co_u32_e32 v9, vcc, s28, v9
	v_addc_co_u32_e32 v10, vcc, v11, v10, vcc
	v_lshlrev_b64 v[11:12], 2, v[3:4]
	v_mov_b32_e32 v14, s27
	v_add_co_u32_e32 v11, vcc, s26, v11
	s_cselect_b32 s13, s15, s1
	s_cselect_b32 s12, s14, s0
	v_addc_co_u32_e32 v12, vcc, v14, v12, vcc
	s_mov_b64 s[14:15], 0
	v_mov_b32_e32 v14, s31
	s_movk_i32 s7, 0x100
.LBB15_42:                              ; =>This Inner Loop Header: Depth=1
	global_load_dword v17, v[11:12], off
	global_load_dwordx2 v[15:16], v[9:10], off
	s_waitcnt vmcnt(1)
	v_subrev_u32_e32 v17, s44, v17
	v_ashrrev_i32_e32 v18, 31, v17
	v_lshlrev_b64 v[17:18], 3, v[17:18]
	s_waitcnt vmcnt(0)
	v_mul_f64 v[15:16], v[7:8], v[15:16]
	v_add_co_u32_e32 v17, vcc, s30, v17
	v_addc_co_u32_e32 v18, vcc, v14, v18, vcc
	global_load_dwordx2 v[17:18], v[17:18], off
	v_add_co_u32_e32 v3, vcc, s7, v3
	v_addc_co_u32_e32 v4, vcc, 0, v4, vcc
	v_add_co_u32_e32 v9, vcc, 0x800, v9
	v_addc_co_u32_e32 v10, vcc, 0, v10, vcc
	v_cmp_le_i64_e64 s[0:1], s[12:13], v[3:4]
	v_add_co_u32_e32 v11, vcc, 0x400, v11
	s_or_b64 s[14:15], s[0:1], s[14:15]
	v_addc_co_u32_e32 v12, vcc, 0, v12, vcc
	s_waitcnt vmcnt(0)
	v_fma_f64 v[1:2], v[15:16], v[17:18], v[1:2]
	s_andn2_b64 exec, exec, s[14:15]
	s_cbranch_execnz .LBB15_42
; %bb.43:
	s_or_b64 exec, exec, s[14:15]
.LBB15_44:
	s_or_b64 exec, exec, s[10:11]
	s_movk_i32 s0, 0x80
	v_lshlrev_b32_e32 v3, 3, v0
	v_cmp_gt_u32_e32 vcc, s0, v0
	ds_write_b64 v3, v[1:2]
	s_waitcnt vmcnt(0) lgkmcnt(0)
	s_barrier
	s_and_saveexec_b64 s[0:1], vcc
	s_cbranch_execz .LBB15_46
; %bb.45:
	ds_read2st64_b64 v[9:12], v3 offset1:2
	s_waitcnt lgkmcnt(0)
	v_add_f64 v[1:2], v[9:10], v[11:12]
	ds_write_b64 v3, v[1:2]
.LBB15_46:
	s_or_b64 exec, exec, s[0:1]
	v_cmp_gt_u32_e32 vcc, 64, v0
	s_waitcnt lgkmcnt(0)
	s_barrier
	s_and_saveexec_b64 s[0:1], vcc
	s_cbranch_execz .LBB15_48
; %bb.47:
	ds_read2st64_b64 v[9:12], v3 offset1:1
	s_waitcnt lgkmcnt(0)
	v_add_f64 v[1:2], v[9:10], v[11:12]
	ds_write_b64 v3, v[1:2]
.LBB15_48:
	s_or_b64 exec, exec, s[0:1]
	v_cmp_gt_u32_e32 vcc, 32, v0
	s_waitcnt lgkmcnt(0)
	s_barrier
	s_and_saveexec_b64 s[0:1], vcc
	s_cbranch_execz .LBB15_50
; %bb.49:
	ds_read2_b64 v[9:12], v3 offset1:32
	s_waitcnt lgkmcnt(0)
	v_add_f64 v[1:2], v[9:10], v[11:12]
	ds_write_b64 v3, v[1:2]
.LBB15_50:
	s_or_b64 exec, exec, s[0:1]
	v_cmp_gt_u32_e32 vcc, 16, v0
	s_waitcnt lgkmcnt(0)
	s_barrier
	s_and_saveexec_b64 s[0:1], vcc
	s_cbranch_execz .LBB15_52
; %bb.51:
	ds_read2_b64 v[9:12], v3 offset1:16
	s_waitcnt lgkmcnt(0)
	v_add_f64 v[1:2], v[9:10], v[11:12]
	ds_write_b64 v3, v[1:2]
.LBB15_52:
	;; [unrolled: 12-line block ×5, first 2 shown]
	s_or_b64 exec, exec, s[0:1]
	v_cmp_eq_u32_e32 vcc, 0, v0
	s_waitcnt lgkmcnt(0)
	s_barrier
	s_and_saveexec_b64 s[0:1], vcc
	s_cbranch_execz .LBB15_60
; %bb.59:
	v_mov_b32_e32 v9, 0
	ds_read_b128 v[1:4], v9
	s_waitcnt lgkmcnt(0)
	v_add_f64 v[1:2], v[1:2], v[3:4]
	ds_write_b64 v9, v[1:2]
.LBB15_60:
	s_or_b64 exec, exec, s[0:1]
	s_waitcnt lgkmcnt(0)
	s_barrier
	s_and_saveexec_b64 s[0:1], vcc
	s_cbranch_execz .LBB15_70
; %bb.61:
	s_cmp_eq_u32 s33, 0
	s_cbranch_scc1 .LBB15_67
; %bb.62:
	s_ashr_i32 s7, s6, 31
	s_lshl_b64 s[6:7], s[6:7], 2
	s_add_u32 s6, s8, s6
	s_addc_u32 s7, s9, s7
	v_mov_b32_e32 v1, 0
	s_branch .LBB15_64
.LBB15_63:                              ;   in Loop: Header=BB15_64 Depth=1
	s_or_b64 exec, exec, s[8:9]
	s_waitcnt vmcnt(0)
	v_readfirstlane_b32 s8, v2
	v_cmp_eq_u32_e32 vcc, s8, v13
	s_cbranch_vccz .LBB15_66
.LBB15_64:                              ; =>This Inner Loop Header: Depth=1
	v_mbcnt_lo_u32_b32 v2, exec_lo, 0
	v_mbcnt_hi_u32_b32 v2, exec_hi, v2
	v_cmp_eq_u32_e32 vcc, 0, v2
                                        ; implicit-def: $vgpr2
	s_and_saveexec_b64 s[8:9], vcc
	s_cbranch_execz .LBB15_63
; %bb.65:                               ;   in Loop: Header=BB15_64 Depth=1
	global_load_dword v2, v1, s[6:7] glc
	s_branch .LBB15_63
.LBB15_66:
	v_mov_b32_e32 v1, 0
	global_load_ushort v2, v1, s[2:3]
	s_waitcnt vmcnt(0)
	v_xor_b32_e32 v2, 1, v2
	global_store_short v1, v2, s[2:3]
.LBB15_67:
	s_mov_b64 s[6:7], exec
	v_mbcnt_lo_u32_b32 v1, s6, 0
	v_mbcnt_hi_u32_b32 v1, s7, v1
	v_cmp_eq_u32_e32 vcc, 0, v1
	s_and_b64 s[2:3], exec, vcc
	s_mov_b64 exec, s[2:3]
	s_cbranch_execz .LBB15_70
; %bb.68:
	s_add_u32 s2, s34, s46
	s_addc_u32 s3, s35, s47
	v_mov_b32_e32 v11, 0
	global_load_dwordx2 v[3:4], v11, s[2:3]
	ds_read_b64 v[1:2], v11
	s_bcnt1_i32_b64 s6, s[6:7]
	v_cvt_f64_u32_e32 v[9:10], s6
	s_mov_b64 s[6:7], 0
	s_waitcnt lgkmcnt(0)
	v_mul_f64 v[9:10], v[1:2], v[9:10]
.LBB15_69:                              ; =>This Inner Loop Header: Depth=1
	s_waitcnt vmcnt(0)
	v_add_f64 v[1:2], v[3:4], v[9:10]
	global_atomic_cmpswap_x2 v[1:2], v11, v[1:4], s[2:3] glc
	s_waitcnt vmcnt(0)
	v_cmp_eq_u64_e32 vcc, v[1:2], v[3:4]
	v_mov_b32_e32 v4, v2
	s_or_b64 s[6:7], vcc, s[6:7]
	v_mov_b32_e32 v3, v1
	s_andn2_b64 exec, exec, s[6:7]
	s_cbranch_execnz .LBB15_69
.LBB15_70:
	s_or_b64 exec, exec, s[0:1]
.LBB15_71:
	s_mov_b64 s[0:1], 0
.LBB15_72:
	s_andn2_b64 vcc, exec, s[0:1]
	s_cbranch_vccnz .LBB15_116
; %bb.73:
	s_load_dwordx2 s[0:1], s[4:5], 0x8
	v_subrev_co_u32_e32 v1, vcc, s44, v0
	v_subb_co_u32_e64 v2, s[2:3], 0, 0, vcc
	s_waitcnt lgkmcnt(0)
	v_mov_b32_e32 v3, s43
	v_add_co_u32_e32 v1, vcc, s42, v1
	v_addc_co_u32_e32 v2, vcc, v3, v2, vcc
	v_add_co_u32_e32 v3, vcc, 0x300, v1
	v_addc_co_u32_e32 v4, vcc, 0, v2, vcc
	v_cmp_le_i64_e32 vcc, s[0:1], v[3:4]
	s_and_saveexec_b64 s[0:1], vcc
	s_xor_b64 s[2:3], exec, s[0:1]
	s_cbranch_execz .LBB15_78
; %bb.74:
	s_lshl_b64 s[0:1], s[38:39], 3
	s_add_u32 s0, s24, s0
	s_addc_u32 s1, s25, s1
	s_load_dwordx2 s[0:1], s[0:1], 0x0
	s_waitcnt lgkmcnt(0)
	s_sub_u32 s4, s0, s44
	s_subb_u32 s5, s1, 0
	v_cmp_gt_i64_e32 vcc, s[4:5], v[1:2]
	s_and_saveexec_b64 s[6:7], vcc
	s_cbranch_execz .LBB15_77
; %bb.75:
	v_lshlrev_b64 v[3:4], 3, v[1:2]
	v_mov_b32_e32 v9, s29
	v_add_co_u32_e32 v3, vcc, s28, v3
	v_addc_co_u32_e32 v4, vcc, v9, v4, vcc
	v_lshlrev_b64 v[9:10], 2, v[1:2]
	v_mov_b32_e32 v12, s27
	v_add_co_u32_e32 v9, vcc, s26, v9
	v_lshlrev_b32_e32 v11, 3, v0
	v_addc_co_u32_e32 v10, vcc, v12, v10, vcc
	s_mov_b64 s[8:9], 0
	v_mov_b32_e32 v12, s31
	s_movk_i32 s10, 0x100
.LBB15_76:                              ; =>This Inner Loop Header: Depth=1
	global_load_dword v15, v[9:10], off
	global_load_dwordx2 v[13:14], v[3:4], off
	s_waitcnt vmcnt(1)
	v_subrev_u32_e32 v15, s44, v15
	v_ashrrev_i32_e32 v16, 31, v15
	v_lshlrev_b64 v[15:16], 3, v[15:16]
	s_waitcnt vmcnt(0)
	v_mul_f64 v[13:14], v[7:8], v[13:14]
	v_add_co_u32_e32 v15, vcc, s30, v15
	v_addc_co_u32_e32 v16, vcc, v12, v16, vcc
	global_load_dwordx2 v[15:16], v[15:16], off
	v_add_co_u32_e32 v1, vcc, s10, v1
	v_addc_co_u32_e32 v2, vcc, 0, v2, vcc
	v_add_co_u32_e32 v3, vcc, 0x800, v3
	v_addc_co_u32_e32 v4, vcc, 0, v4, vcc
	v_cmp_le_i64_e64 s[0:1], s[4:5], v[1:2]
	v_add_co_u32_e32 v9, vcc, 0x400, v9
	v_addc_co_u32_e32 v10, vcc, 0, v10, vcc
	s_or_b64 s[8:9], s[0:1], s[8:9]
	s_waitcnt vmcnt(0)
	v_mul_f64 v[13:14], v[13:14], v[15:16]
	ds_write_b64 v11, v[13:14]
	v_add_u32_e32 v11, 0x800, v11
	s_andn2_b64 exec, exec, s[8:9]
	s_cbranch_execnz .LBB15_76
.LBB15_77:
	s_or_b64 exec, exec, s[6:7]
                                        ; implicit-def: $vgpr1_vgpr2
                                        ; implicit-def: $vgpr7_vgpr8
.LBB15_78:
	s_or_saveexec_b64 s[0:1], s[2:3]
	v_lshlrev_b32_e32 v11, 3, v0
	s_xor_b64 exec, exec, s[0:1]
	s_cbranch_execz .LBB15_80
; %bb.79:
	v_lshlrev_b64 v[3:4], 2, v[1:2]
	v_mov_b32_e32 v9, s27
	v_add_co_u32_e32 v3, vcc, s26, v3
	v_addc_co_u32_e32 v4, vcc, v9, v4, vcc
	global_load_dword v16, v[3:4], off
	global_load_dword v17, v[3:4], off offset:1024
	global_load_dword v18, v[3:4], off offset:2048
	;; [unrolled: 1-line block ×3, first 2 shown]
	v_lshlrev_b64 v[1:2], 3, v[1:2]
	v_mov_b32_e32 v3, s29
	v_add_co_u32_e32 v1, vcc, s28, v1
	s_movk_i32 s2, 0x1000
	v_addc_co_u32_e32 v2, vcc, v3, v2, vcc
	global_load_dwordx2 v[3:4], v[1:2], off
	global_load_dwordx2 v[9:10], v[1:2], off offset:2048
	v_add_co_u32_e32 v1, vcc, s2, v1
	v_addc_co_u32_e32 v2, vcc, 0, v2, vcc
	global_load_dwordx2 v[12:13], v[1:2], off
	global_load_dwordx2 v[14:15], v[1:2], off offset:2048
	v_mov_b32_e32 v22, s31
	v_mov_b32_e32 v23, s31
	;; [unrolled: 1-line block ×4, first 2 shown]
	s_waitcnt vmcnt(7)
	v_subrev_u32_e32 v1, s44, v16
	v_ashrrev_i32_e32 v2, 31, v1
	s_waitcnt vmcnt(6)
	v_subrev_u32_e32 v16, s44, v17
	v_lshlrev_b64 v[1:2], 3, v[1:2]
	v_ashrrev_i32_e32 v17, 31, v16
	s_waitcnt vmcnt(5)
	v_subrev_u32_e32 v18, s44, v18
	v_lshlrev_b64 v[16:17], 3, v[16:17]
	v_add_co_u32_e32 v1, vcc, s30, v1
	s_waitcnt vmcnt(4)
	v_subrev_u32_e32 v20, s44, v19
	v_ashrrev_i32_e32 v19, 31, v18
	v_addc_co_u32_e32 v2, vcc, v22, v2, vcc
	v_lshlrev_b64 v[18:19], 3, v[18:19]
	v_add_co_u32_e32 v16, vcc, s30, v16
	v_ashrrev_i32_e32 v21, 31, v20
	v_addc_co_u32_e32 v17, vcc, v23, v17, vcc
	v_lshlrev_b64 v[20:21], 3, v[20:21]
	v_add_co_u32_e32 v18, vcc, s30, v18
	v_addc_co_u32_e32 v19, vcc, v24, v19, vcc
	v_add_co_u32_e32 v20, vcc, s30, v20
	v_addc_co_u32_e32 v21, vcc, v25, v21, vcc
	global_load_dwordx2 v[22:23], v[1:2], off
	global_load_dwordx2 v[24:25], v[16:17], off
	;; [unrolled: 1-line block ×4, first 2 shown]
	s_waitcnt vmcnt(7)
	v_mul_f64 v[1:2], v[7:8], v[3:4]
	s_waitcnt vmcnt(6)
	v_mul_f64 v[3:4], v[7:8], v[9:10]
	;; [unrolled: 2-line block ×8, first 2 shown]
	ds_write2st64_b64 v11, v[1:2], v[3:4] offset1:4
	ds_write2st64_b64 v11, v[9:10], v[7:8] offset0:8 offset1:12
.LBB15_80:
	s_or_b64 exec, exec, s[0:1]
	s_cmp_lt_i32 s33, 2
	s_mov_b64 s[0:1], -1
	s_waitcnt vmcnt(0) lgkmcnt(0)
	s_barrier
	s_cbranch_scc0 .LBB15_91
; %bb.81:
	v_mov_b32_e32 v1, s37
	v_add_co_u32_e32 v7, vcc, s36, v0
	v_addc_co_u32_e32 v8, vcc, 0, v1, vcc
	v_cmp_gt_i64_e32 vcc, s[38:39], v[7:8]
	s_and_saveexec_b64 s[4:5], vcc
	s_cbranch_execz .LBB15_90
; %bb.82:
	v_cmp_neq_f64_e64 s[0:1], 0, v[5:6]
	s_lshl_b32 s2, s42, 3
	s_mov_b64 s[6:7], 0
	s_sub_i32 s10, 0, s2
	v_mov_b32_e32 v12, s25
	v_mov_b32_e32 v13, s35
	s_branch .LBB15_84
.LBB15_83:                              ;   in Loop: Header=BB15_84 Depth=1
	s_or_b64 exec, exec, s[2:3]
	v_add_co_u32_e32 v7, vcc, 0x100, v7
	v_addc_co_u32_e32 v8, vcc, 0, v8, vcc
	v_cmp_le_i64_e32 vcc, s[38:39], v[7:8]
	v_add_co_u32_e64 v9, s[2:3], s34, v9
	v_addc_co_u32_e64 v10, s[2:3], v13, v10, s[2:3]
	s_or_b64 s[6:7], vcc, s[6:7]
	global_store_dwordx2 v[9:10], v[2:3], off
	s_andn2_b64 exec, exec, s[6:7]
	s_cbranch_execz .LBB15_90
.LBB15_84:                              ; =>This Loop Header: Depth=1
                                        ;     Child Loop BB15_86 Depth 2
	v_lshlrev_b64 v[9:10], 3, v[7:8]
	v_add_co_u32_e32 v1, vcc, s24, v9
	v_addc_co_u32_e32 v2, vcc, v12, v10, vcc
	global_load_dwordx4 v[1:4], v[1:2], off
	s_waitcnt vmcnt(0)
	v_subrev_u32_e32 v4, s42, v1
	v_subrev_u32_e32 v14, s42, v3
	v_mov_b32_e32 v2, 0
	v_mov_b32_e32 v3, 0
	v_cmp_lt_i32_e32 vcc, v4, v14
	s_and_saveexec_b64 s[2:3], vcc
	s_cbranch_execz .LBB15_88
; %bb.85:                               ;   in Loop: Header=BB15_84 Depth=1
	v_mov_b32_e32 v2, 0
	v_lshl_add_u32 v1, v1, 3, s10
	v_mov_b32_e32 v3, 0
	s_mov_b64 s[8:9], 0
.LBB15_86:                              ;   Parent Loop BB15_84 Depth=1
                                        ; =>  This Inner Loop Header: Depth=2
	ds_read_b64 v[15:16], v1
	v_add_u32_e32 v4, 1, v4
	v_cmp_ge_i32_e32 vcc, v4, v14
	s_or_b64 s[8:9], vcc, s[8:9]
	v_add_u32_e32 v1, 8, v1
	s_waitcnt lgkmcnt(0)
	v_add_f64 v[2:3], v[2:3], v[15:16]
	s_andn2_b64 exec, exec, s[8:9]
	s_cbranch_execnz .LBB15_86
; %bb.87:                               ;   in Loop: Header=BB15_84 Depth=1
	s_or_b64 exec, exec, s[8:9]
.LBB15_88:                              ;   in Loop: Header=BB15_84 Depth=1
	s_or_b64 exec, exec, s[2:3]
	s_and_saveexec_b64 s[2:3], s[0:1]
	s_cbranch_execz .LBB15_83
; %bb.89:                               ;   in Loop: Header=BB15_84 Depth=1
	v_mov_b32_e32 v1, s35
	v_add_co_u32_e32 v14, vcc, s34, v9
	v_addc_co_u32_e32 v15, vcc, v1, v10, vcc
	global_load_dwordx2 v[14:15], v[14:15], off
	s_waitcnt vmcnt(0)
	v_fma_f64 v[2:3], v[5:6], v[14:15], v[2:3]
	s_branch .LBB15_83
.LBB15_90:
	s_or_b64 exec, exec, s[4:5]
	s_mov_b64 s[0:1], 0
.LBB15_91:
	s_andn2_b64 vcc, exec, s[0:1]
	s_cbranch_vccnz .LBB15_116
; %bb.92:
	s_flbit_i32_b32 s0, s33
	s_xor_b32 s0, s0, 31
	v_lshrrev_b32_e32 v7, s0, v0
	v_mov_b32_e32 v2, s37
	v_add_co_u32_e32 v1, vcc, s36, v7
	v_addc_co_u32_e32 v2, vcc, 0, v2, vcc
	s_add_i32 s2, s33, -1
	v_cmp_le_i64_e32 vcc, s[38:39], v[1:2]
	v_cmp_gt_i64_e64 s[0:1], s[38:39], v[1:2]
	v_mov_b32_e32 v3, 0
	v_mov_b32_e32 v4, 0
	v_and_b32_e32 v0, s2, v0
	s_and_saveexec_b64 s[2:3], s[0:1]
	s_cbranch_execz .LBB15_98
; %bb.93:
	v_lshlrev_b32_e32 v3, 3, v7
	global_load_dword v4, v3, s[40:41] offset:8
	global_load_dword v8, v3, s[40:41]
	s_waitcnt vmcnt(1)
	v_subrev_u32_e32 v7, s42, v4
	s_waitcnt vmcnt(0)
	v_subrev_u32_e32 v3, s42, v8
	v_add_u32_e32 v8, v0, v3
	v_mov_b32_e32 v3, 0
	v_mov_b32_e32 v4, 0
	v_cmp_lt_i32_e64 s[0:1], v8, v7
	s_and_saveexec_b64 s[4:5], s[0:1]
	s_cbranch_execz .LBB15_97
; %bb.94:
	v_mov_b32_e32 v3, 0
	v_lshlrev_b32_e32 v9, 3, v8
	s_lshl_b32 s8, s33, 3
	v_mov_b32_e32 v4, 0
	s_mov_b64 s[6:7], 0
.LBB15_95:                              ; =>This Inner Loop Header: Depth=1
	ds_read_b64 v[12:13], v9
	v_add_u32_e32 v8, s33, v8
	v_cmp_ge_i32_e64 s[0:1], v8, v7
	s_or_b64 s[6:7], s[0:1], s[6:7]
	v_add_u32_e32 v9, s8, v9
	s_waitcnt lgkmcnt(0)
	v_add_f64 v[3:4], v[3:4], v[12:13]
	s_andn2_b64 exec, exec, s[6:7]
	s_cbranch_execnz .LBB15_95
; %bb.96:
	s_or_b64 exec, exec, s[6:7]
.LBB15_97:
	s_or_b64 exec, exec, s[4:5]
.LBB15_98:
	s_or_b64 exec, exec, s[2:3]
	s_cmpk_lt_u32 s33, 0x81
	s_waitcnt vmcnt(0)
	s_barrier
	ds_write_b64 v11, v[3:4]
	s_waitcnt lgkmcnt(0)
	s_barrier
	s_cbranch_scc1 .LBB15_100
; %bb.99:
	ds_read_b64 v[7:8], v11 offset:1024
	s_waitcnt lgkmcnt(0)
	s_barrier
	v_add_f64 v[3:4], v[3:4], v[7:8]
	ds_write_b64 v11, v[3:4]
.LBB15_100:
	s_cmpk_lt_u32 s33, 0x41
	s_waitcnt lgkmcnt(0)
	s_barrier
	s_cbranch_scc1 .LBB15_102
; %bb.101:
	ds_read_b64 v[7:8], v11 offset:512
	s_waitcnt lgkmcnt(0)
	s_barrier
	v_add_f64 v[3:4], v[3:4], v[7:8]
	ds_write_b64 v11, v[3:4]
.LBB15_102:
	s_cmp_lt_u32 s33, 33
	s_waitcnt lgkmcnt(0)
	s_barrier
	s_cbranch_scc1 .LBB15_104
; %bb.103:
	ds_read_b64 v[7:8], v11 offset:256
	s_waitcnt lgkmcnt(0)
	s_barrier
	v_add_f64 v[3:4], v[3:4], v[7:8]
	ds_write_b64 v11, v[3:4]
.LBB15_104:
	s_cmp_lt_u32 s33, 17
	;; [unrolled: 11-line block ×4, first 2 shown]
	s_waitcnt lgkmcnt(0)
	s_barrier
	s_cbranch_scc1 .LBB15_110
; %bb.109:
	ds_read_b64 v[7:8], v11 offset:32
	s_waitcnt lgkmcnt(0)
	s_barrier
	v_add_f64 v[3:4], v[3:4], v[7:8]
	ds_write_b64 v11, v[3:4]
.LBB15_110:
	s_cmp_eq_u32 s33, 2
	s_waitcnt lgkmcnt(0)
	s_barrier
	s_cbranch_scc1 .LBB15_112
; %bb.111:
	ds_read_b64 v[7:8], v11 offset:16
	s_waitcnt lgkmcnt(0)
	s_barrier
	v_add_f64 v[3:4], v[3:4], v[7:8]
	ds_write_b64 v11, v[3:4]
.LBB15_112:
	s_waitcnt lgkmcnt(0)
	s_barrier
	ds_read_b64 v[7:8], v11 offset:8
	v_cmp_eq_u32_e64 s[0:1], 0, v0
	s_xor_b64 s[2:3], vcc, -1
	s_and_b64 s[0:1], s[0:1], s[2:3]
	s_waitcnt lgkmcnt(0)
	v_add_f64 v[3:4], v[3:4], v[7:8]
	s_barrier
	ds_write_b64 v11, v[3:4]
	s_and_b64 exec, exec, s[0:1]
	s_cbranch_execz .LBB15_116
; %bb.113:
	v_cmp_neq_f64_e32 vcc, 0, v[5:6]
	v_lshlrev_b64 v[0:1], 3, v[1:2]
	s_and_saveexec_b64 s[0:1], vcc
	s_cbranch_execz .LBB15_115
; %bb.114:
	v_mov_b32_e32 v2, s35
	v_add_co_u32_e32 v7, vcc, s34, v0
	v_addc_co_u32_e32 v8, vcc, v2, v1, vcc
	global_load_dwordx2 v[7:8], v[7:8], off
	s_waitcnt vmcnt(0)
	v_fma_f64 v[3:4], v[5:6], v[7:8], v[3:4]
.LBB15_115:
	s_or_b64 exec, exec, s[0:1]
	v_mov_b32_e32 v2, s35
	v_add_co_u32_e32 v0, vcc, s34, v0
	v_addc_co_u32_e32 v1, vcc, v2, v1, vcc
	global_store_dwordx2 v[0:1], v[3:4], off
.LBB15_116:
	s_endpgm
	.section	.rodata,"a",@progbits
	.p2align	6, 0x0
	.amdhsa_kernel _ZN9rocsparseL22csrmvn_adaptive_kernelIliddddEEvbT_PKS1_PjPKT0_NS_24const_host_device_scalarIT4_EES3_S7_PKT1_PKT2_SA_PT3_21rocsparse_index_base_b
		.amdhsa_group_segment_fixed_size 8192
		.amdhsa_private_segment_fixed_size 0
		.amdhsa_kernarg_size 104
		.amdhsa_user_sgpr_count 6
		.amdhsa_user_sgpr_private_segment_buffer 1
		.amdhsa_user_sgpr_dispatch_ptr 0
		.amdhsa_user_sgpr_queue_ptr 0
		.amdhsa_user_sgpr_kernarg_segment_ptr 1
		.amdhsa_user_sgpr_dispatch_id 0
		.amdhsa_user_sgpr_flat_scratch_init 0
		.amdhsa_user_sgpr_private_segment_size 0
		.amdhsa_uses_dynamic_stack 0
		.amdhsa_system_sgpr_private_segment_wavefront_offset 0
		.amdhsa_system_sgpr_workgroup_id_x 1
		.amdhsa_system_sgpr_workgroup_id_y 0
		.amdhsa_system_sgpr_workgroup_id_z 0
		.amdhsa_system_sgpr_workgroup_info 0
		.amdhsa_system_vgpr_workitem_id 0
		.amdhsa_next_free_vgpr 30
		.amdhsa_next_free_sgpr 61
		.amdhsa_reserve_vcc 1
		.amdhsa_reserve_flat_scratch 0
		.amdhsa_float_round_mode_32 0
		.amdhsa_float_round_mode_16_64 0
		.amdhsa_float_denorm_mode_32 3
		.amdhsa_float_denorm_mode_16_64 3
		.amdhsa_dx10_clamp 1
		.amdhsa_ieee_mode 1
		.amdhsa_fp16_overflow 0
		.amdhsa_exception_fp_ieee_invalid_op 0
		.amdhsa_exception_fp_denorm_src 0
		.amdhsa_exception_fp_ieee_div_zero 0
		.amdhsa_exception_fp_ieee_overflow 0
		.amdhsa_exception_fp_ieee_underflow 0
		.amdhsa_exception_fp_ieee_inexact 0
		.amdhsa_exception_int_div_zero 0
	.end_amdhsa_kernel
	.section	.text._ZN9rocsparseL22csrmvn_adaptive_kernelIliddddEEvbT_PKS1_PjPKT0_NS_24const_host_device_scalarIT4_EES3_S7_PKT1_PKT2_SA_PT3_21rocsparse_index_base_b,"axG",@progbits,_ZN9rocsparseL22csrmvn_adaptive_kernelIliddddEEvbT_PKS1_PjPKT0_NS_24const_host_device_scalarIT4_EES3_S7_PKT1_PKT2_SA_PT3_21rocsparse_index_base_b,comdat
.Lfunc_end15:
	.size	_ZN9rocsparseL22csrmvn_adaptive_kernelIliddddEEvbT_PKS1_PjPKT0_NS_24const_host_device_scalarIT4_EES3_S7_PKT1_PKT2_SA_PT3_21rocsparse_index_base_b, .Lfunc_end15-_ZN9rocsparseL22csrmvn_adaptive_kernelIliddddEEvbT_PKS1_PjPKT0_NS_24const_host_device_scalarIT4_EES3_S7_PKT1_PKT2_SA_PT3_21rocsparse_index_base_b
                                        ; -- End function
	.set _ZN9rocsparseL22csrmvn_adaptive_kernelIliddddEEvbT_PKS1_PjPKT0_NS_24const_host_device_scalarIT4_EES3_S7_PKT1_PKT2_SA_PT3_21rocsparse_index_base_b.num_vgpr, 30
	.set _ZN9rocsparseL22csrmvn_adaptive_kernelIliddddEEvbT_PKS1_PjPKT0_NS_24const_host_device_scalarIT4_EES3_S7_PKT1_PKT2_SA_PT3_21rocsparse_index_base_b.num_agpr, 0
	.set _ZN9rocsparseL22csrmvn_adaptive_kernelIliddddEEvbT_PKS1_PjPKT0_NS_24const_host_device_scalarIT4_EES3_S7_PKT1_PKT2_SA_PT3_21rocsparse_index_base_b.numbered_sgpr, 60
	.set _ZN9rocsparseL22csrmvn_adaptive_kernelIliddddEEvbT_PKS1_PjPKT0_NS_24const_host_device_scalarIT4_EES3_S7_PKT1_PKT2_SA_PT3_21rocsparse_index_base_b.num_named_barrier, 0
	.set _ZN9rocsparseL22csrmvn_adaptive_kernelIliddddEEvbT_PKS1_PjPKT0_NS_24const_host_device_scalarIT4_EES3_S7_PKT1_PKT2_SA_PT3_21rocsparse_index_base_b.private_seg_size, 0
	.set _ZN9rocsparseL22csrmvn_adaptive_kernelIliddddEEvbT_PKS1_PjPKT0_NS_24const_host_device_scalarIT4_EES3_S7_PKT1_PKT2_SA_PT3_21rocsparse_index_base_b.uses_vcc, 1
	.set _ZN9rocsparseL22csrmvn_adaptive_kernelIliddddEEvbT_PKS1_PjPKT0_NS_24const_host_device_scalarIT4_EES3_S7_PKT1_PKT2_SA_PT3_21rocsparse_index_base_b.uses_flat_scratch, 0
	.set _ZN9rocsparseL22csrmvn_adaptive_kernelIliddddEEvbT_PKS1_PjPKT0_NS_24const_host_device_scalarIT4_EES3_S7_PKT1_PKT2_SA_PT3_21rocsparse_index_base_b.has_dyn_sized_stack, 0
	.set _ZN9rocsparseL22csrmvn_adaptive_kernelIliddddEEvbT_PKS1_PjPKT0_NS_24const_host_device_scalarIT4_EES3_S7_PKT1_PKT2_SA_PT3_21rocsparse_index_base_b.has_recursion, 0
	.set _ZN9rocsparseL22csrmvn_adaptive_kernelIliddddEEvbT_PKS1_PjPKT0_NS_24const_host_device_scalarIT4_EES3_S7_PKT1_PKT2_SA_PT3_21rocsparse_index_base_b.has_indirect_call, 0
	.section	.AMDGPU.csdata,"",@progbits
; Kernel info:
; codeLenInByte = 4128
; TotalNumSgprs: 64
; NumVgprs: 30
; ScratchSize: 0
; MemoryBound: 0
; FloatMode: 240
; IeeeMode: 1
; LDSByteSize: 8192 bytes/workgroup (compile time only)
; SGPRBlocks: 8
; VGPRBlocks: 7
; NumSGPRsForWavesPerEU: 65
; NumVGPRsForWavesPerEU: 30
; Occupancy: 8
; WaveLimiterHint : 1
; COMPUTE_PGM_RSRC2:SCRATCH_EN: 0
; COMPUTE_PGM_RSRC2:USER_SGPR: 6
; COMPUTE_PGM_RSRC2:TRAP_HANDLER: 0
; COMPUTE_PGM_RSRC2:TGID_X_EN: 1
; COMPUTE_PGM_RSRC2:TGID_Y_EN: 0
; COMPUTE_PGM_RSRC2:TGID_Z_EN: 0
; COMPUTE_PGM_RSRC2:TIDIG_COMP_CNT: 0
	.section	.text._ZN9rocsparseL27csrmvn_symm_adaptive_kernelIliddddEEvbT_S1_PKS1_NS_24const_host_device_scalarIT4_EES3_PKT0_PKT1_PKT2_S6_PT3_21rocsparse_index_base_b,"axG",@progbits,_ZN9rocsparseL27csrmvn_symm_adaptive_kernelIliddddEEvbT_S1_PKS1_NS_24const_host_device_scalarIT4_EES3_PKT0_PKT1_PKT2_S6_PT3_21rocsparse_index_base_b,comdat
	.globl	_ZN9rocsparseL27csrmvn_symm_adaptive_kernelIliddddEEvbT_S1_PKS1_NS_24const_host_device_scalarIT4_EES3_PKT0_PKT1_PKT2_S6_PT3_21rocsparse_index_base_b ; -- Begin function _ZN9rocsparseL27csrmvn_symm_adaptive_kernelIliddddEEvbT_S1_PKS1_NS_24const_host_device_scalarIT4_EES3_PKT0_PKT1_PKT2_S6_PT3_21rocsparse_index_base_b
	.p2align	8
	.type	_ZN9rocsparseL27csrmvn_symm_adaptive_kernelIliddddEEvbT_S1_PKS1_NS_24const_host_device_scalarIT4_EES3_PKT0_PKT1_PKT2_S6_PT3_21rocsparse_index_base_b,@function
_ZN9rocsparseL27csrmvn_symm_adaptive_kernelIliddddEEvbT_S1_PKS1_NS_24const_host_device_scalarIT4_EES3_PKT0_PKT1_PKT2_S6_PT3_21rocsparse_index_base_b: ; @_ZN9rocsparseL27csrmvn_symm_adaptive_kernelIliddddEEvbT_S1_PKS1_NS_24const_host_device_scalarIT4_EES3_PKT0_PKT1_PKT2_S6_PT3_21rocsparse_index_base_b
; %bb.0:
	s_load_dwordx2 s[30:31], s[4:5], 0x58
	s_load_dwordx2 s[8:9], s[4:5], 0x20
	;; [unrolled: 1-line block ×3, first 2 shown]
	s_waitcnt lgkmcnt(0)
	s_bitcmp1_b32 s31, 0
	s_cselect_b64 s[10:11], -1, 0
	v_mov_b32_e32 v11, s9
	s_xor_b64 s[2:3], s[10:11], -1
	s_and_b64 vcc, exec, s[10:11]
	v_mov_b32_e32 v10, s8
	s_cbranch_vccnz .LBB16_2
; %bb.1:
	v_mov_b32_e32 v1, s8
	v_mov_b32_e32 v2, s9
	flat_load_dwordx2 v[10:11], v[1:2]
.LBB16_2:
	v_mov_b32_e32 v2, s1
	s_andn2_b64 vcc, exec, s[2:3]
	v_mov_b32_e32 v1, s0
	s_cbranch_vccnz .LBB16_4
; %bb.3:
	v_mov_b32_e32 v2, s1
	v_mov_b32_e32 v1, s0
	flat_load_dwordx2 v[1:2], v[1:2]
.LBB16_4:
	s_waitcnt vmcnt(0) lgkmcnt(0)
	v_cmp_neq_f64_e32 vcc, 0, v[10:11]
	v_cmp_neq_f64_e64 s[0:1], 1.0, v[1:2]
	s_or_b64 s[0:1], vcc, s[0:1]
	s_and_saveexec_b64 s[2:3], s[0:1]
	s_cbranch_execz .LBB16_167
; %bb.5:
	s_load_dwordx2 s[0:1], s[4:5], 0x18
	s_mov_b32 s2, 0
	s_mov_b32 s3, s2
	v_mov_b32_e32 v1, s2
	s_ashr_i32 s7, s6, 31
	v_mov_b32_e32 v2, s3
	s_lshl_b64 s[2:3], s[6:7], 3
	s_waitcnt lgkmcnt(0)
	s_add_u32 s0, s0, s2
	v_lshlrev_b32_e32 v18, 3, v0
	s_addc_u32 s1, s1, s3
	ds_write2st64_b64 v18, v[1:2], v[1:2] offset1:4
	ds_write2st64_b64 v18, v[1:2], v[1:2] offset0:8 offset1:12
	s_waitcnt lgkmcnt(0)
	s_barrier
	s_load_dwordx4 s[24:27], s[0:1], 0x0
	s_load_dwordx8 s[16:23], s[4:5], 0x28
	s_load_dwordx2 s[14:15], s[4:5], 0x50
	s_mov_b64 s[0:1], -1
	s_waitcnt lgkmcnt(0)
	s_sub_u32 s28, s26, s24
	s_subb_u32 s29, s27, s25
	v_cmp_gt_i64_e64 s[2:3], s[28:29], 2
	s_and_b64 vcc, exec, s[2:3]
	s_cbranch_vccnz .LBB16_41
; %bb.6:
	v_mov_b32_e32 v1, s24
	v_mov_b32_e32 v2, s25
	v_cmp_le_i64_e32 vcc, s[26:27], v[1:2]
	v_subrev_co_u32_e64 v9, s[0:1], s30, v0
	v_mov_b32_e32 v15, 0
	v_subb_co_u32_e64 v14, s[0:1], 0, 0, s[0:1]
	s_cbranch_vccnz .LBB16_30
; %bb.7:
	s_movk_i32 s31, 0x100
	v_mov_b32_e32 v5, s26
	v_cmp_gt_u32_e64 s[0:1], s31, v0
	v_cmp_gt_u32_e64 s[2:3], 64, v0
	;; [unrolled: 1-line block ×4, first 2 shown]
	v_cmp_eq_u32_e64 s[10:11], 0, v0
	v_mov_b32_e32 v6, s27
	s_mov_b64 s[34:35], s[24:25]
	s_branch .LBB16_9
.LBB16_8:                               ;   in Loop: Header=BB16_9 Depth=1
	s_or_b64 exec, exec, s[12:13]
	s_add_u32 s34, s34, 1
	s_addc_u32 s35, s35, 0
	v_cmp_ge_i64_e32 vcc, s[34:35], v[5:6]
	s_cbranch_vccnz .LBB16_30
.LBB16_9:                               ; =>This Loop Header: Depth=1
                                        ;     Child Loop BB16_11 Depth 2
                                        ;     Child Loop BB16_25 Depth 2
                                        ;     Child Loop BB16_28 Depth 2
	s_lshl_b64 s[36:37], s[34:35], 3
	s_add_u32 s12, s16, s36
	s_addc_u32 s13, s17, s37
	s_load_dwordx4 s[40:43], s[12:13], 0x0
	v_mov_b32_e32 v3, 0
	v_mov_b32_e32 v4, 0
	s_waitcnt lgkmcnt(0)
	s_sub_u32 s38, s42, s30
	v_mov_b32_e32 v2, s41
	v_add_co_u32_e32 v1, vcc, s40, v9
	s_subb_u32 s39, s43, 0
	v_addc_co_u32_e32 v2, vcc, v2, v14, vcc
	v_cmp_gt_i64_e32 vcc, s[38:39], v[1:2]
	s_and_saveexec_b64 s[40:41], vcc
	s_cbranch_execz .LBB16_13
; %bb.10:                               ;   in Loop: Header=BB16_9 Depth=1
	v_lshlrev_b64 v[3:4], 2, v[1:2]
	v_mov_b32_e32 v8, s19
	v_add_co_u32_e32 v7, vcc, s18, v3
	v_addc_co_u32_e32 v8, vcc, v8, v4, vcc
	v_lshlrev_b64 v[3:4], 3, v[1:2]
	v_mov_b32_e32 v13, s21
	v_add_co_u32_e32 v12, vcc, s20, v3
	v_addc_co_u32_e32 v13, vcc, v13, v4, vcc
	v_mov_b32_e32 v3, 0
	v_mov_b32_e32 v4, 0
	s_mov_b64 s[42:43], 0
.LBB16_11:                              ;   Parent Loop BB16_9 Depth=1
                                        ; =>  This Inner Loop Header: Depth=2
	global_load_dword v19, v[7:8], off
	global_load_dwordx2 v[16:17], v[12:13], off
	v_mov_b32_e32 v21, s23
	s_waitcnt vmcnt(1)
	v_subrev_u32_e32 v19, s30, v19
	v_ashrrev_i32_e32 v20, 31, v19
	v_lshlrev_b64 v[19:20], 3, v[19:20]
	v_add_co_u32_e32 v19, vcc, s22, v19
	v_addc_co_u32_e32 v20, vcc, v21, v20, vcc
	global_load_dwordx2 v[19:20], v[19:20], off
	v_add_co_u32_e32 v1, vcc, s31, v1
	v_addc_co_u32_e32 v2, vcc, 0, v2, vcc
	v_add_co_u32_e32 v7, vcc, 0x400, v7
	v_addc_co_u32_e32 v8, vcc, 0, v8, vcc
	v_cmp_le_i64_e64 s[12:13], s[38:39], v[1:2]
	v_add_co_u32_e32 v12, vcc, 0x800, v12
	s_or_b64 s[42:43], s[12:13], s[42:43]
	v_addc_co_u32_e32 v13, vcc, 0, v13, vcc
	s_waitcnt vmcnt(0)
	v_fma_f64 v[3:4], v[16:17], v[19:20], v[3:4]
	s_andn2_b64 exec, exec, s[42:43]
	s_cbranch_execnz .LBB16_11
; %bb.12:                               ;   in Loop: Header=BB16_9 Depth=1
	s_or_b64 exec, exec, s[42:43]
.LBB16_13:                              ;   in Loop: Header=BB16_9 Depth=1
	s_or_b64 exec, exec, s[40:41]
	ds_write_b64 v18, v[3:4]
	s_waitcnt lgkmcnt(0)
	s_barrier
	s_and_saveexec_b64 s[12:13], s[0:1]
	s_cbranch_execz .LBB16_15
; %bb.14:                               ;   in Loop: Header=BB16_9 Depth=1
	ds_read2st64_b64 v[1:4], v18 offset1:4
	ds_read2st64_b64 v[19:22], v18 offset0:8 offset1:12
	s_waitcnt lgkmcnt(0)
	v_add_f64 v[3:4], v[3:4], v[19:20]
	v_add_f64 v[3:4], v[3:4], v[21:22]
	;; [unrolled: 1-line block ×3, first 2 shown]
	ds_write_b64 v18, v[1:2]
.LBB16_15:                              ;   in Loop: Header=BB16_9 Depth=1
	s_or_b64 exec, exec, s[12:13]
	s_waitcnt lgkmcnt(0)
	s_barrier
	s_and_saveexec_b64 s[12:13], s[2:3]
	s_cbranch_execz .LBB16_17
; %bb.16:                               ;   in Loop: Header=BB16_9 Depth=1
	ds_read2st64_b64 v[1:4], v18 offset1:1
	ds_read2st64_b64 v[19:22], v18 offset0:2 offset1:3
	s_waitcnt lgkmcnt(0)
	v_add_f64 v[3:4], v[3:4], v[19:20]
	v_add_f64 v[3:4], v[3:4], v[21:22]
	;; [unrolled: 1-line block ×3, first 2 shown]
	ds_write_b64 v18, v[1:2]
.LBB16_17:                              ;   in Loop: Header=BB16_9 Depth=1
	s_or_b64 exec, exec, s[12:13]
	s_waitcnt lgkmcnt(0)
	s_barrier
	s_and_saveexec_b64 s[12:13], s[6:7]
	s_cbranch_execz .LBB16_19
; %bb.18:                               ;   in Loop: Header=BB16_9 Depth=1
	ds_read2_b64 v[1:4], v18 offset1:16
	ds_read2_b64 v[19:22], v18 offset0:32 offset1:48
	s_waitcnt lgkmcnt(0)
	v_add_f64 v[3:4], v[3:4], v[19:20]
	v_add_f64 v[3:4], v[3:4], v[21:22]
	;; [unrolled: 1-line block ×3, first 2 shown]
	ds_write_b64 v18, v[1:2]
.LBB16_19:                              ;   in Loop: Header=BB16_9 Depth=1
	s_or_b64 exec, exec, s[12:13]
	s_waitcnt lgkmcnt(0)
	s_barrier
	s_and_saveexec_b64 s[12:13], s[8:9]
	s_cbranch_execz .LBB16_21
; %bb.20:                               ;   in Loop: Header=BB16_9 Depth=1
	ds_read2_b64 v[1:4], v18 offset1:4
	ds_read2_b64 v[19:22], v18 offset0:8 offset1:12
	s_waitcnt lgkmcnt(0)
	v_add_f64 v[3:4], v[3:4], v[19:20]
	v_add_f64 v[3:4], v[3:4], v[21:22]
	;; [unrolled: 1-line block ×3, first 2 shown]
	ds_write_b64 v18, v[1:2]
.LBB16_21:                              ;   in Loop: Header=BB16_9 Depth=1
	s_or_b64 exec, exec, s[12:13]
	s_waitcnt lgkmcnt(0)
	s_barrier
	s_and_saveexec_b64 s[12:13], s[10:11]
	s_cbranch_execz .LBB16_23
; %bb.22:                               ;   in Loop: Header=BB16_9 Depth=1
	ds_read2_b64 v[1:4], v15 offset0:1 offset1:2
	ds_read_b64 v[7:8], v18
	s_waitcnt lgkmcnt(1)
	v_add_f64 v[1:2], v[1:2], v[3:4]
	ds_read_b64 v[3:4], v15 offset:24
	s_waitcnt lgkmcnt(0)
	v_add_f64 v[1:2], v[1:2], v[3:4]
	v_add_f64 v[1:2], v[7:8], v[1:2]
	ds_write_b64 v18, v[1:2]
.LBB16_23:                              ;   in Loop: Header=BB16_9 Depth=1
	s_or_b64 exec, exec, s[12:13]
	s_waitcnt lgkmcnt(0)
	s_barrier
	s_and_saveexec_b64 s[12:13], s[10:11]
	s_cbranch_execz .LBB16_8
; %bb.24:                               ;   in Loop: Header=BB16_9 Depth=1
	ds_read_b64 v[1:2], v15
	v_mov_b32_e32 v7, 0
	s_mov_b64 s[38:39], exec
	v_bfrev_b32_e32 v8, 1
	s_waitcnt lgkmcnt(0)
	v_mul_f64 v[1:2], v[10:11], v[1:2]
.LBB16_25:                              ;   Parent Loop BB16_9 Depth=1
                                        ; =>  This Inner Loop Header: Depth=2
	s_ff1_i32_b64 s33, s[38:39]
	v_readlane_b32 s41, v2, s33
	v_readlane_b32 s40, v1, s33
	v_add_f64 v[7:8], v[7:8], s[40:41]
	s_lshl_b64 s[40:41], 1, s33
	s_andn2_b64 s[38:39], s[38:39], s[40:41]
	s_cmp_lg_u64 s[38:39], 0
	s_cbranch_scc1 .LBB16_25
; %bb.26:                               ;   in Loop: Header=BB16_9 Depth=1
	v_mbcnt_lo_u32_b32 v1, exec_lo, 0
	v_mbcnt_hi_u32_b32 v1, exec_hi, v1
	v_cmp_eq_u32_e32 vcc, 0, v1
	s_and_saveexec_b64 s[38:39], vcc
	s_xor_b64 s[38:39], exec, s[38:39]
	s_cbranch_execz .LBB16_8
; %bb.27:                               ;   in Loop: Header=BB16_9 Depth=1
	s_add_u32 s36, s14, s36
	s_addc_u32 s37, s15, s37
	global_load_dwordx2 v[3:4], v15, s[36:37]
	s_mov_b64 s[38:39], 0
.LBB16_28:                              ;   Parent Loop BB16_9 Depth=1
                                        ; =>  This Inner Loop Header: Depth=2
	s_waitcnt vmcnt(0)
	v_add_f64 v[1:2], v[3:4], v[7:8]
	global_atomic_cmpswap_x2 v[1:2], v15, v[1:4], s[36:37] glc
	s_waitcnt vmcnt(0)
	v_cmp_eq_u64_e32 vcc, v[1:2], v[3:4]
	v_mov_b32_e32 v4, v2
	s_or_b64 s[38:39], vcc, s[38:39]
	v_mov_b32_e32 v3, v1
	s_andn2_b64 exec, exec, s[38:39]
	s_cbranch_execnz .LBB16_28
; %bb.29:                               ;   in Loop: Header=BB16_9 Depth=1
	s_or_b64 exec, exec, s[38:39]
	s_branch .LBB16_8
.LBB16_30:
	s_lshl_b64 s[0:1], s[24:25], 3
	s_add_u32 s0, s16, s0
	s_addc_u32 s1, s17, s1
	s_lshl_b64 s[2:3], s[26:27], 3
	s_add_u32 s2, s16, s2
	s_addc_u32 s3, s17, s3
	s_load_dwordx2 s[8:9], s[0:1], 0x0
	s_load_dwordx2 s[6:7], s[2:3], 0x0
	s_waitcnt lgkmcnt(0)
	v_mov_b32_e32 v1, s9
	s_sub_u32 s6, s6, s30
	v_add_co_u32_e32 v5, vcc, s8, v9
	s_subb_u32 s7, s7, 0
	v_addc_co_u32_e32 v6, vcc, v1, v14, vcc
	v_cmp_gt_i64_e32 vcc, s[6:7], v[5:6]
	s_and_saveexec_b64 s[8:9], vcc
	s_cbranch_execz .LBB16_40
; %bb.31:
	s_add_u32 s10, s26, -1
	s_addc_u32 s11, s27, -1
	v_mov_b32_e32 v1, s10
	s_add_u32 s0, s26, -2
	v_mov_b32_e32 v2, s11
	s_addc_u32 s1, s27, -1
	v_cmp_lt_i64_e32 vcc, s[24:25], v[1:2]
	s_cmp_lg_u64 s[24:25], s[0:1]
	s_cselect_b64 s[0:1], -1, 0
	s_and_b64 s[0:1], vcc, s[0:1]
	v_cndmask_b32_e64 v1, 0, 1, s[0:1]
	s_mov_b64 s[12:13], 0
	v_cmp_ne_u32_e64 s[0:1], 1, v1
	v_mov_b32_e32 v9, s17
	v_mov_b32_e32 v14, s19
	s_branch .LBB16_33
.LBB16_32:                              ;   in Loop: Header=BB16_33 Depth=1
	s_or_b64 exec, exec, s[2:3]
	v_add_co_u32_e32 v5, vcc, 0x100, v5
	v_addc_co_u32_e32 v6, vcc, 0, v6, vcc
	v_cmp_le_i64_e32 vcc, s[6:7], v[5:6]
	s_or_b64 s[12:13], vcc, s[12:13]
	s_andn2_b64 exec, exec, s[12:13]
	s_cbranch_execz .LBB16_40
.LBB16_33:                              ; =>This Loop Header: Depth=1
                                        ;     Child Loop BB16_35 Depth 2
                                        ;     Child Loop BB16_39 Depth 2
	v_mov_b32_e32 v1, s24
	v_mov_b32_e32 v3, s10
	s_and_b64 vcc, exec, s[0:1]
	v_mov_b32_e32 v2, s25
	v_mov_b32_e32 v4, s11
	s_cbranch_vccnz .LBB16_37
; %bb.34:                               ;   in Loop: Header=BB16_33 Depth=1
	v_mov_b32_e32 v1, s24
	v_mov_b32_e32 v3, s10
	s_mov_b64 s[34:35], 0
	v_mov_b32_e32 v2, s25
	v_mov_b32_e32 v4, s11
.LBB16_35:                              ;   Parent Loop BB16_33 Depth=1
                                        ; =>  This Inner Loop Header: Depth=2
	v_add_co_u32_e32 v7, vcc, v3, v1
	v_addc_co_u32_e32 v8, vcc, v4, v2, vcc
	v_lshrrev_b32_e32 v12, 31, v8
	v_add_co_u32_e32 v7, vcc, v7, v12
	v_addc_co_u32_e32 v8, vcc, 0, v8, vcc
	v_ashrrev_i64 v[7:8], 1, v[7:8]
	v_mov_b32_e32 v15, s17
	v_lshlrev_b64 v[12:13], 3, v[7:8]
	v_add_co_u32_e32 v12, vcc, s16, v12
	v_addc_co_u32_e32 v13, vcc, v15, v13, vcc
	global_load_dwordx2 v[12:13], v[12:13], off
	s_waitcnt vmcnt(0)
	v_subrev_co_u32_e32 v12, vcc, s30, v12
	v_subbrev_co_u32_e32 v13, vcc, 0, v13, vcc
	v_cmp_lt_i64_e32 vcc, v[5:6], v[12:13]
	v_cndmask_b32_e32 v3, v3, v7, vcc
	v_cndmask_b32_e32 v4, v4, v8, vcc
	;; [unrolled: 1-line block ×3, first 2 shown]
	v_add_co_u32_e64 v7, s[2:3], -1, v3
	v_cndmask_b32_e32 v2, v8, v2, vcc
	v_addc_co_u32_e64 v8, s[2:3], -1, v4, s[2:3]
	v_cmp_ge_i64_e32 vcc, v[1:2], v[3:4]
	v_cmp_eq_u64_e64 s[2:3], v[1:2], v[7:8]
	s_or_b64 s[2:3], vcc, s[2:3]
	s_and_b64 s[2:3], exec, s[2:3]
	s_or_b64 s[34:35], s[2:3], s[34:35]
	s_andn2_b64 exec, exec, s[34:35]
	s_cbranch_execnz .LBB16_35
; %bb.36:                               ;   in Loop: Header=BB16_33 Depth=1
	s_or_b64 exec, exec, s[34:35]
.LBB16_37:                              ;   in Loop: Header=BB16_33 Depth=1
	v_lshlrev_b64 v[7:8], 3, v[3:4]
	v_lshlrev_b64 v[12:13], 2, v[5:6]
	v_add_co_u32_e32 v7, vcc, s16, v7
	v_addc_co_u32_e32 v8, vcc, v9, v8, vcc
	global_load_dwordx2 v[7:8], v[7:8], off
	v_add_co_u32_e32 v12, vcc, s18, v12
	v_addc_co_u32_e32 v13, vcc, v14, v13, vcc
	global_load_dword v15, v[12:13], off
	s_waitcnt vmcnt(1)
	v_subrev_co_u32_e32 v12, vcc, s30, v7
	v_subbrev_co_u32_e32 v13, vcc, 0, v8, vcc
	v_cmp_lt_i64_e32 vcc, v[5:6], v[12:13]
	s_waitcnt vmcnt(0)
	v_subrev_u32_e32 v7, s30, v15
	v_cndmask_b32_e32 v2, v4, v2, vcc
	v_cndmask_b32_e32 v1, v3, v1, vcc
	v_ashrrev_i32_e32 v8, 31, v7
	v_cmp_ne_u64_e32 vcc, v[1:2], v[7:8]
	s_and_saveexec_b64 s[2:3], vcc
	s_cbranch_execz .LBB16_32
; %bb.38:                               ;   in Loop: Header=BB16_33 Depth=1
	v_lshlrev_b64 v[3:4], 3, v[5:6]
	v_mov_b32_e32 v12, s21
	v_add_co_u32_e32 v3, vcc, s20, v3
	v_addc_co_u32_e32 v4, vcc, v12, v4, vcc
	global_load_dwordx2 v[12:13], v[3:4], off
	v_lshlrev_b64 v[1:2], 3, v[1:2]
	v_mov_b32_e32 v3, s23
	v_add_co_u32_e32 v1, vcc, s22, v1
	v_addc_co_u32_e32 v2, vcc, v3, v2, vcc
	global_load_dwordx2 v[1:2], v[1:2], off
	;; [unrolled: 5-line block ×3, first 2 shown]
	s_mov_b64 s[34:35], 0
	s_waitcnt vmcnt(2)
	v_mul_f64 v[12:13], v[10:11], v[12:13]
	s_waitcnt vmcnt(1)
	v_mul_f64 v[12:13], v[12:13], v[1:2]
.LBB16_39:                              ;   Parent Loop BB16_33 Depth=1
                                        ; =>  This Inner Loop Header: Depth=2
	s_waitcnt vmcnt(0)
	v_add_f64 v[1:2], v[3:4], v[12:13]
	global_atomic_cmpswap_x2 v[1:2], v[7:8], v[1:4], off glc
	s_waitcnt vmcnt(0)
	v_cmp_eq_u64_e32 vcc, v[1:2], v[3:4]
	v_mov_b32_e32 v4, v2
	s_or_b64 s[34:35], vcc, s[34:35]
	v_mov_b32_e32 v3, v1
	s_andn2_b64 exec, exec, s[34:35]
	s_cbranch_execnz .LBB16_39
	s_branch .LBB16_32
.LBB16_40:
	s_or_b64 exec, exec, s[8:9]
	s_mov_b64 s[0:1], 0
.LBB16_41:
	s_and_b64 vcc, exec, s[0:1]
	s_cbranch_vccz .LBB16_167
; %bb.42:
	s_load_dword s0, s[4:5], 0x6c
	v_mov_b32_e32 v1, s28
	s_mov_b32 s13, 0
	v_mov_b32_e32 v2, s29
	s_mov_b64 s[36:37], 0
	s_waitcnt lgkmcnt(0)
	s_and_b32 s12, s0, 0xffff
	v_cmp_lt_u64_e32 vcc, s[12:13], v[1:2]
	s_cbranch_vccnz .LBB16_44
; %bb.43:
	v_cvt_f32_u32_e32 v1, s28
	s_sub_i32 s0, 0, s28
	v_rcp_iflag_f32_e32 v1, v1
	v_mul_f32_e32 v1, 0x4f7ffffe, v1
	v_cvt_u32_f32_e32 v1, v1
	v_readfirstlane_b32 s1, v1
	s_mul_i32 s0, s0, s1
	s_mul_hi_u32 s0, s1, s0
	s_add_i32 s1, s1, s0
	s_mul_hi_u32 s0, s12, s1
	s_mul_i32 s2, s0, s28
	s_sub_i32 s2, s12, s2
	s_add_i32 s1, s0, 1
	s_sub_i32 s3, s2, s28
	s_cmp_ge_u32 s2, s28
	s_cselect_b32 s0, s1, s0
	s_cselect_b32 s2, s3, s2
	s_add_i32 s1, s0, 1
	s_cmp_ge_u32 s2, s28
	s_cselect_b32 s36, s1, s0
.LBB16_44:
	s_lshl_b64 s[0:1], s[24:25], 3
	s_add_u32 s34, s16, s0
	s_addc_u32 s35, s17, s1
	s_load_dwordx2 s[6:7], s[34:35], 0x0
	s_load_dwordx4 s[8:11], s[4:5], 0x8
	v_subrev_co_u32_e32 v1, vcc, s30, v0
	v_subb_co_u32_e64 v2, s[0:1], 0, 0, vcc
	s_waitcnt lgkmcnt(0)
	v_mov_b32_e32 v3, s7
	v_add_co_u32_e32 v6, vcc, s6, v1
	v_addc_co_u32_e32 v7, vcc, v3, v2, vcc
	v_add_co_u32_e32 v8, vcc, 0x300, v6
	v_addc_co_u32_e32 v9, vcc, 0, v7, vcc
	v_cmp_le_i64_e64 s[0:1], s[8:9], v[8:9]
	v_mov_b32_e32 v1, 0
	s_and_saveexec_b64 s[2:3], s[0:1]
	s_xor_b64 s[2:3], exec, s[2:3]
	s_cbranch_execnz .LBB16_47
; %bb.45:
	s_andn2_saveexec_b64 s[2:3], s[2:3]
	s_cbranch_execnz .LBB16_51
.LBB16_46:
	s_or_b64 exec, exec, s[2:3]
	v_cmp_gt_i64_e32 vcc, s[10:11], v[0:1]
	s_and_saveexec_b64 s[2:3], vcc
	s_cbranch_execnz .LBB16_52
	s_branch .LBB16_54
.LBB16_47:
	s_lshl_b64 s[4:5], s[26:27], 3
	s_add_u32 s4, s16, s4
	s_addc_u32 s5, s17, s5
	s_load_dwordx2 s[4:5], s[4:5], 0x0
	s_waitcnt lgkmcnt(0)
	s_sub_u32 s4, s4, s6
	s_subb_u32 s5, s5, s7
	v_cmp_gt_i64_e32 vcc, s[4:5], v[0:1]
	s_and_saveexec_b64 s[8:9], vcc
	s_cbranch_execz .LBB16_50
; %bb.48:
	v_lshlrev_b64 v[2:3], 3, v[6:7]
	v_mov_b32_e32 v4, s21
	v_add_co_u32_e32 v2, vcc, s20, v2
	v_addc_co_u32_e32 v3, vcc, v4, v3, vcc
	v_mov_b32_e32 v5, v1
	s_mov_b64 s[38:39], 0
	v_mov_b32_e32 v12, v18
	v_mov_b32_e32 v4, v0
.LBB16_49:                              ; =>This Inner Loop Header: Depth=1
	global_load_dwordx2 v[13:14], v[2:3], off
	v_add_co_u32_e32 v2, vcc, 0x800, v2
	v_addc_co_u32_e32 v3, vcc, 0, v3, vcc
	v_add_co_u32_e32 v4, vcc, 0x100, v4
	v_addc_co_u32_e32 v5, vcc, 0, v5, vcc
	v_cmp_le_i64_e32 vcc, s[4:5], v[4:5]
	s_or_b64 s[38:39], vcc, s[38:39]
	s_waitcnt vmcnt(0)
	v_mul_f64 v[13:14], v[10:11], v[13:14]
	ds_write_b64 v12, v[13:14]
	v_add_u32_e32 v12, 0x800, v12
	s_andn2_b64 exec, exec, s[38:39]
	s_cbranch_execnz .LBB16_49
.LBB16_50:
	s_or_b64 exec, exec, s[8:9]
                                        ; implicit-def: $vgpr10_vgpr11
	s_andn2_saveexec_b64 s[2:3], s[2:3]
	s_cbranch_execz .LBB16_46
.LBB16_51:
	v_lshlrev_b64 v[2:3], 3, v[6:7]
	v_mov_b32_e32 v4, s21
	v_add_co_u32_e32 v2, vcc, s20, v2
	v_addc_co_u32_e32 v3, vcc, v4, v3, vcc
	v_add_co_u32_e32 v4, vcc, 0x1000, v2
	v_addc_co_u32_e32 v5, vcc, 0, v3, vcc
	global_load_dwordx2 v[12:13], v[2:3], off
	global_load_dwordx2 v[14:15], v[2:3], off offset:2048
	global_load_dwordx2 v[16:17], v[4:5], off
	global_load_dwordx2 v[19:20], v[4:5], off offset:2048
	s_waitcnt vmcnt(3)
	v_mul_f64 v[2:3], v[10:11], v[12:13]
	s_waitcnt vmcnt(2)
	v_mul_f64 v[4:5], v[10:11], v[14:15]
	;; [unrolled: 2-line block ×4, first 2 shown]
	ds_write2st64_b64 v18, v[2:3], v[4:5] offset1:4
	ds_write2st64_b64 v18, v[12:13], v[10:11] offset0:8 offset1:12
	s_or_b64 exec, exec, s[2:3]
	v_cmp_gt_i64_e32 vcc, s[10:11], v[0:1]
	s_and_saveexec_b64 s[2:3], vcc
	s_cbranch_execz .LBB16_54
.LBB16_52:
	v_mov_b32_e32 v2, 0x2000
	v_lshl_add_u32 v10, v0, 3, v2
	v_mov_b32_e32 v2, 0
	v_mov_b32_e32 v5, v1
	s_mov_b64 s[4:5], 0
	v_mov_b32_e32 v3, v2
	v_mov_b32_e32 v4, v0
.LBB16_53:                              ; =>This Inner Loop Header: Depth=1
	v_add_co_u32_e32 v4, vcc, 0x100, v4
	v_addc_co_u32_e32 v5, vcc, 0, v5, vcc
	v_cmp_le_i64_e32 vcc, s[10:11], v[4:5]
	ds_write_b64 v10, v[2:3]
	s_or_b64 s[4:5], vcc, s[4:5]
	v_add_u32_e32 v10, 0x800, v10
	s_andn2_b64 exec, exec, s[4:5]
	s_cbranch_execnz .LBB16_53
.LBB16_54:
	s_or_b64 exec, exec, s[2:3]
	v_mov_b32_e32 v2, s10
	v_mov_b32_e32 v3, s11
	s_sub_u32 s4, s26, s10
	v_cmp_ge_i64_e32 vcc, s[26:27], v[2:3]
	s_subb_u32 s5, s27, s11
	s_and_b64 s[2:3], vcc, exec
	s_cselect_b32 s9, s5, 0
	s_cselect_b32 s8, s4, 0
	s_waitcnt lgkmcnt(0)
	s_barrier
	s_and_saveexec_b64 s[2:3], s[0:1]
	s_xor_b64 s[20:21], exec, s[2:3]
	s_cbranch_execz .LBB16_75
; %bb.55:
	s_lshl_b64 s[0:1], s[26:27], 3
	s_add_u32 s0, s16, s0
	s_addc_u32 s1, s17, s1
	s_load_dwordx2 s[0:1], s[0:1], 0x0
	s_waitcnt lgkmcnt(0)
	s_sub_u32 s38, s0, s6
	s_subb_u32 s39, s1, s7
	v_cmp_gt_i64_e32 vcc, s[38:39], v[0:1]
	s_and_saveexec_b64 s[40:41], vcc
	s_cbranch_execz .LBB16_74
; %bb.56:
	s_add_u32 s42, s26, -1
	s_addc_u32 s43, s27, -1
	s_add_u32 s2, s26, -2
	s_addc_u32 s3, s27, -1
	s_cmp_lg_u64 s[24:25], s[2:3]
	s_cselect_b64 s[2:3], -1, 0
	s_sub_u32 s44, s0, s30
	v_cndmask_b32_e64 v2, 0, 1, s[2:3]
	s_subb_u32 s45, s1, 0
	s_mov_b64 s[46:47], 0
	v_cmp_ne_u32_e64 s[0:1], 1, v2
	v_mov_b32_e32 v16, s17
	v_mov_b32_e32 v17, s19
	;; [unrolled: 1-line block ×4, first 2 shown]
	s_mov_b64 s[48:49], 0
	s_branch .LBB16_59
.LBB16_57:                              ;   in Loop: Header=BB16_59 Depth=1
	s_or_b64 exec, exec, s[2:3]
.LBB16_58:                              ;   in Loop: Header=BB16_59 Depth=1
	s_or_b64 exec, exec, s[4:5]
	v_lshlrev_b64 v[2:3], 3, v[8:9]
	s_add_u32 s48, s48, 0x100
	v_add_co_u32_e32 v2, vcc, s22, v2
	v_addc_co_u32_e32 v3, vcc, v19, v3, vcc
	global_load_dwordx2 v[2:3], v[2:3], off
	s_addc_u32 s49, s49, 0
	v_mov_b32_e32 v5, s49
	v_add_co_u32_e32 v4, vcc, s48, v0
	v_addc_co_u32_e32 v5, vcc, 0, v5, vcc
	v_cmp_le_i64_e32 vcc, s[38:39], v[4:5]
	v_lshlrev_b32_e32 v4, 3, v21
	s_or_b64 s[46:47], vcc, s[46:47]
	s_waitcnt vmcnt(0) lgkmcnt(0)
	v_mul_f64 v[2:3], v[2:3], v[10:11]
	ds_write_b64 v4, v[2:3]
	s_andn2_b64 exec, exec, s[46:47]
	s_cbranch_execz .LBB16_74
.LBB16_59:                              ; =>This Loop Header: Depth=1
                                        ;     Child Loop BB16_61 Depth 2
                                        ;     Child Loop BB16_68 Depth 2
	;; [unrolled: 1-line block ×3, first 2 shown]
	v_mov_b32_e32 v3, s49
	v_add_co_u32_e32 v2, vcc, s48, v6
	v_addc_co_u32_e32 v3, vcc, v3, v7, vcc
	v_mov_b32_e32 v4, s24
	v_mov_b32_e32 v10, s42
	s_and_b64 vcc, exec, s[0:1]
	v_mov_b32_e32 v5, s25
	v_mov_b32_e32 v11, s43
	s_cbranch_vccnz .LBB16_63
; %bb.60:                               ;   in Loop: Header=BB16_59 Depth=1
	v_mov_b32_e32 v4, s24
	v_mov_b32_e32 v10, s42
	s_mov_b64 s[4:5], 0
	v_mov_b32_e32 v5, s25
	v_mov_b32_e32 v11, s43
.LBB16_61:                              ;   Parent Loop BB16_59 Depth=1
                                        ; =>  This Inner Loop Header: Depth=2
	v_add_co_u32_e32 v8, vcc, v10, v4
	v_addc_co_u32_e32 v9, vcc, v11, v5, vcc
	v_lshrrev_b32_e32 v12, 31, v9
	v_add_co_u32_e32 v8, vcc, v8, v12
	v_addc_co_u32_e32 v9, vcc, 0, v9, vcc
	v_ashrrev_i64 v[8:9], 1, v[8:9]
	v_mov_b32_e32 v14, s17
	v_lshlrev_b64 v[12:13], 3, v[8:9]
	v_add_co_u32_e32 v12, vcc, s16, v12
	v_addc_co_u32_e32 v13, vcc, v14, v13, vcc
	global_load_dwordx2 v[12:13], v[12:13], off
	s_waitcnt vmcnt(0)
	v_subrev_co_u32_e32 v12, vcc, s30, v12
	v_subbrev_co_u32_e32 v13, vcc, 0, v13, vcc
	v_cmp_lt_i64_e32 vcc, v[2:3], v[12:13]
	v_cndmask_b32_e32 v10, v10, v8, vcc
	v_cndmask_b32_e32 v11, v11, v9, vcc
	;; [unrolled: 1-line block ×3, first 2 shown]
	v_add_co_u32_e64 v8, s[2:3], -1, v10
	v_cndmask_b32_e32 v5, v9, v5, vcc
	v_addc_co_u32_e64 v9, s[2:3], -1, v11, s[2:3]
	v_cmp_ge_i64_e32 vcc, v[4:5], v[10:11]
	v_cmp_eq_u64_e64 s[2:3], v[4:5], v[8:9]
	s_or_b64 s[2:3], vcc, s[2:3]
	s_and_b64 s[2:3], exec, s[2:3]
	s_or_b64 s[4:5], s[2:3], s[4:5]
	s_andn2_b64 exec, exec, s[4:5]
	s_cbranch_execnz .LBB16_61
; %bb.62:                               ;   in Loop: Header=BB16_59 Depth=1
	s_or_b64 exec, exec, s[4:5]
.LBB16_63:                              ;   in Loop: Header=BB16_59 Depth=1
	v_lshlrev_b64 v[8:9], 3, v[10:11]
	v_lshlrev_b64 v[12:13], 2, v[2:3]
	v_add_co_u32_e32 v8, vcc, s16, v8
	v_addc_co_u32_e32 v9, vcc, v16, v9, vcc
	global_load_dwordx2 v[8:9], v[8:9], off
	v_add_co_u32_e32 v12, vcc, s18, v12
	v_addc_co_u32_e32 v13, vcc, v17, v13, vcc
	global_load_dword v14, v[12:13], off
	v_cmp_le_i64_e32 vcc, s[44:45], v[2:3]
	v_add_co_u32_e64 v21, s[4:5], s48, v0
	s_waitcnt vmcnt(1)
	v_subrev_co_u32_e64 v12, s[2:3], s30, v8
	v_subbrev_co_u32_e64 v13, s[2:3], 0, v9, s[2:3]
	v_cmp_lt_i64_e64 s[2:3], v[2:3], v[12:13]
	s_waitcnt vmcnt(0)
	v_subrev_u32_e32 v8, s30, v14
	v_cndmask_b32_e64 v3, v11, v5, s[2:3]
	v_ashrrev_i32_e32 v9, 31, v8
	v_cndmask_b32_e64 v2, v10, v4, s[2:3]
	v_cmp_eq_u64_e64 s[2:3], v[2:3], v[8:9]
	v_lshlrev_b32_e32 v14, 3, v21
	s_or_b64 s[2:3], s[2:3], vcc
                                        ; implicit-def: $vgpr10_vgpr11
	s_and_saveexec_b64 s[4:5], s[2:3]
	s_xor_b64 s[2:3], exec, s[4:5]
; %bb.64:                               ;   in Loop: Header=BB16_59 Depth=1
	ds_read_b64 v[10:11], v14
                                        ; implicit-def: $vgpr2_vgpr3
                                        ; implicit-def: $vgpr14
; %bb.65:                               ;   in Loop: Header=BB16_59 Depth=1
	s_andn2_saveexec_b64 s[4:5], s[2:3]
	s_cbranch_execz .LBB16_58
; %bb.66:                               ;   in Loop: Header=BB16_59 Depth=1
	v_cmp_gt_i64_e32 vcc, s[8:9], v[8:9]
	v_cmp_le_i64_e64 s[2:3], s[26:27], v[8:9]
	v_lshlrev_b64 v[2:3], 3, v[2:3]
	s_or_b64 s[2:3], vcc, s[2:3]
                                        ; implicit-def: $vgpr10_vgpr11
	s_and_saveexec_b64 s[50:51], s[2:3]
	s_xor_b64 s[2:3], exec, s[50:51]
	s_cbranch_execz .LBB16_70
; %bb.67:                               ;   in Loop: Header=BB16_59 Depth=1
	v_mov_b32_e32 v4, s23
	v_add_co_u32_e32 v2, vcc, s22, v2
	v_addc_co_u32_e32 v3, vcc, v4, v3, vcc
	global_load_dwordx2 v[2:3], v[2:3], off
	v_lshlrev_b64 v[4:5], 3, v[8:9]
	s_waitcnt lgkmcnt(0)
	v_mov_b32_e32 v10, s15
	v_add_co_u32_e32 v12, vcc, s14, v4
	v_addc_co_u32_e32 v13, vcc, v10, v5, vcc
	global_load_dwordx2 v[4:5], v[12:13], off
	ds_read_b64 v[10:11], v14
	s_mov_b64 s[50:51], 0
	s_waitcnt vmcnt(1) lgkmcnt(0)
	v_mul_f64 v[14:15], v[10:11], v[2:3]
.LBB16_68:                              ;   Parent Loop BB16_59 Depth=1
                                        ; =>  This Inner Loop Header: Depth=2
	s_waitcnt vmcnt(0)
	v_add_f64 v[2:3], v[4:5], v[14:15]
	global_atomic_cmpswap_x2 v[2:3], v[12:13], v[2:5], off glc
	s_waitcnt vmcnt(0)
	v_cmp_eq_u64_e32 vcc, v[2:3], v[4:5]
	v_mov_b32_e32 v5, v3
	s_or_b64 s[50:51], vcc, s[50:51]
	v_mov_b32_e32 v4, v2
	s_andn2_b64 exec, exec, s[50:51]
	s_cbranch_execnz .LBB16_68
; %bb.69:                               ;   in Loop: Header=BB16_59 Depth=1
	s_or_b64 exec, exec, s[50:51]
                                        ; implicit-def: $vgpr14
                                        ; implicit-def: $vgpr2_vgpr3
.LBB16_70:                              ;   in Loop: Header=BB16_59 Depth=1
	s_andn2_saveexec_b64 s[2:3], s[2:3]
	s_cbranch_execz .LBB16_57
; %bb.71:                               ;   in Loop: Header=BB16_59 Depth=1
	v_add_co_u32_e32 v2, vcc, s22, v2
	v_addc_co_u32_e32 v3, vcc, v19, v3, vcc
	global_load_dwordx2 v[2:3], v[2:3], off
	s_waitcnt lgkmcnt(0)
	ds_read_b64 v[10:11], v14
	v_subrev_u32_e32 v4, s8, v8
	v_lshl_add_u32 v12, v4, 3, v20
	ds_read_b64 v[4:5], v12
	s_mov_b64 s[50:51], 0
	s_waitcnt vmcnt(0) lgkmcnt(1)
	v_mul_f64 v[2:3], v[10:11], v[2:3]
.LBB16_72:                              ;   Parent Loop BB16_59 Depth=1
                                        ; =>  This Inner Loop Header: Depth=2
	s_waitcnt lgkmcnt(0)
	v_add_f64 v[13:14], v[4:5], v[2:3]
	ds_cmpst_rtn_b64 v[13:14], v12, v[4:5], v[13:14]
	s_waitcnt lgkmcnt(0)
	v_cmp_eq_u64_e32 vcc, v[13:14], v[4:5]
	v_mov_b32_e32 v4, v13
	s_or_b64 s[50:51], vcc, s[50:51]
	v_mov_b32_e32 v5, v14
	s_andn2_b64 exec, exec, s[50:51]
	s_cbranch_execnz .LBB16_72
; %bb.73:                               ;   in Loop: Header=BB16_59 Depth=1
	s_or_b64 exec, exec, s[50:51]
	s_branch .LBB16_57
.LBB16_74:
	s_or_b64 exec, exec, s[40:41]
                                        ; implicit-def: $vgpr8_vgpr9
                                        ; implicit-def: $vgpr6
.LBB16_75:
	s_andn2_saveexec_b64 s[4:5], s[20:21]
	s_cbranch_execz .LBB16_133
; %bb.76:
	s_add_u32 s20, s26, -1
	s_addc_u32 s21, s27, -1
	s_add_u32 s0, s26, -2
	s_addc_u32 s1, s27, -1
	s_cmp_lg_u64 s[24:25], s[0:1]
	v_mov_b32_e32 v2, s24
	v_mov_b32_e32 v4, s20
	s_cselect_b64 s[2:3], -1, 0
	s_cmp_eq_u64 s[24:25], s[0:1]
	v_mov_b32_e32 v3, s25
	v_mov_b32_e32 v5, s21
	s_cbranch_scc1 .LBB16_80
; %bb.77:
	v_mov_b32_e32 v2, s24
	v_mov_b32_e32 v4, s20
	s_mov_b64 s[38:39], 0
	v_mov_b32_e32 v3, s25
	v_mov_b32_e32 v5, s21
	;; [unrolled: 1-line block ×3, first 2 shown]
.LBB16_78:                              ; =>This Inner Loop Header: Depth=1
	v_add_co_u32_e32 v11, vcc, v4, v2
	v_addc_co_u32_e32 v12, vcc, v5, v3, vcc
	v_lshrrev_b32_e32 v13, 31, v12
	v_add_co_u32_e32 v11, vcc, v11, v13
	v_addc_co_u32_e32 v12, vcc, 0, v12, vcc
	v_ashrrev_i64 v[11:12], 1, v[11:12]
	v_lshlrev_b64 v[13:14], 3, v[11:12]
	v_add_co_u32_e32 v13, vcc, s16, v13
	v_addc_co_u32_e32 v14, vcc, v10, v14, vcc
	global_load_dwordx2 v[13:14], v[13:14], off
	s_waitcnt vmcnt(0)
	v_subrev_co_u32_e32 v13, vcc, s30, v13
	v_subbrev_co_u32_e32 v14, vcc, 0, v14, vcc
	v_cmp_lt_i64_e32 vcc, v[6:7], v[13:14]
	v_cndmask_b32_e32 v4, v4, v11, vcc
	v_cndmask_b32_e32 v5, v5, v12, vcc
	;; [unrolled: 1-line block ×3, first 2 shown]
	v_add_co_u32_e64 v11, s[0:1], -1, v4
	v_cndmask_b32_e32 v3, v12, v3, vcc
	v_addc_co_u32_e64 v12, s[0:1], -1, v5, s[0:1]
	v_cmp_ge_i64_e32 vcc, v[2:3], v[4:5]
	v_cmp_eq_u64_e64 s[0:1], v[2:3], v[11:12]
	s_or_b64 s[0:1], vcc, s[0:1]
	s_and_b64 s[0:1], exec, s[0:1]
	s_or_b64 s[38:39], s[0:1], s[38:39]
	s_andn2_b64 exec, exec, s[38:39]
	s_cbranch_execnz .LBB16_78
; %bb.79:
	s_or_b64 exec, exec, s[38:39]
.LBB16_80:
	v_lshlrev_b64 v[10:11], 3, v[4:5]
	v_mov_b32_e32 v12, s17
	v_add_co_u32_e32 v10, vcc, s16, v10
	v_addc_co_u32_e32 v11, vcc, v12, v11, vcc
	global_load_dwordx2 v[12:13], v[10:11], off
	v_lshlrev_b64 v[10:11], 2, v[6:7]
	v_mov_b32_e32 v14, s19
	v_add_co_u32_e32 v10, vcc, s18, v10
	v_addc_co_u32_e32 v11, vcc, v14, v11, vcc
	global_load_dword v16, v[10:11], off
	s_lshl_b64 s[0:1], s[26:27], 3
	s_add_u32 s18, s16, s0
	s_addc_u32 s19, s17, s1
	s_waitcnt vmcnt(1)
	v_subrev_co_u32_e32 v14, vcc, s30, v12
	v_subbrev_co_u32_e32 v15, vcc, 0, v13, vcc
	v_cmp_lt_i64_e32 vcc, v[6:7], v[14:15]
	v_cndmask_b32_e32 v3, v5, v3, vcc
	s_waitcnt vmcnt(0)
	v_subrev_u32_e32 v12, s30, v16
	v_cndmask_b32_e32 v2, v4, v2, vcc
	v_ashrrev_i32_e32 v13, 31, v12
	v_cmp_ne_u64_e32 vcc, v[2:3], v[12:13]
	s_and_saveexec_b64 s[38:39], vcc
	s_cbranch_execz .LBB16_90
; %bb.81:
	s_load_dwordx2 s[0:1], s[18:19], 0x0
	s_waitcnt lgkmcnt(0)
	s_sub_u32 s0, s0, s30
	s_subb_u32 s1, s1, 0
	v_cmp_gt_i64_e32 vcc, s[0:1], v[6:7]
	s_and_b64 exec, exec, vcc
	s_cbranch_execz .LBB16_90
; %bb.82:
	v_cmp_gt_i64_e32 vcc, s[8:9], v[12:13]
	v_cmp_le_i64_e64 s[0:1], s[26:27], v[12:13]
	v_lshlrev_b64 v[2:3], 3, v[2:3]
	s_or_b64 s[0:1], vcc, s[0:1]
	s_and_saveexec_b64 s[40:41], s[0:1]
	s_xor_b64 s[0:1], exec, s[40:41]
	s_cbranch_execz .LBB16_86
; %bb.83:
	v_mov_b32_e32 v4, s23
	v_add_co_u32_e32 v2, vcc, s22, v2
	v_addc_co_u32_e32 v3, vcc, v4, v3, vcc
	global_load_dwordx2 v[2:3], v[2:3], off
	v_lshlrev_b64 v[4:5], 3, v[12:13]
	v_mov_b32_e32 v15, s15
	v_add_co_u32_e32 v14, vcc, s14, v4
	v_addc_co_u32_e32 v15, vcc, v15, v5, vcc
	global_load_dwordx2 v[4:5], v[14:15], off
	ds_read_b64 v[16:17], v18
	s_mov_b64 s[40:41], 0
	s_waitcnt vmcnt(1) lgkmcnt(0)
	v_mul_f64 v[16:17], v[16:17], v[2:3]
.LBB16_84:                              ; =>This Inner Loop Header: Depth=1
	s_waitcnt vmcnt(0)
	v_add_f64 v[2:3], v[4:5], v[16:17]
	global_atomic_cmpswap_x2 v[2:3], v[14:15], v[2:5], off glc
	s_waitcnt vmcnt(0)
	v_cmp_eq_u64_e32 vcc, v[2:3], v[4:5]
	v_mov_b32_e32 v5, v3
	s_or_b64 s[40:41], vcc, s[40:41]
	v_mov_b32_e32 v4, v2
	s_andn2_b64 exec, exec, s[40:41]
	s_cbranch_execnz .LBB16_84
; %bb.85:
	s_or_b64 exec, exec, s[40:41]
                                        ; implicit-def: $vgpr2_vgpr3
.LBB16_86:
	s_andn2_saveexec_b64 s[0:1], s[0:1]
	s_cbranch_execz .LBB16_90
; %bb.87:
	v_mov_b32_e32 v4, s23
	v_add_co_u32_e32 v2, vcc, s22, v2
	v_addc_co_u32_e32 v3, vcc, v4, v3, vcc
	global_load_dwordx2 v[2:3], v[2:3], off
	ds_read_b64 v[4:5], v18
	v_subrev_u32_e32 v14, s8, v12
	s_mov_b64 s[0:1], 0
	s_waitcnt vmcnt(0) lgkmcnt(0)
	v_mul_f64 v[2:3], v[4:5], v[2:3]
	v_mov_b32_e32 v4, 0x2000
	v_lshl_add_u32 v14, v14, 3, v4
	ds_read_b64 v[4:5], v14
.LBB16_88:                              ; =>This Inner Loop Header: Depth=1
	s_waitcnt lgkmcnt(0)
	v_add_f64 v[15:16], v[4:5], v[2:3]
	ds_cmpst_rtn_b64 v[15:16], v14, v[4:5], v[15:16]
	s_waitcnt lgkmcnt(0)
	v_cmp_eq_u64_e32 vcc, v[15:16], v[4:5]
	v_mov_b32_e32 v4, v15
	s_or_b64 s[0:1], vcc, s[0:1]
	v_mov_b32_e32 v5, v16
	s_andn2_b64 exec, exec, s[0:1]
	s_cbranch_execnz .LBB16_88
; %bb.89:
	s_or_b64 exec, exec, s[0:1]
.LBB16_90:
	s_or_b64 exec, exec, s[38:39]
	v_lshlrev_b64 v[2:3], 3, v[12:13]
	v_mov_b32_e32 v4, s23
	v_add_co_u32_e32 v2, vcc, s22, v2
	v_addc_co_u32_e32 v3, vcc, v4, v3, vcc
	global_load_dwordx2 v[3:4], v[2:3], off
	ds_read_b64 v[12:13], v18
	v_add_co_u32_e32 v2, vcc, 0x100, v6
	v_cndmask_b32_e64 v14, 0, 1, s[2:3]
	v_cmp_ne_u32_e64 s[0:1], 1, v14
	s_waitcnt vmcnt(0) lgkmcnt(0)
	v_mul_f64 v[12:13], v[3:4], v[12:13]
	v_mov_b32_e32 v4, s24
	v_addc_co_u32_e32 v3, vcc, 0, v7, vcc
	v_mov_b32_e32 v5, s25
	s_andn2_b64 vcc, exec, s[2:3]
	ds_write_b64 v18, v[12:13]
	v_mov_b32_e32 v13, s20
	v_mov_b32_e32 v14, s21
	s_cbranch_vccnz .LBB16_94
; %bb.91:
	v_mov_b32_e32 v4, s24
	v_mov_b32_e32 v13, s20
	s_mov_b64 s[38:39], 0
	v_mov_b32_e32 v5, s25
	v_mov_b32_e32 v14, s21
	;; [unrolled: 1-line block ×3, first 2 shown]
.LBB16_92:                              ; =>This Inner Loop Header: Depth=1
	v_add_co_u32_e32 v15, vcc, v13, v4
	v_addc_co_u32_e32 v16, vcc, v14, v5, vcc
	v_lshrrev_b32_e32 v17, 31, v16
	v_add_co_u32_e32 v15, vcc, v15, v17
	v_addc_co_u32_e32 v16, vcc, 0, v16, vcc
	v_ashrrev_i64 v[15:16], 1, v[15:16]
	v_lshlrev_b64 v[19:20], 3, v[15:16]
	v_add_co_u32_e32 v19, vcc, s16, v19
	v_addc_co_u32_e32 v20, vcc, v12, v20, vcc
	global_load_dwordx2 v[19:20], v[19:20], off
	s_waitcnt vmcnt(0)
	v_subrev_co_u32_e32 v19, vcc, s30, v19
	v_subbrev_co_u32_e32 v20, vcc, 0, v20, vcc
	v_cmp_lt_i64_e32 vcc, v[2:3], v[19:20]
	v_cndmask_b32_e32 v13, v13, v15, vcc
	v_cndmask_b32_e32 v14, v14, v16, vcc
	;; [unrolled: 1-line block ×3, first 2 shown]
	v_add_co_u32_e64 v15, s[2:3], -1, v13
	v_cndmask_b32_e32 v5, v16, v5, vcc
	v_addc_co_u32_e64 v16, s[2:3], -1, v14, s[2:3]
	v_cmp_ge_i64_e32 vcc, v[4:5], v[13:14]
	v_cmp_eq_u64_e64 s[2:3], v[4:5], v[15:16]
	s_or_b64 s[2:3], vcc, s[2:3]
	s_and_b64 s[2:3], exec, s[2:3]
	s_or_b64 s[38:39], s[2:3], s[38:39]
	s_andn2_b64 exec, exec, s[38:39]
	s_cbranch_execnz .LBB16_92
; %bb.93:
	s_or_b64 exec, exec, s[38:39]
.LBB16_94:
	v_lshlrev_b64 v[15:16], 3, v[13:14]
	v_mov_b32_e32 v12, s17
	v_add_co_u32_e32 v15, vcc, s16, v15
	v_addc_co_u32_e32 v16, vcc, v12, v16, vcc
	global_load_dwordx2 v[15:16], v[15:16], off
	s_waitcnt vmcnt(0)
	v_subrev_co_u32_e32 v15, vcc, s30, v15
	global_load_dword v17, v[10:11], off offset:1024
	v_subbrev_co_u32_e32 v16, vcc, 0, v16, vcc
	v_cmp_lt_i64_e32 vcc, v[2:3], v[15:16]
	v_cndmask_b32_e32 v5, v14, v5, vcc
	v_cndmask_b32_e32 v4, v13, v4, vcc
	s_waitcnt vmcnt(0)
	v_subrev_u32_e32 v12, s30, v17
	v_ashrrev_i32_e32 v13, 31, v12
	v_cmp_ne_u64_e32 vcc, v[4:5], v[12:13]
	s_and_saveexec_b64 s[38:39], vcc
	s_cbranch_execz .LBB16_104
; %bb.95:
	s_load_dwordx2 s[2:3], s[18:19], 0x0
	s_waitcnt lgkmcnt(0)
	s_sub_u32 s2, s2, s30
	s_subb_u32 s3, s3, 0
	v_cmp_gt_i64_e32 vcc, s[2:3], v[2:3]
	s_and_b64 exec, exec, vcc
	s_cbranch_execz .LBB16_104
; %bb.96:
	v_cmp_gt_i64_e32 vcc, s[8:9], v[12:13]
	v_cmp_le_i64_e64 s[2:3], s[26:27], v[12:13]
	v_lshlrev_b64 v[2:3], 3, v[4:5]
	s_or_b64 s[2:3], vcc, s[2:3]
	s_and_saveexec_b64 s[40:41], s[2:3]
	s_xor_b64 s[2:3], exec, s[40:41]
	s_cbranch_execz .LBB16_100
; %bb.97:
	v_mov_b32_e32 v4, s23
	v_add_co_u32_e32 v2, vcc, s22, v2
	v_addc_co_u32_e32 v3, vcc, v4, v3, vcc
	global_load_dwordx2 v[2:3], v[2:3], off
	v_lshlrev_b64 v[4:5], 3, v[12:13]
	v_mov_b32_e32 v15, s15
	v_add_co_u32_e32 v14, vcc, s14, v4
	v_addc_co_u32_e32 v15, vcc, v15, v5, vcc
	global_load_dwordx2 v[4:5], v[14:15], off
	ds_read_b64 v[16:17], v18 offset:2048
	s_mov_b64 s[40:41], 0
	s_waitcnt vmcnt(1) lgkmcnt(0)
	v_mul_f64 v[16:17], v[16:17], v[2:3]
.LBB16_98:                              ; =>This Inner Loop Header: Depth=1
	s_waitcnt vmcnt(0)
	v_add_f64 v[2:3], v[4:5], v[16:17]
	global_atomic_cmpswap_x2 v[2:3], v[14:15], v[2:5], off glc
	s_waitcnt vmcnt(0)
	v_cmp_eq_u64_e32 vcc, v[2:3], v[4:5]
	v_mov_b32_e32 v5, v3
	s_or_b64 s[40:41], vcc, s[40:41]
	v_mov_b32_e32 v4, v2
	s_andn2_b64 exec, exec, s[40:41]
	s_cbranch_execnz .LBB16_98
; %bb.99:
	s_or_b64 exec, exec, s[40:41]
                                        ; implicit-def: $vgpr2_vgpr3
.LBB16_100:
	s_andn2_saveexec_b64 s[2:3], s[2:3]
	s_cbranch_execz .LBB16_104
; %bb.101:
	v_mov_b32_e32 v4, s23
	v_add_co_u32_e32 v2, vcc, s22, v2
	v_addc_co_u32_e32 v3, vcc, v4, v3, vcc
	global_load_dwordx2 v[2:3], v[2:3], off
	ds_read_b64 v[4:5], v18 offset:2048
	v_subrev_u32_e32 v14, s8, v12
	s_mov_b64 s[2:3], 0
	s_waitcnt vmcnt(0) lgkmcnt(0)
	v_mul_f64 v[2:3], v[4:5], v[2:3]
	v_mov_b32_e32 v4, 0x2000
	v_lshl_add_u32 v14, v14, 3, v4
	ds_read_b64 v[4:5], v14
.LBB16_102:                             ; =>This Inner Loop Header: Depth=1
	s_waitcnt lgkmcnt(0)
	v_add_f64 v[15:16], v[4:5], v[2:3]
	ds_cmpst_rtn_b64 v[15:16], v14, v[4:5], v[15:16]
	s_waitcnt lgkmcnt(0)
	v_cmp_eq_u64_e32 vcc, v[15:16], v[4:5]
	v_mov_b32_e32 v4, v15
	s_or_b64 s[2:3], vcc, s[2:3]
	v_mov_b32_e32 v5, v16
	s_andn2_b64 exec, exec, s[2:3]
	s_cbranch_execnz .LBB16_102
; %bb.103:
	s_or_b64 exec, exec, s[2:3]
.LBB16_104:
	s_or_b64 exec, exec, s[38:39]
	v_lshlrev_b64 v[2:3], 3, v[12:13]
	v_mov_b32_e32 v4, s23
	v_add_co_u32_e32 v2, vcc, s22, v2
	v_addc_co_u32_e32 v3, vcc, v4, v3, vcc
	global_load_dwordx2 v[2:3], v[2:3], off
	ds_read_b64 v[4:5], v18 offset:2048
	s_waitcnt vmcnt(0) lgkmcnt(0)
	v_mul_f64 v[12:13], v[2:3], v[4:5]
	v_add_co_u32_e32 v2, vcc, 0x200, v6
	v_mov_b32_e32 v4, s24
	v_addc_co_u32_e32 v3, vcc, 0, v7, vcc
	v_mov_b32_e32 v5, s25
	s_and_b64 vcc, exec, s[0:1]
	ds_write_b64 v18, v[12:13] offset:2048
	v_mov_b32_e32 v12, s20
	v_mov_b32_e32 v13, s21
	s_cbranch_vccnz .LBB16_108
; %bb.105:
	v_mov_b32_e32 v4, s24
	v_mov_b32_e32 v12, s20
	s_mov_b64 s[38:39], 0
	v_mov_b32_e32 v5, s25
	v_mov_b32_e32 v13, s21
	;; [unrolled: 1-line block ×3, first 2 shown]
.LBB16_106:                             ; =>This Inner Loop Header: Depth=1
	v_add_co_u32_e32 v7, vcc, v12, v4
	v_addc_co_u32_e32 v15, vcc, v13, v5, vcc
	v_lshrrev_b32_e32 v14, 31, v15
	v_add_co_u32_e32 v14, vcc, v7, v14
	v_addc_co_u32_e32 v15, vcc, 0, v15, vcc
	v_ashrrev_i64 v[14:15], 1, v[14:15]
	v_lshlrev_b64 v[16:17], 3, v[14:15]
	v_add_co_u32_e32 v16, vcc, s16, v16
	v_addc_co_u32_e32 v17, vcc, v6, v17, vcc
	global_load_dwordx2 v[16:17], v[16:17], off
	s_waitcnt vmcnt(0)
	v_subrev_co_u32_e32 v16, vcc, s30, v16
	v_subbrev_co_u32_e32 v17, vcc, 0, v17, vcc
	v_cmp_lt_i64_e32 vcc, v[2:3], v[16:17]
	v_cndmask_b32_e32 v12, v12, v14, vcc
	v_cndmask_b32_e32 v13, v13, v15, vcc
	v_cndmask_b32_e32 v4, v14, v4, vcc
	v_add_co_u32_e64 v14, s[2:3], -1, v12
	v_cndmask_b32_e32 v5, v15, v5, vcc
	v_addc_co_u32_e64 v15, s[2:3], -1, v13, s[2:3]
	v_cmp_ge_i64_e32 vcc, v[4:5], v[12:13]
	v_cmp_eq_u64_e64 s[2:3], v[4:5], v[14:15]
	s_or_b64 s[2:3], vcc, s[2:3]
	s_and_b64 s[2:3], exec, s[2:3]
	s_or_b64 s[38:39], s[2:3], s[38:39]
	s_andn2_b64 exec, exec, s[38:39]
	s_cbranch_execnz .LBB16_106
; %bb.107:
	s_or_b64 exec, exec, s[38:39]
.LBB16_108:
	v_lshlrev_b64 v[6:7], 3, v[12:13]
	v_mov_b32_e32 v14, s17
	v_add_co_u32_e32 v6, vcc, s16, v6
	v_addc_co_u32_e32 v7, vcc, v14, v7, vcc
	global_load_dwordx2 v[14:15], v[6:7], off
	global_load_dword v16, v[10:11], off offset:2048
	s_waitcnt vmcnt(1)
	v_subrev_co_u32_e32 v14, vcc, s30, v14
	v_subbrev_co_u32_e32 v15, vcc, 0, v15, vcc
	v_cmp_lt_i64_e32 vcc, v[2:3], v[14:15]
	s_waitcnt vmcnt(0)
	v_subrev_u32_e32 v6, s30, v16
	v_cndmask_b32_e32 v5, v13, v5, vcc
	v_cndmask_b32_e32 v4, v12, v4, vcc
	v_ashrrev_i32_e32 v7, 31, v6
	v_cmp_ne_u64_e32 vcc, v[4:5], v[6:7]
	s_and_saveexec_b64 s[38:39], vcc
	s_cbranch_execz .LBB16_118
; %bb.109:
	s_load_dwordx2 s[2:3], s[18:19], 0x0
	s_waitcnt lgkmcnt(0)
	s_sub_u32 s2, s2, s30
	s_subb_u32 s3, s3, 0
	v_cmp_gt_i64_e32 vcc, s[2:3], v[2:3]
	s_and_b64 exec, exec, vcc
	s_cbranch_execz .LBB16_118
; %bb.110:
	v_cmp_gt_i64_e32 vcc, s[8:9], v[6:7]
	v_cmp_le_i64_e64 s[2:3], s[26:27], v[6:7]
	v_lshlrev_b64 v[2:3], 3, v[4:5]
	s_or_b64 s[2:3], vcc, s[2:3]
	s_and_saveexec_b64 s[40:41], s[2:3]
	s_xor_b64 s[2:3], exec, s[40:41]
	s_cbranch_execz .LBB16_114
; %bb.111:
	v_mov_b32_e32 v4, s23
	v_add_co_u32_e32 v2, vcc, s22, v2
	v_addc_co_u32_e32 v3, vcc, v4, v3, vcc
	global_load_dwordx2 v[2:3], v[2:3], off
	v_lshlrev_b64 v[4:5], 3, v[6:7]
	v_mov_b32_e32 v13, s15
	v_add_co_u32_e32 v12, vcc, s14, v4
	v_addc_co_u32_e32 v13, vcc, v13, v5, vcc
	global_load_dwordx2 v[4:5], v[12:13], off
	ds_read_b64 v[14:15], v18 offset:4096
	s_mov_b64 s[40:41], 0
	s_waitcnt vmcnt(1) lgkmcnt(0)
	v_mul_f64 v[14:15], v[14:15], v[2:3]
.LBB16_112:                             ; =>This Inner Loop Header: Depth=1
	s_waitcnt vmcnt(0)
	v_add_f64 v[2:3], v[4:5], v[14:15]
	global_atomic_cmpswap_x2 v[2:3], v[12:13], v[2:5], off glc
	s_waitcnt vmcnt(0)
	v_cmp_eq_u64_e32 vcc, v[2:3], v[4:5]
	v_mov_b32_e32 v5, v3
	s_or_b64 s[40:41], vcc, s[40:41]
	v_mov_b32_e32 v4, v2
	s_andn2_b64 exec, exec, s[40:41]
	s_cbranch_execnz .LBB16_112
; %bb.113:
	s_or_b64 exec, exec, s[40:41]
                                        ; implicit-def: $vgpr2_vgpr3
.LBB16_114:
	s_andn2_saveexec_b64 s[2:3], s[2:3]
	s_cbranch_execz .LBB16_118
; %bb.115:
	v_mov_b32_e32 v4, s23
	v_add_co_u32_e32 v2, vcc, s22, v2
	v_addc_co_u32_e32 v3, vcc, v4, v3, vcc
	global_load_dwordx2 v[2:3], v[2:3], off
	ds_read_b64 v[4:5], v18 offset:4096
	v_subrev_u32_e32 v12, s8, v6
	s_mov_b64 s[2:3], 0
	s_waitcnt vmcnt(0) lgkmcnt(0)
	v_mul_f64 v[2:3], v[4:5], v[2:3]
	v_mov_b32_e32 v4, 0x2000
	v_lshl_add_u32 v12, v12, 3, v4
	ds_read_b64 v[4:5], v12
.LBB16_116:                             ; =>This Inner Loop Header: Depth=1
	s_waitcnt lgkmcnt(0)
	v_add_f64 v[13:14], v[4:5], v[2:3]
	ds_cmpst_rtn_b64 v[13:14], v12, v[4:5], v[13:14]
	s_waitcnt lgkmcnt(0)
	v_cmp_eq_u64_e32 vcc, v[13:14], v[4:5]
	v_mov_b32_e32 v4, v13
	s_or_b64 s[2:3], vcc, s[2:3]
	v_mov_b32_e32 v5, v14
	s_andn2_b64 exec, exec, s[2:3]
	s_cbranch_execnz .LBB16_116
; %bb.117:
	s_or_b64 exec, exec, s[2:3]
.LBB16_118:
	s_or_b64 exec, exec, s[38:39]
	v_lshlrev_b64 v[2:3], 3, v[6:7]
	v_mov_b32_e32 v4, s23
	v_add_co_u32_e32 v2, vcc, s22, v2
	v_addc_co_u32_e32 v3, vcc, v4, v3, vcc
	global_load_dwordx2 v[2:3], v[2:3], off
	ds_read_b64 v[4:5], v18 offset:4096
	s_and_b64 vcc, exec, s[0:1]
	s_waitcnt vmcnt(0) lgkmcnt(0)
	v_mul_f64 v[4:5], v[2:3], v[4:5]
	v_mov_b32_e32 v2, s24
	v_mov_b32_e32 v3, s25
	ds_write_b64 v18, v[4:5] offset:4096
	v_mov_b32_e32 v4, s20
	v_mov_b32_e32 v5, s21
	s_cbranch_vccnz .LBB16_122
; %bb.119:
	v_mov_b32_e32 v2, s24
	v_mov_b32_e32 v4, s20
	s_mov_b64 s[2:3], 0
	v_mov_b32_e32 v3, s25
	v_mov_b32_e32 v5, s21
	;; [unrolled: 1-line block ×3, first 2 shown]
.LBB16_120:                             ; =>This Inner Loop Header: Depth=1
	v_add_co_u32_e32 v7, vcc, v4, v2
	v_addc_co_u32_e32 v13, vcc, v5, v3, vcc
	v_lshrrev_b32_e32 v12, 31, v13
	v_add_co_u32_e32 v12, vcc, v7, v12
	v_addc_co_u32_e32 v13, vcc, 0, v13, vcc
	v_ashrrev_i64 v[12:13], 1, v[12:13]
	v_lshlrev_b64 v[14:15], 3, v[12:13]
	v_add_co_u32_e32 v14, vcc, s16, v14
	v_addc_co_u32_e32 v15, vcc, v6, v15, vcc
	global_load_dwordx2 v[14:15], v[14:15], off
	s_waitcnt vmcnt(0)
	v_subrev_co_u32_e32 v14, vcc, s30, v14
	v_subbrev_co_u32_e32 v15, vcc, 0, v15, vcc
	v_cmp_lt_i64_e32 vcc, v[8:9], v[14:15]
	v_cndmask_b32_e32 v4, v4, v12, vcc
	v_cndmask_b32_e32 v5, v5, v13, vcc
	;; [unrolled: 1-line block ×3, first 2 shown]
	v_add_co_u32_e64 v12, s[0:1], -1, v4
	v_cndmask_b32_e32 v3, v13, v3, vcc
	v_addc_co_u32_e64 v13, s[0:1], -1, v5, s[0:1]
	v_cmp_ge_i64_e32 vcc, v[2:3], v[4:5]
	v_cmp_eq_u64_e64 s[0:1], v[2:3], v[12:13]
	s_or_b64 s[0:1], vcc, s[0:1]
	s_and_b64 s[0:1], exec, s[0:1]
	s_or_b64 s[2:3], s[0:1], s[2:3]
	s_andn2_b64 exec, exec, s[2:3]
	s_cbranch_execnz .LBB16_120
; %bb.121:
	s_or_b64 exec, exec, s[2:3]
.LBB16_122:
	v_lshlrev_b64 v[6:7], 3, v[4:5]
	v_mov_b32_e32 v12, s17
	v_add_co_u32_e32 v6, vcc, s16, v6
	v_addc_co_u32_e32 v7, vcc, v12, v7, vcc
	global_load_dword v13, v[10:11], off offset:3072
	s_nop 0
	global_load_dwordx2 v[10:11], v[6:7], off
	s_waitcnt vmcnt(1)
	v_subrev_u32_e32 v6, s30, v13
	v_ashrrev_i32_e32 v7, 31, v6
	s_waitcnt vmcnt(0)
	v_subrev_co_u32_e32 v10, vcc, s30, v10
	v_subbrev_co_u32_e32 v11, vcc, 0, v11, vcc
	v_cmp_lt_i64_e32 vcc, v[8:9], v[10:11]
	v_cndmask_b32_e32 v3, v5, v3, vcc
	v_cndmask_b32_e32 v2, v4, v2, vcc
	v_cmp_ne_u64_e32 vcc, v[2:3], v[6:7]
	s_and_saveexec_b64 s[2:3], vcc
	s_cbranch_execz .LBB16_132
; %bb.123:
	s_load_dwordx2 s[0:1], s[18:19], 0x0
	s_waitcnt lgkmcnt(0)
	s_sub_u32 s0, s0, s30
	s_subb_u32 s1, s1, 0
	v_cmp_gt_i64_e32 vcc, s[0:1], v[8:9]
	s_and_b64 exec, exec, vcc
	s_cbranch_execz .LBB16_132
; %bb.124:
	v_cmp_gt_i64_e32 vcc, s[8:9], v[6:7]
	v_cmp_le_i64_e64 s[0:1], s[26:27], v[6:7]
	v_lshlrev_b64 v[2:3], 3, v[2:3]
	s_or_b64 s[0:1], vcc, s[0:1]
	s_and_saveexec_b64 s[18:19], s[0:1]
	s_xor_b64 s[0:1], exec, s[18:19]
	s_cbranch_execz .LBB16_128
; %bb.125:
	v_mov_b32_e32 v4, s23
	v_add_co_u32_e32 v2, vcc, s22, v2
	v_addc_co_u32_e32 v3, vcc, v4, v3, vcc
	global_load_dwordx2 v[2:3], v[2:3], off
	v_lshlrev_b64 v[4:5], 3, v[6:7]
	v_mov_b32_e32 v9, s15
	v_add_co_u32_e32 v8, vcc, s14, v4
	v_addc_co_u32_e32 v9, vcc, v9, v5, vcc
	global_load_dwordx2 v[4:5], v[8:9], off
	ds_read_b64 v[10:11], v18 offset:6144
	s_mov_b64 s[18:19], 0
	s_waitcnt vmcnt(1) lgkmcnt(0)
	v_mul_f64 v[10:11], v[10:11], v[2:3]
.LBB16_126:                             ; =>This Inner Loop Header: Depth=1
	s_waitcnt vmcnt(0)
	v_add_f64 v[2:3], v[4:5], v[10:11]
	global_atomic_cmpswap_x2 v[2:3], v[8:9], v[2:5], off glc
	s_waitcnt vmcnt(0)
	v_cmp_eq_u64_e32 vcc, v[2:3], v[4:5]
	v_mov_b32_e32 v5, v3
	s_or_b64 s[18:19], vcc, s[18:19]
	v_mov_b32_e32 v4, v2
	s_andn2_b64 exec, exec, s[18:19]
	s_cbranch_execnz .LBB16_126
; %bb.127:
	s_or_b64 exec, exec, s[18:19]
                                        ; implicit-def: $vgpr2_vgpr3
.LBB16_128:
	s_andn2_saveexec_b64 s[0:1], s[0:1]
	s_cbranch_execz .LBB16_132
; %bb.129:
	v_mov_b32_e32 v4, s23
	v_add_co_u32_e32 v2, vcc, s22, v2
	v_addc_co_u32_e32 v3, vcc, v4, v3, vcc
	global_load_dwordx2 v[2:3], v[2:3], off
	ds_read_b64 v[4:5], v18 offset:6144
	v_subrev_u32_e32 v8, s8, v6
	s_mov_b64 s[0:1], 0
	s_waitcnt vmcnt(0) lgkmcnt(0)
	v_mul_f64 v[2:3], v[4:5], v[2:3]
	v_mov_b32_e32 v4, 0x2000
	v_lshl_add_u32 v8, v8, 3, v4
	ds_read_b64 v[4:5], v8
.LBB16_130:                             ; =>This Inner Loop Header: Depth=1
	s_waitcnt lgkmcnt(0)
	v_add_f64 v[9:10], v[4:5], v[2:3]
	ds_cmpst_rtn_b64 v[9:10], v8, v[4:5], v[9:10]
	s_waitcnt lgkmcnt(0)
	v_cmp_eq_u64_e32 vcc, v[9:10], v[4:5]
	v_mov_b32_e32 v4, v9
	s_or_b64 s[0:1], vcc, s[0:1]
	v_mov_b32_e32 v5, v10
	s_andn2_b64 exec, exec, s[0:1]
	s_cbranch_execnz .LBB16_130
; %bb.131:
	s_or_b64 exec, exec, s[0:1]
.LBB16_132:
	s_or_b64 exec, exec, s[2:3]
	v_lshlrev_b64 v[2:3], 3, v[6:7]
	v_mov_b32_e32 v4, s23
	v_add_co_u32_e32 v2, vcc, s22, v2
	v_addc_co_u32_e32 v3, vcc, v4, v3, vcc
	global_load_dwordx2 v[2:3], v[2:3], off
	ds_read_b64 v[4:5], v18 offset:6144
	s_waitcnt vmcnt(0) lgkmcnt(0)
	v_mul_f64 v[2:3], v[2:3], v[4:5]
	ds_write_b64 v18, v[2:3] offset:6144
.LBB16_133:
	s_or_b64 exec, exec, s[4:5]
	v_mov_b32_e32 v2, s10
	v_mov_b32_e32 v3, s11
	v_cmp_lt_i64_e32 vcc, s[26:27], v[2:3]
	s_waitcnt lgkmcnt(0)
	s_and_b64 s[0:1], vcc, exec
	s_cselect_b32 s10, s26, s10
	s_cselect_b32 s0, s27, s11
	s_sub_u32 s2, s10, s28
	s_subb_u32 s3, s0, s29
	v_cmp_gt_i64_e32 vcc, s[2:3], v[0:1]
	s_barrier
	s_and_saveexec_b64 s[0:1], vcc
	s_cbranch_execz .LBB16_138
; %bb.134:
	s_lshl_b64 s[4:5], s[8:9], 3
	s_add_u32 s11, s14, s4
	s_addc_u32 s8, s15, s5
	v_mov_b32_e32 v7, v1
	s_mov_b64 s[4:5], 0
	v_mov_b32_e32 v12, s8
	v_mov_b32_e32 v13, 0x2000
	;; [unrolled: 1-line block ×3, first 2 shown]
.LBB16_135:                             ; =>This Loop Header: Depth=1
                                        ;     Child Loop BB16_136 Depth 2
	v_lshlrev_b64 v[2:3], 3, v[6:7]
	s_mov_b64 s[8:9], 0
	v_add_co_u32_e32 v8, vcc, s11, v2
	v_addc_co_u32_e32 v9, vcc, v12, v3, vcc
	global_load_dwordx2 v[4:5], v[8:9], off
	v_lshl_add_u32 v2, v6, 3, v13
	ds_read_b64 v[10:11], v2
.LBB16_136:                             ;   Parent Loop BB16_135 Depth=1
                                        ; =>  This Inner Loop Header: Depth=2
	s_waitcnt vmcnt(0) lgkmcnt(0)
	v_add_f64 v[2:3], v[4:5], v[10:11]
	global_atomic_cmpswap_x2 v[2:3], v[8:9], v[2:5], off glc
	s_waitcnt vmcnt(0)
	v_cmp_eq_u64_e32 vcc, v[2:3], v[4:5]
	v_mov_b32_e32 v5, v3
	s_or_b64 s[8:9], vcc, s[8:9]
	v_mov_b32_e32 v4, v2
	s_andn2_b64 exec, exec, s[8:9]
	s_cbranch_execnz .LBB16_136
; %bb.137:                              ;   in Loop: Header=BB16_135 Depth=1
	s_or_b64 exec, exec, s[8:9]
	v_add_co_u32_e32 v6, vcc, 0x100, v6
	v_addc_co_u32_e32 v7, vcc, 0, v7, vcc
	v_cmp_le_i64_e32 vcc, s[2:3], v[6:7]
	s_or_b64 s[4:5], vcc, s[4:5]
	s_andn2_b64 exec, exec, s[4:5]
	s_cbranch_execnz .LBB16_135
.LBB16_138:
	s_or_b64 exec, exec, s[0:1]
	s_add_i32 s0, s36, -1
	s_ashr_i32 s1, s0, 1
	s_or_b32 s0, s1, s0
	s_ashr_i32 s1, s0, 2
	s_or_b32 s0, s1, s0
	;; [unrolled: 2-line block ×5, first 2 shown]
	s_add_i32 s0, s0, 1
	s_ashr_i32 s3, s0, 1
	v_mov_b32_e32 v2, s25
	v_add_co_u32_e32 v6, vcc, s24, v0
	v_addc_co_u32_e32 v7, vcc, 0, v2, vcc
	s_cmp_gt_i32 s3, 1
	s_mov_b64 s[0:1], -1
	s_barrier
	s_cbranch_scc1 .LBB16_149
; %bb.139:
	v_cmp_gt_i64_e32 vcc, s[26:27], v[6:7]
	s_and_saveexec_b64 s[0:1], vcc
	s_cbranch_execz .LBB16_148
; %bb.140:
	s_sub_i32 s4, s10, s26
	s_lshl_b32 s4, s4, 3
	s_add_i32 s13, s4, 0x2000
	s_lshl_b32 s4, s6, 3
	v_mov_b32_e32 v9, v7
	s_sub_i32 s18, 0, s4
	s_mov_b64 s[4:5], 0
	v_mov_b32_e32 v16, s17
	v_mov_b32_e32 v17, s15
	;; [unrolled: 1-line block ×3, first 2 shown]
.LBB16_141:                             ; =>This Loop Header: Depth=1
                                        ;     Child Loop BB16_143 Depth 2
                                        ;     Child Loop BB16_146 Depth 2
	v_lshlrev_b64 v[10:11], 3, v[8:9]
	v_mov_b32_e32 v12, 0
	v_add_co_u32_e32 v2, vcc, s16, v10
	v_addc_co_u32_e32 v3, vcc, v16, v11, vcc
	global_load_dwordx4 v[2:5], v[2:3], off
	v_mov_b32_e32 v13, 0
	s_waitcnt vmcnt(0)
	v_cmp_lt_i64_e32 vcc, v[2:3], v[4:5]
	s_and_saveexec_b64 s[8:9], vcc
	s_cbranch_execz .LBB16_145
; %bb.142:                              ;   in Loop: Header=BB16_141 Depth=1
	v_mov_b32_e32 v12, s7
	v_subrev_co_u32_e32 v4, vcc, s6, v4
	v_subb_co_u32_e32 v5, vcc, v5, v12, vcc
	v_subrev_co_u32_e32 v14, vcc, s6, v2
	v_subb_co_u32_e32 v15, vcc, v3, v12, vcc
	v_mov_b32_e32 v12, 0
	v_lshl_add_u32 v2, v2, 3, s18
	v_mov_b32_e32 v13, 0
	s_mov_b64 s[10:11], 0
.LBB16_143:                             ;   Parent Loop BB16_141 Depth=1
                                        ; =>  This Inner Loop Header: Depth=2
	ds_read_b64 v[19:20], v2
	v_add_co_u32_e32 v14, vcc, 1, v14
	v_addc_co_u32_e32 v15, vcc, 0, v15, vcc
	s_waitcnt lgkmcnt(0)
	v_add_f64 v[12:13], v[12:13], v[19:20]
	v_cmp_ge_i64_e32 vcc, v[14:15], v[4:5]
	v_add_u32_e32 v2, 8, v2
	s_or_b64 s[10:11], vcc, s[10:11]
	s_andn2_b64 exec, exec, s[10:11]
	s_cbranch_execnz .LBB16_143
; %bb.144:                              ;   in Loop: Header=BB16_141 Depth=1
	s_or_b64 exec, exec, s[10:11]
.LBB16_145:                             ;   in Loop: Header=BB16_141 Depth=1
	s_or_b64 exec, exec, s[8:9]
	v_add_co_u32_e32 v10, vcc, s14, v10
	v_addc_co_u32_e32 v11, vcc, v17, v11, vcc
	global_load_dwordx2 v[4:5], v[10:11], off
	v_lshl_add_u32 v2, v8, 3, s13
	ds_read_b64 v[2:3], v2
	s_mov_b64 s[8:9], 0
	s_waitcnt lgkmcnt(0)
	v_add_f64 v[12:13], v[12:13], v[2:3]
.LBB16_146:                             ;   Parent Loop BB16_141 Depth=1
                                        ; =>  This Inner Loop Header: Depth=2
	s_waitcnt vmcnt(0)
	v_add_f64 v[2:3], v[4:5], v[12:13]
	global_atomic_cmpswap_x2 v[2:3], v[10:11], v[2:5], off glc
	s_waitcnt vmcnt(0)
	v_cmp_eq_u64_e32 vcc, v[2:3], v[4:5]
	v_mov_b32_e32 v5, v3
	s_or_b64 s[8:9], vcc, s[8:9]
	v_mov_b32_e32 v4, v2
	s_andn2_b64 exec, exec, s[8:9]
	s_cbranch_execnz .LBB16_146
; %bb.147:                              ;   in Loop: Header=BB16_141 Depth=1
	s_or_b64 exec, exec, s[8:9]
	v_add_co_u32_e32 v8, vcc, s12, v8
	v_addc_co_u32_e32 v9, vcc, 0, v9, vcc
	v_cmp_le_i64_e32 vcc, s[26:27], v[8:9]
	s_or_b64 s[4:5], vcc, s[4:5]
	s_andn2_b64 exec, exec, s[4:5]
	s_cbranch_execnz .LBB16_141
.LBB16_148:
	s_or_b64 exec, exec, s[0:1]
	s_mov_b64 s[0:1], 0
.LBB16_149:
	s_andn2_b64 vcc, exec, s[0:1]
	s_cbranch_vccnz .LBB16_167
; %bb.150:
	v_cvt_f32_u32_e32 v2, s3
	s_sub_i32 s8, 0, s3
	v_mov_b32_e32 v5, 0
	v_mov_b32_e32 v8, s35
	v_rcp_iflag_f32_e32 v2, v2
	v_mov_b32_e32 v12, s7
	v_mul_f32_e32 v2, 0x4f7ffffe, v2
	v_cvt_u32_f32_e32 v2, v2
	v_mul_lo_u32 v3, s8, v2
	v_mul_hi_u32 v3, v2, v3
	v_add_u32_e32 v2, v2, v3
	v_mul_hi_u32 v2, v0, v2
	v_mul_lo_u32 v3, v2, s3
	v_add_u32_e32 v4, 1, v2
	v_sub_u32_e32 v3, v0, v3
	v_cmp_le_u32_e32 vcc, s3, v3
	v_cndmask_b32_e32 v2, v2, v4, vcc
	v_subrev_u32_e32 v4, s3, v3
	v_cndmask_b32_e32 v3, v3, v4, vcc
	v_add_u32_e32 v4, 1, v2
	v_cmp_le_u32_e32 vcc, s3, v3
	v_cndmask_b32_e32 v4, v2, v4, vcc
	v_lshlrev_b64 v[2:3], 3, v[4:5]
	v_add_co_u32_e32 v2, vcc, s34, v2
	v_addc_co_u32_e32 v3, vcc, v8, v3, vcc
	global_load_dwordx4 v[8:11], v[2:3], off
	v_mov_b32_e32 v3, s7
	s_waitcnt vmcnt(0)
	v_subrev_co_u32_e32 v2, vcc, s6, v8
	v_subb_co_u32_e32 v3, vcc, v9, v3, vcc
	v_subrev_co_u32_e32 v13, vcc, s6, v10
	v_subb_co_u32_e32 v14, vcc, v11, v12, vcc
	v_sub_co_u32_e32 v11, vcc, v13, v2
	v_subb_co_u32_e32 v10, vcc, v14, v3, vcc
	v_mov_b32_e32 v9, v5
	v_cmp_ne_u64_e32 vcc, 0, v[9:10]
                                        ; implicit-def: $vgpr8_vgpr9
	s_and_saveexec_b64 s[0:1], vcc
	s_xor_b64 s[4:5], exec, s[0:1]
	s_cbranch_execz .LBB16_152
; %bb.151:
	s_add_u32 s0, s3, 0
	s_addc_u32 s1, 0, 0
	s_xor_b64 s[6:7], s[0:1], 0
	v_cvt_f32_u32_e32 v8, s6
	v_cvt_f32_u32_e32 v9, s7
	s_sub_u32 s9, 0, s6
	s_subb_u32 s10, 0, s7
	v_ashrrev_i32_e32 v12, 31, v10
	v_madmk_f32 v8, v9, 0x4f800000, v8
	v_rcp_f32_e32 v8, v8
	v_mul_f32_e32 v8, 0x5f7ffffc, v8
	v_mul_f32_e32 v9, 0x2f800000, v8
	v_trunc_f32_e32 v9, v9
	v_madmk_f32 v8, v9, 0xcf800000, v8
	v_cvt_u32_f32_e32 v9, v9
	v_cvt_u32_f32_e32 v8, v8
	v_readfirstlane_b32 s11, v9
	v_readfirstlane_b32 s0, v8
	s_mul_i32 s1, s9, s11
	s_mul_hi_u32 s13, s9, s0
	s_mul_i32 s12, s10, s0
	s_add_i32 s1, s13, s1
	s_mul_i32 s16, s9, s0
	s_add_i32 s1, s1, s12
	s_mul_i32 s13, s0, s1
	s_mul_hi_u32 s17, s0, s16
	s_mul_hi_u32 s12, s0, s1
	s_add_u32 s13, s17, s13
	s_addc_u32 s12, 0, s12
	s_mul_hi_u32 s18, s11, s16
	s_mul_i32 s16, s11, s16
	s_add_u32 s13, s13, s16
	s_mul_hi_u32 s17, s11, s1
	s_addc_u32 s12, s12, s18
	s_addc_u32 s13, s17, 0
	s_mul_i32 s1, s11, s1
	s_add_u32 s1, s12, s1
	s_addc_u32 s12, 0, s13
	s_add_u32 s13, s0, s1
	s_cselect_b64 s[0:1], -1, 0
	s_cmp_lg_u64 s[0:1], 0
	s_addc_u32 s11, s11, s12
	s_mul_i32 s0, s9, s11
	s_mul_hi_u32 s1, s9, s13
	s_add_i32 s0, s1, s0
	s_mul_i32 s10, s10, s13
	s_add_i32 s0, s0, s10
	s_mul_i32 s9, s9, s13
	s_mul_hi_u32 s10, s11, s9
	s_mul_i32 s12, s11, s9
	s_mul_i32 s17, s13, s0
	s_mul_hi_u32 s9, s13, s9
	s_mul_hi_u32 s16, s13, s0
	s_add_u32 s9, s9, s17
	s_addc_u32 s16, 0, s16
	s_add_u32 s9, s9, s12
	s_mul_hi_u32 s1, s11, s0
	s_addc_u32 s9, s16, s10
	s_addc_u32 s1, s1, 0
	s_mul_i32 s0, s11, s0
	s_add_u32 s0, s9, s0
	s_addc_u32 s9, 0, s1
	s_add_u32 s10, s13, s0
	s_cselect_b64 s[0:1], -1, 0
	s_cmp_lg_u64 s[0:1], 0
	v_add_co_u32_e32 v8, vcc, v11, v12
	s_addc_u32 s9, s11, s9
	v_xor_b32_e32 v15, v8, v12
	v_mad_u64_u32 v[8:9], s[0:1], v15, s9, 0
	v_mul_hi_u32 v11, v15, s10
	v_addc_co_u32_e32 v10, vcc, v10, v12, vcc
	v_xor_b32_e32 v16, v10, v12
	v_add_co_u32_e32 v17, vcc, v11, v8
	v_addc_co_u32_e32 v19, vcc, 0, v9, vcc
	v_mad_u64_u32 v[8:9], s[0:1], v16, s10, 0
	v_mad_u64_u32 v[10:11], s[0:1], v16, s9, 0
	v_add_co_u32_e32 v8, vcc, v17, v8
	v_addc_co_u32_e32 v8, vcc, v19, v9, vcc
	v_addc_co_u32_e32 v9, vcc, 0, v11, vcc
	v_add_co_u32_e32 v10, vcc, v8, v10
	v_addc_co_u32_e32 v11, vcc, 0, v9, vcc
	v_mul_lo_u32 v17, s7, v10
	v_mul_lo_u32 v19, s6, v11
	v_mad_u64_u32 v[8:9], s[0:1], s6, v10, 0
	v_add3_u32 v9, v9, v19, v17
	v_sub_u32_e32 v17, v16, v9
	v_mov_b32_e32 v19, s7
	v_sub_co_u32_e32 v8, vcc, v15, v8
	v_subb_co_u32_e64 v15, s[0:1], v17, v19, vcc
	v_subrev_co_u32_e64 v17, s[0:1], s6, v8
	v_subbrev_co_u32_e64 v15, s[0:1], 0, v15, s[0:1]
	v_cmp_le_u32_e64 s[0:1], s7, v15
	v_cndmask_b32_e64 v19, 0, -1, s[0:1]
	v_cmp_le_u32_e64 s[0:1], s6, v17
	v_cndmask_b32_e64 v17, 0, -1, s[0:1]
	v_cmp_eq_u32_e64 s[0:1], s7, v15
	v_cndmask_b32_e64 v15, v19, v17, s[0:1]
	v_add_co_u32_e64 v17, s[0:1], 2, v10
	v_subb_co_u32_e32 v9, vcc, v16, v9, vcc
	v_addc_co_u32_e64 v19, s[0:1], 0, v11, s[0:1]
	v_cmp_le_u32_e32 vcc, s7, v9
	v_add_co_u32_e64 v20, s[0:1], 1, v10
	v_cndmask_b32_e64 v16, 0, -1, vcc
	v_cmp_le_u32_e32 vcc, s6, v8
	v_addc_co_u32_e64 v21, s[0:1], 0, v11, s[0:1]
	v_cndmask_b32_e64 v8, 0, -1, vcc
	v_cmp_eq_u32_e32 vcc, s7, v9
	v_cmp_ne_u32_e64 s[0:1], 0, v15
	v_cndmask_b32_e32 v8, v16, v8, vcc
	v_cndmask_b32_e64 v15, v21, v19, s[0:1]
	v_cmp_ne_u32_e32 vcc, 0, v8
	v_cndmask_b32_e64 v9, v20, v17, s[0:1]
	v_cndmask_b32_e32 v8, v11, v15, vcc
	v_cndmask_b32_e32 v9, v10, v9, vcc
	v_xor_b32_e32 v10, v8, v12
	v_xor_b32_e32 v8, v9, v12
	v_sub_co_u32_e32 v8, vcc, v8, v12
	v_subb_co_u32_e32 v9, vcc, v10, v12, vcc
                                        ; implicit-def: $vgpr11
.LBB16_152:
	s_andn2_saveexec_b64 s[0:1], s[4:5]
	s_cbranch_execz .LBB16_154
; %bb.153:
	v_cvt_f32_u32_e32 v8, s3
	v_rcp_iflag_f32_e32 v8, v8
	v_mul_f32_e32 v8, 0x4f7ffffe, v8
	v_cvt_u32_f32_e32 v8, v8
	v_mul_lo_u32 v9, s8, v8
	v_mul_hi_u32 v9, v8, v9
	v_add_u32_e32 v8, v8, v9
	v_mul_hi_u32 v8, v11, v8
	v_mul_lo_u32 v9, v8, s3
	v_add_u32_e32 v10, 1, v8
	v_sub_u32_e32 v9, v11, v9
	v_subrev_u32_e32 v11, s3, v9
	v_cmp_le_u32_e32 vcc, s3, v9
	v_cndmask_b32_e32 v9, v9, v11, vcc
	v_cndmask_b32_e32 v8, v8, v10, vcc
	v_add_u32_e32 v10, 1, v8
	v_cmp_le_u32_e32 vcc, s3, v9
	v_cndmask_b32_e32 v8, v8, v10, vcc
	v_mov_b32_e32 v9, 0
.LBB16_154:
	s_or_b64 exec, exec, s[0:1]
	v_cmp_gt_i64_e32 vcc, s[28:29], v[4:5]
	v_mov_b32_e32 v4, 0
	v_mov_b32_e32 v5, 0
	s_and_saveexec_b64 s[0:1], vcc
	s_cbranch_execz .LBB16_162
; %bb.155:
	s_add_i32 s4, s3, -1
	v_and_b32_e32 v10, s4, v0
	v_cmp_lt_i64_e32 vcc, 0, v[8:9]
	v_mov_b32_e32 v4, 0
	s_mov_b64 s[4:5], 0
	v_mov_b32_e32 v5, 0
	v_lshlrev_b32_e32 v15, 3, v10
	s_and_saveexec_b64 s[6:7], vcc
	s_cbranch_execz .LBB16_159
; %bb.156:
	v_mov_b32_e32 v4, 0
	v_mov_b32_e32 v12, v9
	v_lshl_add_u32 v16, v2, 3, v15
	s_lshl_b32 s8, s3, 3
	v_mov_b32_e32 v5, 0
	v_mov_b32_e32 v11, v8
.LBB16_157:                             ; =>This Inner Loop Header: Depth=1
	ds_read_b64 v[19:20], v16
	v_add_co_u32_e32 v11, vcc, -1, v11
	v_addc_co_u32_e32 v12, vcc, -1, v12, vcc
	s_waitcnt lgkmcnt(0)
	v_add_f64 v[4:5], v[4:5], v[19:20]
	v_cmp_eq_u64_e32 vcc, 0, v[11:12]
	v_add_u32_e32 v16, s8, v16
	s_or_b64 s[4:5], vcc, s[4:5]
	s_andn2_b64 exec, exec, s[4:5]
	s_cbranch_execnz .LBB16_157
; %bb.158:
	s_or_b64 exec, exec, s[4:5]
.LBB16_159:
	s_or_b64 exec, exec, s[6:7]
	v_mad_u64_u32 v[2:3], s[4:5], v8, s3, v[2:3]
	v_mov_b32_e32 v11, 0
	v_mad_u64_u32 v[8:9], s[4:5], v9, s3, v[3:4]
	v_sub_co_u32_e32 v12, vcc, v13, v2
	v_subb_co_u32_e32 v13, vcc, v14, v8, vcc
	v_cmp_gt_i64_e32 vcc, v[12:13], v[10:11]
	s_and_saveexec_b64 s[4:5], vcc
	s_cbranch_execz .LBB16_161
; %bb.160:
	v_lshl_add_u32 v2, v2, 3, v15
	ds_read_b64 v[2:3], v2
	s_waitcnt lgkmcnt(0)
	v_add_f64 v[4:5], v[4:5], v[2:3]
.LBB16_161:
	s_or_b64 exec, exec, s[4:5]
.LBB16_162:
	s_or_b64 exec, exec, s[0:1]
	v_cmp_gt_i64_e32 vcc, s[28:29], v[0:1]
	s_barrier
	ds_write_b64 v18, v[4:5]
	s_waitcnt lgkmcnt(0)
	s_barrier
	s_and_b64 exec, exec, vcc
	s_cbranch_execz .LBB16_167
; %bb.163:
	v_mul_lo_u32 v1, s3, v0
	v_mov_b32_e32 v4, 0
	v_mov_b32_e32 v5, 0
	v_lshlrev_b32_e32 v1, 3, v1
.LBB16_164:                             ; =>This Inner Loop Header: Depth=1
	ds_read_b64 v[2:3], v1
	s_add_i32 s3, s3, -1
	s_cmp_eq_u32 s3, 0
	v_add_u32_e32 v1, 8, v1
	s_waitcnt lgkmcnt(0)
	v_add_f64 v[4:5], v[4:5], v[2:3]
	s_cbranch_scc0 .LBB16_164
; %bb.165:
	v_lshlrev_b64 v[1:2], 3, v[6:7]
	v_mov_b32_e32 v3, s15
	v_add_co_u32_e32 v6, vcc, s14, v1
	v_addc_co_u32_e32 v7, vcc, v3, v2, vcc
	global_load_dwordx2 v[2:3], v[6:7], off
	s_lshl_b32 s0, s2, 3
	s_addk_i32 s0, 0x2000
	v_lshl_add_u32 v0, v0, 3, s0
	ds_read_b64 v[0:1], v0
	s_mov_b64 s[0:1], 0
	s_waitcnt lgkmcnt(0)
	v_add_f64 v[4:5], v[4:5], v[0:1]
.LBB16_166:                             ; =>This Inner Loop Header: Depth=1
	s_waitcnt vmcnt(0)
	v_add_f64 v[0:1], v[2:3], v[4:5]
	global_atomic_cmpswap_x2 v[0:1], v[6:7], v[0:3], off glc
	s_waitcnt vmcnt(0)
	v_cmp_eq_u64_e32 vcc, v[0:1], v[2:3]
	v_mov_b32_e32 v3, v1
	s_or_b64 s[0:1], vcc, s[0:1]
	v_mov_b32_e32 v2, v0
	s_andn2_b64 exec, exec, s[0:1]
	s_cbranch_execnz .LBB16_166
.LBB16_167:
	s_endpgm
	.section	.rodata,"a",@progbits
	.p2align	6, 0x0
	.amdhsa_kernel _ZN9rocsparseL27csrmvn_symm_adaptive_kernelIliddddEEvbT_S1_PKS1_NS_24const_host_device_scalarIT4_EES3_PKT0_PKT1_PKT2_S6_PT3_21rocsparse_index_base_b
		.amdhsa_group_segment_fixed_size 8192
		.amdhsa_private_segment_fixed_size 0
		.amdhsa_kernarg_size 352
		.amdhsa_user_sgpr_count 6
		.amdhsa_user_sgpr_private_segment_buffer 1
		.amdhsa_user_sgpr_dispatch_ptr 0
		.amdhsa_user_sgpr_queue_ptr 0
		.amdhsa_user_sgpr_kernarg_segment_ptr 1
		.amdhsa_user_sgpr_dispatch_id 0
		.amdhsa_user_sgpr_flat_scratch_init 0
		.amdhsa_user_sgpr_private_segment_size 0
		.amdhsa_uses_dynamic_stack 0
		.amdhsa_system_sgpr_private_segment_wavefront_offset 0
		.amdhsa_system_sgpr_workgroup_id_x 1
		.amdhsa_system_sgpr_workgroup_id_y 0
		.amdhsa_system_sgpr_workgroup_id_z 0
		.amdhsa_system_sgpr_workgroup_info 0
		.amdhsa_system_vgpr_workitem_id 0
		.amdhsa_next_free_vgpr 29
		.amdhsa_next_free_sgpr 61
		.amdhsa_reserve_vcc 1
		.amdhsa_reserve_flat_scratch 0
		.amdhsa_float_round_mode_32 0
		.amdhsa_float_round_mode_16_64 0
		.amdhsa_float_denorm_mode_32 3
		.amdhsa_float_denorm_mode_16_64 3
		.amdhsa_dx10_clamp 1
		.amdhsa_ieee_mode 1
		.amdhsa_fp16_overflow 0
		.amdhsa_exception_fp_ieee_invalid_op 0
		.amdhsa_exception_fp_denorm_src 0
		.amdhsa_exception_fp_ieee_div_zero 0
		.amdhsa_exception_fp_ieee_overflow 0
		.amdhsa_exception_fp_ieee_underflow 0
		.amdhsa_exception_fp_ieee_inexact 0
		.amdhsa_exception_int_div_zero 0
	.end_amdhsa_kernel
	.section	.text._ZN9rocsparseL27csrmvn_symm_adaptive_kernelIliddddEEvbT_S1_PKS1_NS_24const_host_device_scalarIT4_EES3_PKT0_PKT1_PKT2_S6_PT3_21rocsparse_index_base_b,"axG",@progbits,_ZN9rocsparseL27csrmvn_symm_adaptive_kernelIliddddEEvbT_S1_PKS1_NS_24const_host_device_scalarIT4_EES3_PKT0_PKT1_PKT2_S6_PT3_21rocsparse_index_base_b,comdat
.Lfunc_end16:
	.size	_ZN9rocsparseL27csrmvn_symm_adaptive_kernelIliddddEEvbT_S1_PKS1_NS_24const_host_device_scalarIT4_EES3_PKT0_PKT1_PKT2_S6_PT3_21rocsparse_index_base_b, .Lfunc_end16-_ZN9rocsparseL27csrmvn_symm_adaptive_kernelIliddddEEvbT_S1_PKS1_NS_24const_host_device_scalarIT4_EES3_PKT0_PKT1_PKT2_S6_PT3_21rocsparse_index_base_b
                                        ; -- End function
	.set _ZN9rocsparseL27csrmvn_symm_adaptive_kernelIliddddEEvbT_S1_PKS1_NS_24const_host_device_scalarIT4_EES3_PKT0_PKT1_PKT2_S6_PT3_21rocsparse_index_base_b.num_vgpr, 23
	.set _ZN9rocsparseL27csrmvn_symm_adaptive_kernelIliddddEEvbT_S1_PKS1_NS_24const_host_device_scalarIT4_EES3_PKT0_PKT1_PKT2_S6_PT3_21rocsparse_index_base_b.num_agpr, 0
	.set _ZN9rocsparseL27csrmvn_symm_adaptive_kernelIliddddEEvbT_S1_PKS1_NS_24const_host_device_scalarIT4_EES3_PKT0_PKT1_PKT2_S6_PT3_21rocsparse_index_base_b.numbered_sgpr, 52
	.set _ZN9rocsparseL27csrmvn_symm_adaptive_kernelIliddddEEvbT_S1_PKS1_NS_24const_host_device_scalarIT4_EES3_PKT0_PKT1_PKT2_S6_PT3_21rocsparse_index_base_b.num_named_barrier, 0
	.set _ZN9rocsparseL27csrmvn_symm_adaptive_kernelIliddddEEvbT_S1_PKS1_NS_24const_host_device_scalarIT4_EES3_PKT0_PKT1_PKT2_S6_PT3_21rocsparse_index_base_b.private_seg_size, 0
	.set _ZN9rocsparseL27csrmvn_symm_adaptive_kernelIliddddEEvbT_S1_PKS1_NS_24const_host_device_scalarIT4_EES3_PKT0_PKT1_PKT2_S6_PT3_21rocsparse_index_base_b.uses_vcc, 1
	.set _ZN9rocsparseL27csrmvn_symm_adaptive_kernelIliddddEEvbT_S1_PKS1_NS_24const_host_device_scalarIT4_EES3_PKT0_PKT1_PKT2_S6_PT3_21rocsparse_index_base_b.uses_flat_scratch, 0
	.set _ZN9rocsparseL27csrmvn_symm_adaptive_kernelIliddddEEvbT_S1_PKS1_NS_24const_host_device_scalarIT4_EES3_PKT0_PKT1_PKT2_S6_PT3_21rocsparse_index_base_b.has_dyn_sized_stack, 0
	.set _ZN9rocsparseL27csrmvn_symm_adaptive_kernelIliddddEEvbT_S1_PKS1_NS_24const_host_device_scalarIT4_EES3_PKT0_PKT1_PKT2_S6_PT3_21rocsparse_index_base_b.has_recursion, 0
	.set _ZN9rocsparseL27csrmvn_symm_adaptive_kernelIliddddEEvbT_S1_PKS1_NS_24const_host_device_scalarIT4_EES3_PKT0_PKT1_PKT2_S6_PT3_21rocsparse_index_base_b.has_indirect_call, 0
	.section	.AMDGPU.csdata,"",@progbits
; Kernel info:
; codeLenInByte = 8076
; TotalNumSgprs: 56
; NumVgprs: 23
; ScratchSize: 0
; MemoryBound: 0
; FloatMode: 240
; IeeeMode: 1
; LDSByteSize: 8192 bytes/workgroup (compile time only)
; SGPRBlocks: 8
; VGPRBlocks: 7
; NumSGPRsForWavesPerEU: 65
; NumVGPRsForWavesPerEU: 29
; Occupancy: 8
; WaveLimiterHint : 1
; COMPUTE_PGM_RSRC2:SCRATCH_EN: 0
; COMPUTE_PGM_RSRC2:USER_SGPR: 6
; COMPUTE_PGM_RSRC2:TRAP_HANDLER: 0
; COMPUTE_PGM_RSRC2:TGID_X_EN: 1
; COMPUTE_PGM_RSRC2:TGID_Y_EN: 0
; COMPUTE_PGM_RSRC2:TGID_Z_EN: 0
; COMPUTE_PGM_RSRC2:TIDIG_COMP_CNT: 0
	.section	.text._ZL33csrmvn_symm_large_adaptive_kernelIliddddEvbT_PKS0_N9rocsparse24const_host_device_scalarIT4_EES2_PKT0_PKT1_PKT2_S6_PT3_21rocsparse_index_base_b,"axG",@progbits,_ZL33csrmvn_symm_large_adaptive_kernelIliddddEvbT_PKS0_N9rocsparse24const_host_device_scalarIT4_EES2_PKT0_PKT1_PKT2_S6_PT3_21rocsparse_index_base_b,comdat
	.globl	_ZL33csrmvn_symm_large_adaptive_kernelIliddddEvbT_PKS0_N9rocsparse24const_host_device_scalarIT4_EES2_PKT0_PKT1_PKT2_S6_PT3_21rocsparse_index_base_b ; -- Begin function _ZL33csrmvn_symm_large_adaptive_kernelIliddddEvbT_PKS0_N9rocsparse24const_host_device_scalarIT4_EES2_PKT0_PKT1_PKT2_S6_PT3_21rocsparse_index_base_b
	.p2align	8
	.type	_ZL33csrmvn_symm_large_adaptive_kernelIliddddEvbT_PKS0_N9rocsparse24const_host_device_scalarIT4_EES2_PKT0_PKT1_PKT2_S6_PT3_21rocsparse_index_base_b,@function
_ZL33csrmvn_symm_large_adaptive_kernelIliddddEvbT_PKS0_N9rocsparse24const_host_device_scalarIT4_EES2_PKT0_PKT1_PKT2_S6_PT3_21rocsparse_index_base_b: ; @_ZL33csrmvn_symm_large_adaptive_kernelIliddddEvbT_PKS0_N9rocsparse24const_host_device_scalarIT4_EES2_PKT0_PKT1_PKT2_S6_PT3_21rocsparse_index_base_b
; %bb.0:
	s_load_dwordx2 s[10:11], s[4:5], 0x50
	s_load_dwordx2 s[8:9], s[4:5], 0x18
	;; [unrolled: 1-line block ×3, first 2 shown]
	s_waitcnt lgkmcnt(0)
	s_bitcmp1_b32 s11, 0
	s_cselect_b64 s[12:13], -1, 0
	v_mov_b32_e32 v4, s8
	s_xor_b64 s[2:3], s[12:13], -1
	s_and_b64 vcc, exec, s[12:13]
	v_mov_b32_e32 v5, s9
	s_cbranch_vccnz .LBB17_2
; %bb.1:
	v_mov_b32_e32 v1, s8
	v_mov_b32_e32 v2, s9
	flat_load_dwordx2 v[4:5], v[1:2]
.LBB17_2:
	v_mov_b32_e32 v2, s1
	s_andn2_b64 vcc, exec, s[2:3]
	v_mov_b32_e32 v1, s0
	s_cbranch_vccnz .LBB17_4
; %bb.3:
	v_mov_b32_e32 v2, s1
	v_mov_b32_e32 v1, s0
	flat_load_dwordx2 v[1:2], v[1:2]
.LBB17_4:
	s_waitcnt vmcnt(0) lgkmcnt(0)
	v_cmp_neq_f64_e32 vcc, 0, v[4:5]
	v_cmp_neq_f64_e64 s[0:1], 1.0, v[1:2]
	s_or_b64 s[0:1], vcc, s[0:1]
	s_and_saveexec_b64 s[2:3], s[0:1]
	s_cbranch_execz .LBB17_37
; %bb.5:
	s_load_dwordx2 s[0:1], s[4:5], 0x10
	s_mov_b32 s2, 0
	s_mov_b32 s3, s2
	v_mov_b32_e32 v1, s2
	s_ashr_i32 s7, s6, 31
	v_mov_b32_e32 v2, s3
	s_lshl_b64 s[2:3], s[6:7], 3
	s_waitcnt lgkmcnt(0)
	s_add_u32 s0, s0, s2
	v_lshlrev_b32_e32 v12, 3, v0
	s_addc_u32 s1, s1, s3
	ds_write2st64_b64 v12, v[1:2], v[1:2] offset1:4
	ds_write2st64_b64 v12, v[1:2], v[1:2] offset0:8 offset1:12
	s_waitcnt lgkmcnt(0)
	s_barrier
	s_load_dwordx4 s[20:23], s[0:1], 0x0
	s_load_dwordx8 s[12:19], s[4:5], 0x20
	s_load_dwordx2 s[24:25], s[4:5], 0x48
	v_subrev_co_u32_e64 v13, s[0:1], s10, v0
	s_waitcnt lgkmcnt(0)
	v_mov_b32_e32 v1, s22
	v_mov_b32_e32 v2, s23
	v_cmp_ge_i64_e32 vcc, s[20:21], v[1:2]
	v_mov_b32_e32 v15, 0
	v_subb_co_u32_e64 v14, s[0:1], 0, 0, s[0:1]
	s_cbranch_vccnz .LBB17_27
; %bb.6:
	v_mov_b32_e32 v6, s22
	v_cmp_gt_u32_e64 s[0:1], 64, v0
	v_cmp_gt_u32_e64 s[2:3], 16, v0
	;; [unrolled: 1-line block ×3, first 2 shown]
	v_cmp_eq_u32_e64 s[6:7], 0, v0
	v_mov_b32_e32 v7, s23
	s_movk_i32 s11, 0x100
	s_mov_b64 s[26:27], s[20:21]
	s_branch .LBB17_8
.LBB17_7:                               ;   in Loop: Header=BB17_8 Depth=1
	s_or_b64 exec, exec, s[8:9]
	s_add_u32 s26, s26, 1
	s_addc_u32 s27, s27, 0
	v_cmp_ge_i64_e32 vcc, s[26:27], v[6:7]
	s_cbranch_vccnz .LBB17_27
.LBB17_8:                               ; =>This Loop Header: Depth=1
                                        ;     Child Loop BB17_10 Depth 2
                                        ;     Child Loop BB17_22 Depth 2
	;; [unrolled: 1-line block ×3, first 2 shown]
	s_lshl_b64 s[28:29], s[26:27], 3
	s_add_u32 s8, s12, s28
	s_addc_u32 s9, s13, s29
	s_load_dwordx4 s[36:39], s[8:9], 0x0
	v_mov_b32_e32 v2, 0
	v_mov_b32_e32 v3, 0
	s_waitcnt lgkmcnt(0)
	s_sub_u32 s30, s38, s10
	v_mov_b32_e32 v1, s37
	v_add_co_u32_e32 v0, vcc, s36, v13
	s_subb_u32 s31, s39, 0
	v_addc_co_u32_e32 v1, vcc, v1, v14, vcc
	v_cmp_gt_i64_e32 vcc, s[30:31], v[0:1]
	s_and_saveexec_b64 s[34:35], vcc
	s_cbranch_execz .LBB17_12
; %bb.9:                                ;   in Loop: Header=BB17_8 Depth=1
	v_lshlrev_b64 v[2:3], 2, v[0:1]
	v_mov_b32_e32 v9, s15
	v_add_co_u32_e32 v8, vcc, s14, v2
	v_addc_co_u32_e32 v9, vcc, v9, v3, vcc
	v_lshlrev_b64 v[2:3], 3, v[0:1]
	v_mov_b32_e32 v11, s17
	v_add_co_u32_e32 v10, vcc, s16, v2
	v_addc_co_u32_e32 v11, vcc, v11, v3, vcc
	v_mov_b32_e32 v2, 0
	v_mov_b32_e32 v3, 0
	s_mov_b64 s[36:37], 0
.LBB17_10:                              ;   Parent Loop BB17_8 Depth=1
                                        ; =>  This Inner Loop Header: Depth=2
	global_load_dword v18, v[8:9], off
	global_load_dwordx2 v[16:17], v[10:11], off
	v_mov_b32_e32 v20, s19
	s_waitcnt vmcnt(1)
	v_subrev_u32_e32 v18, s10, v18
	v_ashrrev_i32_e32 v19, 31, v18
	v_lshlrev_b64 v[18:19], 3, v[18:19]
	v_add_co_u32_e32 v18, vcc, s18, v18
	v_addc_co_u32_e32 v19, vcc, v20, v19, vcc
	global_load_dwordx2 v[18:19], v[18:19], off
	v_add_co_u32_e32 v0, vcc, s11, v0
	v_addc_co_u32_e32 v1, vcc, 0, v1, vcc
	v_add_co_u32_e32 v8, vcc, 0x400, v8
	v_addc_co_u32_e32 v9, vcc, 0, v9, vcc
	v_cmp_le_i64_e64 s[8:9], s[30:31], v[0:1]
	v_add_co_u32_e32 v10, vcc, 0x800, v10
	s_or_b64 s[36:37], s[8:9], s[36:37]
	v_addc_co_u32_e32 v11, vcc, 0, v11, vcc
	s_waitcnt vmcnt(0)
	v_fma_f64 v[2:3], v[16:17], v[18:19], v[2:3]
	s_andn2_b64 exec, exec, s[36:37]
	s_cbranch_execnz .LBB17_10
; %bb.11:                               ;   in Loop: Header=BB17_8 Depth=1
	s_or_b64 exec, exec, s[36:37]
.LBB17_12:                              ;   in Loop: Header=BB17_8 Depth=1
	s_or_b64 exec, exec, s[34:35]
	ds_write_b64 v12, v[2:3]
	s_waitcnt lgkmcnt(0)
	s_barrier
	ds_read2st64_b64 v[0:3], v12 offset1:4
	ds_read2st64_b64 v[8:11], v12 offset0:8 offset1:12
	s_waitcnt lgkmcnt(0)
	v_add_f64 v[2:3], v[2:3], v[8:9]
	v_add_f64 v[2:3], v[2:3], v[10:11]
	;; [unrolled: 1-line block ×3, first 2 shown]
	ds_write_b64 v12, v[0:1]
	s_waitcnt lgkmcnt(0)
	s_barrier
	s_and_saveexec_b64 s[8:9], s[0:1]
	s_cbranch_execz .LBB17_14
; %bb.13:                               ;   in Loop: Header=BB17_8 Depth=1
	ds_read2st64_b64 v[0:3], v12 offset1:1
	ds_read2st64_b64 v[8:11], v12 offset0:2 offset1:3
	s_waitcnt lgkmcnt(0)
	v_add_f64 v[2:3], v[2:3], v[8:9]
	v_add_f64 v[2:3], v[2:3], v[10:11]
	;; [unrolled: 1-line block ×3, first 2 shown]
	ds_write_b64 v12, v[0:1]
.LBB17_14:                              ;   in Loop: Header=BB17_8 Depth=1
	s_or_b64 exec, exec, s[8:9]
	s_waitcnt lgkmcnt(0)
	s_barrier
	s_and_saveexec_b64 s[8:9], s[2:3]
	s_cbranch_execz .LBB17_16
; %bb.15:                               ;   in Loop: Header=BB17_8 Depth=1
	ds_read2_b64 v[0:3], v12 offset1:16
	ds_read2_b64 v[8:11], v12 offset0:32 offset1:48
	s_waitcnt lgkmcnt(0)
	v_add_f64 v[2:3], v[2:3], v[8:9]
	v_add_f64 v[2:3], v[2:3], v[10:11]
	v_add_f64 v[0:1], v[0:1], v[2:3]
	ds_write_b64 v12, v[0:1]
.LBB17_16:                              ;   in Loop: Header=BB17_8 Depth=1
	s_or_b64 exec, exec, s[8:9]
	s_waitcnt lgkmcnt(0)
	s_barrier
	s_and_saveexec_b64 s[8:9], s[4:5]
	s_cbranch_execz .LBB17_18
; %bb.17:                               ;   in Loop: Header=BB17_8 Depth=1
	ds_read2_b64 v[0:3], v12 offset1:4
	ds_read2_b64 v[8:11], v12 offset0:8 offset1:12
	s_waitcnt lgkmcnt(0)
	v_add_f64 v[2:3], v[2:3], v[8:9]
	v_add_f64 v[2:3], v[2:3], v[10:11]
	;; [unrolled: 1-line block ×3, first 2 shown]
	ds_write_b64 v12, v[0:1]
.LBB17_18:                              ;   in Loop: Header=BB17_8 Depth=1
	s_or_b64 exec, exec, s[8:9]
	s_waitcnt lgkmcnt(0)
	s_barrier
	s_and_saveexec_b64 s[8:9], s[6:7]
	s_cbranch_execz .LBB17_20
; %bb.19:                               ;   in Loop: Header=BB17_8 Depth=1
	ds_read2_b64 v[0:3], v15 offset0:1 offset1:2
	ds_read_b64 v[8:9], v12
	s_waitcnt lgkmcnt(1)
	v_add_f64 v[0:1], v[0:1], v[2:3]
	ds_read_b64 v[2:3], v15 offset:24
	s_waitcnt lgkmcnt(0)
	v_add_f64 v[0:1], v[0:1], v[2:3]
	v_add_f64 v[0:1], v[8:9], v[0:1]
	ds_write_b64 v12, v[0:1]
.LBB17_20:                              ;   in Loop: Header=BB17_8 Depth=1
	s_or_b64 exec, exec, s[8:9]
	s_waitcnt lgkmcnt(0)
	s_barrier
	s_and_saveexec_b64 s[8:9], s[6:7]
	s_cbranch_execz .LBB17_7
; %bb.21:                               ;   in Loop: Header=BB17_8 Depth=1
	ds_read_b64 v[0:1], v15
	v_mov_b32_e32 v8, 0
	s_mov_b64 s[30:31], exec
	v_bfrev_b32_e32 v9, 1
	s_waitcnt lgkmcnt(0)
	v_mul_f64 v[0:1], v[4:5], v[0:1]
.LBB17_22:                              ;   Parent Loop BB17_8 Depth=1
                                        ; =>  This Inner Loop Header: Depth=2
	s_ff1_i32_b64 s33, s[30:31]
	v_readlane_b32 s35, v1, s33
	v_readlane_b32 s34, v0, s33
	v_add_f64 v[8:9], v[8:9], s[34:35]
	s_lshl_b64 s[34:35], 1, s33
	s_andn2_b64 s[30:31], s[30:31], s[34:35]
	s_cmp_lg_u64 s[30:31], 0
	s_cbranch_scc1 .LBB17_22
; %bb.23:                               ;   in Loop: Header=BB17_8 Depth=1
	v_mbcnt_lo_u32_b32 v0, exec_lo, 0
	v_mbcnt_hi_u32_b32 v0, exec_hi, v0
	v_cmp_eq_u32_e32 vcc, 0, v0
	s_and_saveexec_b64 s[30:31], vcc
	s_xor_b64 s[30:31], exec, s[30:31]
	s_cbranch_execz .LBB17_7
; %bb.24:                               ;   in Loop: Header=BB17_8 Depth=1
	s_add_u32 s28, s24, s28
	s_addc_u32 s29, s25, s29
	global_load_dwordx2 v[2:3], v15, s[28:29]
	s_mov_b64 s[30:31], 0
.LBB17_25:                              ;   Parent Loop BB17_8 Depth=1
                                        ; =>  This Inner Loop Header: Depth=2
	s_waitcnt vmcnt(0)
	v_add_f64 v[0:1], v[2:3], v[8:9]
	global_atomic_cmpswap_x2 v[0:1], v15, v[0:3], s[28:29] glc
	s_waitcnt vmcnt(0)
	v_cmp_eq_u64_e32 vcc, v[0:1], v[2:3]
	v_mov_b32_e32 v3, v1
	s_or_b64 s[30:31], vcc, s[30:31]
	v_mov_b32_e32 v2, v0
	s_andn2_b64 exec, exec, s[30:31]
	s_cbranch_execnz .LBB17_25
; %bb.26:                               ;   in Loop: Header=BB17_8 Depth=1
	s_or_b64 exec, exec, s[30:31]
	s_branch .LBB17_7
.LBB17_27:
	s_lshl_b64 s[0:1], s[20:21], 3
	s_add_u32 s0, s12, s0
	s_addc_u32 s1, s13, s1
	s_lshl_b64 s[2:3], s[22:23], 3
	s_add_u32 s2, s12, s2
	s_addc_u32 s3, s13, s3
	s_load_dwordx2 s[6:7], s[0:1], 0x0
	s_load_dwordx2 s[4:5], s[2:3], 0x0
	s_waitcnt lgkmcnt(0)
	v_mov_b32_e32 v0, s7
	s_sub_u32 s4, s4, s10
	v_add_co_u32_e32 v6, vcc, s6, v13
	s_subb_u32 s5, s5, 0
	v_addc_co_u32_e32 v7, vcc, v0, v14, vcc
	v_cmp_gt_i64_e32 vcc, s[4:5], v[6:7]
	s_and_b64 exec, exec, vcc
	s_cbranch_execz .LBB17_37
; %bb.28:
	s_add_u32 s6, s22, -1
	s_addc_u32 s7, s23, -1
	v_mov_b32_e32 v0, s6
	s_add_u32 s0, s22, -2
	v_mov_b32_e32 v1, s7
	s_addc_u32 s1, s23, -1
	v_cmp_lt_i64_e32 vcc, s[20:21], v[0:1]
	s_cmp_lg_u64 s[20:21], s[0:1]
	s_cselect_b64 s[0:1], -1, 0
	s_and_b64 s[0:1], vcc, s[0:1]
	v_cndmask_b32_e64 v0, 0, 1, s[0:1]
	s_mov_b64 s[8:9], 0
	v_cmp_ne_u32_e64 s[0:1], 1, v0
	v_mov_b32_e32 v12, s13
	v_mov_b32_e32 v13, s15
	s_branch .LBB17_30
.LBB17_29:                              ;   in Loop: Header=BB17_30 Depth=1
	s_or_b64 exec, exec, s[2:3]
	v_add_co_u32_e32 v6, vcc, 0x100, v6
	v_addc_co_u32_e32 v7, vcc, 0, v7, vcc
	v_cmp_le_i64_e32 vcc, s[4:5], v[6:7]
	s_or_b64 s[8:9], vcc, s[8:9]
	s_andn2_b64 exec, exec, s[8:9]
	s_cbranch_execz .LBB17_37
.LBB17_30:                              ; =>This Loop Header: Depth=1
                                        ;     Child Loop BB17_32 Depth 2
                                        ;     Child Loop BB17_36 Depth 2
	v_mov_b32_e32 v0, s20
	v_mov_b32_e32 v2, s6
	s_and_b64 vcc, exec, s[0:1]
	v_mov_b32_e32 v1, s21
	v_mov_b32_e32 v3, s7
	s_cbranch_vccnz .LBB17_34
; %bb.31:                               ;   in Loop: Header=BB17_30 Depth=1
	v_mov_b32_e32 v0, s20
	v_mov_b32_e32 v2, s6
	s_mov_b64 s[22:23], 0
	v_mov_b32_e32 v1, s21
	v_mov_b32_e32 v3, s7
.LBB17_32:                              ;   Parent Loop BB17_30 Depth=1
                                        ; =>  This Inner Loop Header: Depth=2
	v_add_co_u32_e32 v8, vcc, v2, v0
	v_addc_co_u32_e32 v9, vcc, v3, v1, vcc
	v_lshrrev_b32_e32 v10, 31, v9
	v_add_co_u32_e32 v8, vcc, v8, v10
	v_addc_co_u32_e32 v9, vcc, 0, v9, vcc
	v_ashrrev_i64 v[8:9], 1, v[8:9]
	v_mov_b32_e32 v14, s13
	v_lshlrev_b64 v[10:11], 3, v[8:9]
	v_add_co_u32_e32 v10, vcc, s12, v10
	v_addc_co_u32_e32 v11, vcc, v14, v11, vcc
	global_load_dwordx2 v[10:11], v[10:11], off
	s_waitcnt vmcnt(0)
	v_subrev_co_u32_e32 v10, vcc, s10, v10
	v_subbrev_co_u32_e32 v11, vcc, 0, v11, vcc
	v_cmp_lt_i64_e32 vcc, v[6:7], v[10:11]
	v_cndmask_b32_e32 v2, v2, v8, vcc
	v_cndmask_b32_e32 v3, v3, v9, vcc
	;; [unrolled: 1-line block ×3, first 2 shown]
	v_add_co_u32_e64 v8, s[2:3], -1, v2
	v_cndmask_b32_e32 v1, v9, v1, vcc
	v_addc_co_u32_e64 v9, s[2:3], -1, v3, s[2:3]
	v_cmp_ge_i64_e32 vcc, v[0:1], v[2:3]
	v_cmp_eq_u64_e64 s[2:3], v[0:1], v[8:9]
	s_or_b64 s[2:3], vcc, s[2:3]
	s_and_b64 s[2:3], exec, s[2:3]
	s_or_b64 s[22:23], s[2:3], s[22:23]
	s_andn2_b64 exec, exec, s[22:23]
	s_cbranch_execnz .LBB17_32
; %bb.33:                               ;   in Loop: Header=BB17_30 Depth=1
	s_or_b64 exec, exec, s[22:23]
.LBB17_34:                              ;   in Loop: Header=BB17_30 Depth=1
	v_lshlrev_b64 v[8:9], 3, v[2:3]
	v_lshlrev_b64 v[10:11], 2, v[6:7]
	v_add_co_u32_e32 v8, vcc, s12, v8
	v_addc_co_u32_e32 v9, vcc, v12, v9, vcc
	global_load_dwordx2 v[8:9], v[8:9], off
	v_add_co_u32_e32 v10, vcc, s14, v10
	v_addc_co_u32_e32 v11, vcc, v13, v11, vcc
	global_load_dword v14, v[10:11], off
	s_waitcnt vmcnt(1)
	v_subrev_co_u32_e32 v10, vcc, s10, v8
	v_subbrev_co_u32_e32 v11, vcc, 0, v9, vcc
	v_cmp_lt_i64_e32 vcc, v[6:7], v[10:11]
	s_waitcnt vmcnt(0)
	v_subrev_u32_e32 v8, s10, v14
	v_cndmask_b32_e32 v1, v3, v1, vcc
	v_cndmask_b32_e32 v0, v2, v0, vcc
	v_ashrrev_i32_e32 v9, 31, v8
	v_cmp_ne_u64_e32 vcc, v[0:1], v[8:9]
	s_and_saveexec_b64 s[2:3], vcc
	s_cbranch_execz .LBB17_29
; %bb.35:                               ;   in Loop: Header=BB17_30 Depth=1
	v_lshlrev_b64 v[2:3], 3, v[6:7]
	v_mov_b32_e32 v10, s17
	v_add_co_u32_e32 v2, vcc, s16, v2
	v_addc_co_u32_e32 v3, vcc, v10, v3, vcc
	global_load_dwordx2 v[10:11], v[2:3], off
	v_lshlrev_b64 v[0:1], 3, v[0:1]
	v_mov_b32_e32 v2, s19
	v_add_co_u32_e32 v0, vcc, s18, v0
	v_addc_co_u32_e32 v1, vcc, v2, v1, vcc
	global_load_dwordx2 v[0:1], v[0:1], off
	v_lshlrev_b64 v[2:3], 3, v[8:9]
	v_mov_b32_e32 v9, s25
	v_add_co_u32_e32 v8, vcc, s24, v2
	v_addc_co_u32_e32 v9, vcc, v9, v3, vcc
	global_load_dwordx2 v[2:3], v[8:9], off
	s_mov_b64 s[22:23], 0
	s_waitcnt vmcnt(2)
	v_mul_f64 v[10:11], v[4:5], v[10:11]
	s_waitcnt vmcnt(1)
	v_mul_f64 v[10:11], v[10:11], v[0:1]
.LBB17_36:                              ;   Parent Loop BB17_30 Depth=1
                                        ; =>  This Inner Loop Header: Depth=2
	s_waitcnt vmcnt(0)
	v_add_f64 v[0:1], v[2:3], v[10:11]
	global_atomic_cmpswap_x2 v[0:1], v[8:9], v[0:3], off glc
	s_waitcnt vmcnt(0)
	v_cmp_eq_u64_e32 vcc, v[0:1], v[2:3]
	v_mov_b32_e32 v3, v1
	s_or_b64 s[22:23], vcc, s[22:23]
	v_mov_b32_e32 v2, v0
	s_andn2_b64 exec, exec, s[22:23]
	s_cbranch_execnz .LBB17_36
	s_branch .LBB17_29
.LBB17_37:
	s_endpgm
	.section	.rodata,"a",@progbits
	.p2align	6, 0x0
	.amdhsa_kernel _ZL33csrmvn_symm_large_adaptive_kernelIliddddEvbT_PKS0_N9rocsparse24const_host_device_scalarIT4_EES2_PKT0_PKT1_PKT2_S6_PT3_21rocsparse_index_base_b
		.amdhsa_group_segment_fixed_size 8192
		.amdhsa_private_segment_fixed_size 0
		.amdhsa_kernarg_size 88
		.amdhsa_user_sgpr_count 6
		.amdhsa_user_sgpr_private_segment_buffer 1
		.amdhsa_user_sgpr_dispatch_ptr 0
		.amdhsa_user_sgpr_queue_ptr 0
		.amdhsa_user_sgpr_kernarg_segment_ptr 1
		.amdhsa_user_sgpr_dispatch_id 0
		.amdhsa_user_sgpr_flat_scratch_init 0
		.amdhsa_user_sgpr_private_segment_size 0
		.amdhsa_uses_dynamic_stack 0
		.amdhsa_system_sgpr_private_segment_wavefront_offset 0
		.amdhsa_system_sgpr_workgroup_id_x 1
		.amdhsa_system_sgpr_workgroup_id_y 0
		.amdhsa_system_sgpr_workgroup_id_z 0
		.amdhsa_system_sgpr_workgroup_info 0
		.amdhsa_system_vgpr_workitem_id 0
		.amdhsa_next_free_vgpr 29
		.amdhsa_next_free_sgpr 61
		.amdhsa_reserve_vcc 1
		.amdhsa_reserve_flat_scratch 0
		.amdhsa_float_round_mode_32 0
		.amdhsa_float_round_mode_16_64 0
		.amdhsa_float_denorm_mode_32 3
		.amdhsa_float_denorm_mode_16_64 3
		.amdhsa_dx10_clamp 1
		.amdhsa_ieee_mode 1
		.amdhsa_fp16_overflow 0
		.amdhsa_exception_fp_ieee_invalid_op 0
		.amdhsa_exception_fp_denorm_src 0
		.amdhsa_exception_fp_ieee_div_zero 0
		.amdhsa_exception_fp_ieee_overflow 0
		.amdhsa_exception_fp_ieee_underflow 0
		.amdhsa_exception_fp_ieee_inexact 0
		.amdhsa_exception_int_div_zero 0
	.end_amdhsa_kernel
	.section	.text._ZL33csrmvn_symm_large_adaptive_kernelIliddddEvbT_PKS0_N9rocsparse24const_host_device_scalarIT4_EES2_PKT0_PKT1_PKT2_S6_PT3_21rocsparse_index_base_b,"axG",@progbits,_ZL33csrmvn_symm_large_adaptive_kernelIliddddEvbT_PKS0_N9rocsparse24const_host_device_scalarIT4_EES2_PKT0_PKT1_PKT2_S6_PT3_21rocsparse_index_base_b,comdat
.Lfunc_end17:
	.size	_ZL33csrmvn_symm_large_adaptive_kernelIliddddEvbT_PKS0_N9rocsparse24const_host_device_scalarIT4_EES2_PKT0_PKT1_PKT2_S6_PT3_21rocsparse_index_base_b, .Lfunc_end17-_ZL33csrmvn_symm_large_adaptive_kernelIliddddEvbT_PKS0_N9rocsparse24const_host_device_scalarIT4_EES2_PKT0_PKT1_PKT2_S6_PT3_21rocsparse_index_base_b
                                        ; -- End function
	.set _ZL33csrmvn_symm_large_adaptive_kernelIliddddEvbT_PKS0_N9rocsparse24const_host_device_scalarIT4_EES2_PKT0_PKT1_PKT2_S6_PT3_21rocsparse_index_base_b.num_vgpr, 21
	.set _ZL33csrmvn_symm_large_adaptive_kernelIliddddEvbT_PKS0_N9rocsparse24const_host_device_scalarIT4_EES2_PKT0_PKT1_PKT2_S6_PT3_21rocsparse_index_base_b.num_agpr, 0
	.set _ZL33csrmvn_symm_large_adaptive_kernelIliddddEvbT_PKS0_N9rocsparse24const_host_device_scalarIT4_EES2_PKT0_PKT1_PKT2_S6_PT3_21rocsparse_index_base_b.numbered_sgpr, 40
	.set _ZL33csrmvn_symm_large_adaptive_kernelIliddddEvbT_PKS0_N9rocsparse24const_host_device_scalarIT4_EES2_PKT0_PKT1_PKT2_S6_PT3_21rocsparse_index_base_b.num_named_barrier, 0
	.set _ZL33csrmvn_symm_large_adaptive_kernelIliddddEvbT_PKS0_N9rocsparse24const_host_device_scalarIT4_EES2_PKT0_PKT1_PKT2_S6_PT3_21rocsparse_index_base_b.private_seg_size, 0
	.set _ZL33csrmvn_symm_large_adaptive_kernelIliddddEvbT_PKS0_N9rocsparse24const_host_device_scalarIT4_EES2_PKT0_PKT1_PKT2_S6_PT3_21rocsparse_index_base_b.uses_vcc, 1
	.set _ZL33csrmvn_symm_large_adaptive_kernelIliddddEvbT_PKS0_N9rocsparse24const_host_device_scalarIT4_EES2_PKT0_PKT1_PKT2_S6_PT3_21rocsparse_index_base_b.uses_flat_scratch, 0
	.set _ZL33csrmvn_symm_large_adaptive_kernelIliddddEvbT_PKS0_N9rocsparse24const_host_device_scalarIT4_EES2_PKT0_PKT1_PKT2_S6_PT3_21rocsparse_index_base_b.has_dyn_sized_stack, 0
	.set _ZL33csrmvn_symm_large_adaptive_kernelIliddddEvbT_PKS0_N9rocsparse24const_host_device_scalarIT4_EES2_PKT0_PKT1_PKT2_S6_PT3_21rocsparse_index_base_b.has_recursion, 0
	.set _ZL33csrmvn_symm_large_adaptive_kernelIliddddEvbT_PKS0_N9rocsparse24const_host_device_scalarIT4_EES2_PKT0_PKT1_PKT2_S6_PT3_21rocsparse_index_base_b.has_indirect_call, 0
	.section	.AMDGPU.csdata,"",@progbits
; Kernel info:
; codeLenInByte = 1780
; TotalNumSgprs: 44
; NumVgprs: 21
; ScratchSize: 0
; MemoryBound: 0
; FloatMode: 240
; IeeeMode: 1
; LDSByteSize: 8192 bytes/workgroup (compile time only)
; SGPRBlocks: 8
; VGPRBlocks: 7
; NumSGPRsForWavesPerEU: 65
; NumVGPRsForWavesPerEU: 29
; Occupancy: 8
; WaveLimiterHint : 1
; COMPUTE_PGM_RSRC2:SCRATCH_EN: 0
; COMPUTE_PGM_RSRC2:USER_SGPR: 6
; COMPUTE_PGM_RSRC2:TRAP_HANDLER: 0
; COMPUTE_PGM_RSRC2:TGID_X_EN: 1
; COMPUTE_PGM_RSRC2:TGID_Y_EN: 0
; COMPUTE_PGM_RSRC2:TGID_Z_EN: 0
; COMPUTE_PGM_RSRC2:TIDIG_COMP_CNT: 0
	.section	.text._ZN9rocsparseL22csrmvn_adaptive_kernelIllddddEEvbT_PKS1_PjPKT0_NS_24const_host_device_scalarIT4_EES3_S7_PKT1_PKT2_SA_PT3_21rocsparse_index_base_b,"axG",@progbits,_ZN9rocsparseL22csrmvn_adaptive_kernelIllddddEEvbT_PKS1_PjPKT0_NS_24const_host_device_scalarIT4_EES3_S7_PKT1_PKT2_SA_PT3_21rocsparse_index_base_b,comdat
	.globl	_ZN9rocsparseL22csrmvn_adaptive_kernelIllddddEEvbT_PKS1_PjPKT0_NS_24const_host_device_scalarIT4_EES3_S7_PKT1_PKT2_SA_PT3_21rocsparse_index_base_b ; -- Begin function _ZN9rocsparseL22csrmvn_adaptive_kernelIllddddEEvbT_PKS1_PjPKT0_NS_24const_host_device_scalarIT4_EES3_S7_PKT1_PKT2_SA_PT3_21rocsparse_index_base_b
	.p2align	8
	.type	_ZN9rocsparseL22csrmvn_adaptive_kernelIllddddEEvbT_PKS1_PjPKT0_NS_24const_host_device_scalarIT4_EES3_S7_PKT1_PKT2_SA_PT3_21rocsparse_index_base_b,@function
_ZN9rocsparseL22csrmvn_adaptive_kernelIllddddEEvbT_PKS1_PjPKT0_NS_24const_host_device_scalarIT4_EES3_S7_PKT1_PKT2_SA_PT3_21rocsparse_index_base_b: ; @_ZN9rocsparseL22csrmvn_adaptive_kernelIllddddEEvbT_PKS1_PjPKT0_NS_24const_host_device_scalarIT4_EES3_S7_PKT1_PKT2_SA_PT3_21rocsparse_index_base_b
; %bb.0:
	s_load_dwordx2 s[46:47], s[4:5], 0x60
	s_load_dwordx2 s[8:9], s[4:5], 0x28
	;; [unrolled: 1-line block ×3, first 2 shown]
	s_waitcnt lgkmcnt(0)
	s_bitcmp1_b32 s47, 0
	s_cselect_b64 s[10:11], -1, 0
	v_mov_b32_e32 v7, s8
	s_xor_b64 s[2:3], s[10:11], -1
	s_and_b64 vcc, exec, s[10:11]
	v_mov_b32_e32 v8, s9
	s_cbranch_vccnz .LBB18_2
; %bb.1:
	v_mov_b32_e32 v1, s8
	v_mov_b32_e32 v2, s9
	flat_load_dwordx2 v[7:8], v[1:2]
.LBB18_2:
	v_mov_b32_e32 v6, s1
	s_andn2_b64 vcc, exec, s[2:3]
	v_mov_b32_e32 v5, s0
	s_cbranch_vccnz .LBB18_4
; %bb.3:
	v_mov_b32_e32 v2, s1
	v_mov_b32_e32 v1, s0
	flat_load_dwordx2 v[5:6], v[1:2]
.LBB18_4:
	s_waitcnt vmcnt(0) lgkmcnt(0)
	v_cmp_neq_f64_e32 vcc, 0, v[7:8]
	v_cmp_neq_f64_e64 s[0:1], 1.0, v[5:6]
	s_or_b64 s[0:1], vcc, s[0:1]
	s_and_saveexec_b64 s[2:3], s[0:1]
	s_cbranch_execz .LBB18_115
; %bb.5:
	s_load_dwordx2 s[0:1], s[4:5], 0x10
	s_load_dwordx2 s[2:3], s[4:5], 0x20
	s_ashr_i32 s7, s6, 31
	s_lshl_b64 s[8:9], s[6:7], 3
	s_waitcnt lgkmcnt(0)
	s_add_u32 s0, s0, s8
	s_addc_u32 s1, s1, s9
	s_load_dwordx4 s[36:39], s[0:1], 0x0
	s_load_dwordx2 s[34:35], s[4:5], 0x58
	s_load_dwordx8 s[24:31], s[4:5], 0x30
	s_waitcnt lgkmcnt(0)
	s_sub_u32 s0, s38, s36
	s_subb_u32 s1, s39, s37
	s_add_u32 s2, s2, s8
	s_addc_u32 s3, s3, s9
	s_lshl_b64 s[48:49], s[36:37], 3
	s_add_u32 s44, s24, s48
	s_addc_u32 s45, s25, s49
	s_load_dwordx2 s[40:41], s[2:3], 0x0
	s_load_dwordx2 s[42:43], s[44:45], 0x0
	v_cmp_lt_i64_e64 s[8:9], s[0:1], 2
	s_mov_b64 s[2:3], -1
	s_and_b64 vcc, exec, s[8:9]
	s_cbranch_vccz .LBB18_71
; %bb.6:
	s_cmp_lg_u64 s[0:1], 1
	s_cselect_b64 s[0:1], -1, 0
	s_waitcnt lgkmcnt(0)
	s_cmp_lg_u64 s[40:41], 0
	s_cselect_b64 s[2:3], -1, 0
	s_or_b64 s[0:1], s[0:1], s[2:3]
	s_mov_b64 s[18:19], -1
	s_and_b64 vcc, exec, s[0:1]
	v_cmp_gt_u32_e64 s[0:1], 64, v0
	v_cmp_gt_u32_e64 s[2:3], 32, v0
	;; [unrolled: 1-line block ×6, first 2 shown]
	v_cmp_eq_u32_e64 s[16:17], 0, v0
	s_cbranch_vccnz .LBB18_34
; %bb.7:
	v_cmp_neq_f64_e64 s[18:19], 0, v[5:6]
	v_subrev_co_u32_e32 v16, vcc, s46, v0
	v_subb_co_u32_e64 v17, s[20:21], 0, 0, vcc
	s_movk_i32 s20, 0x80
	v_mov_b32_e32 v1, s38
	v_mov_b32_e32 v15, 0
	v_lshlrev_b32_e32 v18, 3, v0
	v_cmp_gt_u32_e64 s[20:21], s20, v0
	v_mov_b32_e32 v2, s39
	s_movk_i32 s33, 0x100
	s_mov_b64 s[50:51], s[36:37]
	s_branch .LBB18_10
.LBB18_8:                               ;   in Loop: Header=BB18_10 Depth=1
	s_or_b64 exec, exec, s[54:55]
	s_add_u32 s52, s34, s52
	s_addc_u32 s53, s35, s53
	s_waitcnt lgkmcnt(0)
	global_store_dwordx2 v15, v[3:4], s[52:53]
.LBB18_9:                               ;   in Loop: Header=BB18_10 Depth=1
	s_or_b64 exec, exec, s[22:23]
	s_add_u32 s50, s50, 1
	s_addc_u32 s51, s51, 0
	v_cmp_ge_i64_e32 vcc, s[50:51], v[1:2]
	s_cbranch_vccnz .LBB18_33
.LBB18_10:                              ; =>This Loop Header: Depth=1
                                        ;     Child Loop BB18_12 Depth 2
	s_lshl_b64 s[52:53], s[50:51], 3
	s_add_u32 s22, s24, s52
	s_addc_u32 s23, s25, s53
	s_load_dwordx4 s[56:59], s[22:23], 0x0
	v_mov_b32_e32 v9, 0
	v_mov_b32_e32 v10, 0
	s_waitcnt lgkmcnt(0)
	s_sub_u32 s54, s58, s46
	v_mov_b32_e32 v4, s57
	v_add_co_u32_e32 v3, vcc, s56, v16
	s_subb_u32 s55, s59, 0
	v_addc_co_u32_e32 v4, vcc, v4, v17, vcc
	v_cmp_gt_i64_e32 vcc, s[54:55], v[3:4]
	s_and_saveexec_b64 s[56:57], vcc
	s_cbranch_execz .LBB18_14
; %bb.11:                               ;   in Loop: Header=BB18_10 Depth=1
	v_lshlrev_b64 v[9:10], 3, v[3:4]
	v_mov_b32_e32 v12, s29
	v_add_co_u32_e32 v11, vcc, s28, v9
	v_addc_co_u32_e32 v12, vcc, v12, v10, vcc
	v_mov_b32_e32 v14, s27
	v_add_co_u32_e32 v13, vcc, s26, v9
	v_addc_co_u32_e32 v14, vcc, v14, v10, vcc
	v_mov_b32_e32 v9, 0
	v_mov_b32_e32 v10, 0
	s_mov_b64 s[58:59], 0
.LBB18_12:                              ;   Parent Loop BB18_10 Depth=1
                                        ; =>  This Inner Loop Header: Depth=2
	global_load_dwordx2 v[19:20], v[13:14], off
	global_load_dwordx2 v[21:22], v[11:12], off
	v_mov_b32_e32 v23, s31
	s_waitcnt vmcnt(1)
	v_subrev_co_u32_e32 v19, vcc, s46, v19
	v_subbrev_co_u32_e32 v20, vcc, 0, v20, vcc
	v_lshlrev_b64 v[19:20], 3, v[19:20]
	s_waitcnt vmcnt(0)
	v_mul_f64 v[21:22], v[7:8], v[21:22]
	v_add_co_u32_e32 v19, vcc, s30, v19
	v_addc_co_u32_e32 v20, vcc, v23, v20, vcc
	global_load_dwordx2 v[19:20], v[19:20], off
	v_add_co_u32_e32 v3, vcc, s33, v3
	v_addc_co_u32_e32 v4, vcc, 0, v4, vcc
	v_add_co_u32_e32 v11, vcc, 0x800, v11
	v_addc_co_u32_e32 v12, vcc, 0, v12, vcc
	v_cmp_le_i64_e64 s[22:23], s[54:55], v[3:4]
	v_add_co_u32_e32 v13, vcc, 0x800, v13
	s_or_b64 s[58:59], s[22:23], s[58:59]
	v_addc_co_u32_e32 v14, vcc, 0, v14, vcc
	s_waitcnt vmcnt(0)
	v_fma_f64 v[9:10], v[21:22], v[19:20], v[9:10]
	s_andn2_b64 exec, exec, s[58:59]
	s_cbranch_execnz .LBB18_12
; %bb.13:                               ;   in Loop: Header=BB18_10 Depth=1
	s_or_b64 exec, exec, s[58:59]
.LBB18_14:                              ;   in Loop: Header=BB18_10 Depth=1
	s_or_b64 exec, exec, s[56:57]
	ds_write_b64 v18, v[9:10]
	s_waitcnt vmcnt(0) lgkmcnt(0)
	s_barrier
	s_and_saveexec_b64 s[22:23], s[20:21]
	s_cbranch_execz .LBB18_16
; %bb.15:                               ;   in Loop: Header=BB18_10 Depth=1
	ds_read2st64_b64 v[9:12], v18 offset1:2
	s_waitcnt lgkmcnt(0)
	v_add_f64 v[3:4], v[9:10], v[11:12]
	ds_write_b64 v18, v[3:4]
.LBB18_16:                              ;   in Loop: Header=BB18_10 Depth=1
	s_or_b64 exec, exec, s[22:23]
	s_waitcnt lgkmcnt(0)
	s_barrier
	s_and_saveexec_b64 s[22:23], s[0:1]
	s_cbranch_execz .LBB18_18
; %bb.17:                               ;   in Loop: Header=BB18_10 Depth=1
	ds_read2st64_b64 v[9:12], v18 offset1:1
	s_waitcnt lgkmcnt(0)
	v_add_f64 v[3:4], v[9:10], v[11:12]
	ds_write_b64 v18, v[3:4]
.LBB18_18:                              ;   in Loop: Header=BB18_10 Depth=1
	s_or_b64 exec, exec, s[22:23]
	s_waitcnt lgkmcnt(0)
	s_barrier
	s_and_saveexec_b64 s[22:23], s[2:3]
	s_cbranch_execz .LBB18_20
; %bb.19:                               ;   in Loop: Header=BB18_10 Depth=1
	ds_read2_b64 v[9:12], v18 offset1:32
	s_waitcnt lgkmcnt(0)
	v_add_f64 v[3:4], v[9:10], v[11:12]
	ds_write_b64 v18, v[3:4]
.LBB18_20:                              ;   in Loop: Header=BB18_10 Depth=1
	s_or_b64 exec, exec, s[22:23]
	s_waitcnt lgkmcnt(0)
	s_barrier
	s_and_saveexec_b64 s[22:23], s[8:9]
	s_cbranch_execz .LBB18_22
; %bb.21:                               ;   in Loop: Header=BB18_10 Depth=1
	ds_read2_b64 v[9:12], v18 offset1:16
	s_waitcnt lgkmcnt(0)
	v_add_f64 v[3:4], v[9:10], v[11:12]
	ds_write_b64 v18, v[3:4]
.LBB18_22:                              ;   in Loop: Header=BB18_10 Depth=1
	;; [unrolled: 11-line block ×5, first 2 shown]
	s_or_b64 exec, exec, s[22:23]
	s_waitcnt lgkmcnt(0)
	s_barrier
	s_and_saveexec_b64 s[22:23], s[16:17]
	s_cbranch_execz .LBB18_30
; %bb.29:                               ;   in Loop: Header=BB18_10 Depth=1
	ds_read_b128 v[9:12], v15
	s_waitcnt lgkmcnt(0)
	v_add_f64 v[3:4], v[9:10], v[11:12]
	ds_write_b64 v15, v[3:4]
.LBB18_30:                              ;   in Loop: Header=BB18_10 Depth=1
	s_or_b64 exec, exec, s[22:23]
	s_waitcnt lgkmcnt(0)
	s_barrier
	s_and_saveexec_b64 s[22:23], s[16:17]
	s_cbranch_execz .LBB18_9
; %bb.31:                               ;   in Loop: Header=BB18_10 Depth=1
	ds_read_b64 v[3:4], v15
	s_and_saveexec_b64 s[54:55], s[18:19]
	s_cbranch_execz .LBB18_8
; %bb.32:                               ;   in Loop: Header=BB18_10 Depth=1
	s_add_u32 s56, s34, s52
	s_addc_u32 s57, s35, s53
	global_load_dwordx2 v[9:10], v15, s[56:57]
	s_waitcnt vmcnt(0) lgkmcnt(0)
	v_fma_f64 v[3:4], v[5:6], v[9:10], v[3:4]
	s_branch .LBB18_8
.LBB18_33:
	s_mov_b64 s[18:19], 0
.LBB18_34:
	s_and_b64 vcc, exec, s[18:19]
	s_cbranch_vccz .LBB18_70
; %bb.35:
	s_load_dwordx2 s[8:9], s[4:5], 0x18
	s_sub_u32 s10, s6, s40
	s_subb_u32 s11, s7, s41
	s_lshl_b64 s[0:1], s[6:7], 2
	v_mov_b32_e32 v3, 0
	s_waitcnt lgkmcnt(0)
	s_add_u32 s6, s8, s0
	s_addc_u32 s7, s9, s1
	global_load_dword v13, v3, s[6:7]
	s_cmp_lg_u64 s[40:41], 0
	s_cselect_b64 s[12:13], -1, 0
	s_cmp_eq_u64 s[40:41], 0
	s_cselect_b64 s[2:3], -1, 0
	v_cmp_eq_u32_e64 s[0:1], 0, v0
	v_mov_b32_e32 v1, 0
	v_mov_b32_e32 v2, 0
	s_and_b64 s[14:15], s[0:1], s[2:3]
	s_and_saveexec_b64 s[2:3], s[14:15]
	s_cbranch_execz .LBB18_39
; %bb.36:
	s_add_u32 s16, s34, s48
	s_addc_u32 s17, s35, s49
	global_load_dwordx2 v[1:2], v3, s[16:17]
	v_add_f64 v[3:4], v[5:6], -1.0
	s_mov_b64 s[14:15], exec
	v_mbcnt_lo_u32_b32 v9, s14, 0
	v_mbcnt_hi_u32_b32 v9, s15, v9
	v_cmp_eq_u32_e32 vcc, 0, v9
	s_waitcnt vmcnt(0) expcnt(0) lgkmcnt(0)
	s_and_saveexec_b64 s[16:17], vcc
	s_cbranch_execz .LBB18_38
; %bb.37:
	s_lshl_b64 s[18:19], s[10:11], 2
	s_add_u32 s18, s8, s18
	s_addc_u32 s19, s9, s19
	s_bcnt1_i32_b64 s14, s[14:15]
	s_and_b32 s14, s14, 1
	v_mov_b32_e32 v9, 0
	v_mov_b32_e32 v10, s14
	global_atomic_xor v9, v10, s[18:19]
.LBB18_38:
	s_or_b64 exec, exec, s[16:17]
	v_mul_f64 v[1:2], v[3:4], v[1:2]
.LBB18_39:
	s_or_b64 exec, exec, s[2:3]
	s_mul_i32 s2, s41, 0xc00
	s_mul_hi_u32 s3, s40, 0xc00
	s_add_i32 s14, s3, s2
	s_load_dwordx2 s[2:3], s[44:45], 0x8
	s_sub_u32 s16, s42, s46
	s_mul_i32 s15, s40, 0xc00
	s_subb_u32 s17, s43, 0
	s_add_u32 s16, s16, s15
	s_addc_u32 s17, s17, s14
	s_waitcnt lgkmcnt(0)
	s_sub_u32 s2, s2, s46
	v_mov_b32_e32 v4, s17
	v_add_co_u32_e32 v3, vcc, s16, v0
	s_subb_u32 s3, s3, 0
	v_addc_co_u32_e32 v4, vcc, 0, v4, vcc
	v_cmp_gt_i64_e32 vcc, s[2:3], v[3:4]
	s_and_saveexec_b64 s[14:15], vcc
	s_cbranch_execz .LBB18_43
; %bb.40:
	s_add_u32 s16, s16, 0xc00
	v_mov_b32_e32 v10, s3
	s_addc_u32 s17, s17, 0
	v_mov_b32_e32 v9, s2
	v_cmp_lt_i64_e32 vcc, s[16:17], v[9:10]
	v_lshlrev_b64 v[11:12], 3, v[3:4]
	s_and_b64 s[18:19], vcc, exec
	v_mov_b32_e32 v10, s29
	v_add_co_u32_e32 v9, vcc, s28, v11
	v_addc_co_u32_e32 v10, vcc, v10, v12, vcc
	v_mov_b32_e32 v14, s27
	v_add_co_u32_e32 v11, vcc, s26, v11
	s_cselect_b32 s17, s17, s3
	s_cselect_b32 s16, s16, s2
	v_addc_co_u32_e32 v12, vcc, v14, v12, vcc
	s_mov_b64 s[18:19], 0
	v_mov_b32_e32 v14, s31
	s_movk_i32 s20, 0x100
.LBB18_41:                              ; =>This Inner Loop Header: Depth=1
	global_load_dwordx2 v[15:16], v[11:12], off
	global_load_dwordx2 v[17:18], v[9:10], off
	s_waitcnt vmcnt(1)
	v_subrev_co_u32_e32 v15, vcc, s46, v15
	v_subbrev_co_u32_e32 v16, vcc, 0, v16, vcc
	v_lshlrev_b64 v[15:16], 3, v[15:16]
	s_waitcnt vmcnt(0)
	v_mul_f64 v[17:18], v[7:8], v[17:18]
	v_add_co_u32_e32 v15, vcc, s30, v15
	v_addc_co_u32_e32 v16, vcc, v14, v16, vcc
	global_load_dwordx2 v[15:16], v[15:16], off
	v_add_co_u32_e32 v3, vcc, s20, v3
	v_addc_co_u32_e32 v4, vcc, 0, v4, vcc
	v_add_co_u32_e32 v9, vcc, 0x800, v9
	v_addc_co_u32_e32 v10, vcc, 0, v10, vcc
	v_cmp_le_i64_e64 s[2:3], s[16:17], v[3:4]
	v_add_co_u32_e32 v11, vcc, 0x800, v11
	s_or_b64 s[18:19], s[2:3], s[18:19]
	v_addc_co_u32_e32 v12, vcc, 0, v12, vcc
	s_waitcnt vmcnt(0)
	v_fma_f64 v[1:2], v[17:18], v[15:16], v[1:2]
	s_andn2_b64 exec, exec, s[18:19]
	s_cbranch_execnz .LBB18_41
; %bb.42:
	s_or_b64 exec, exec, s[18:19]
.LBB18_43:
	s_or_b64 exec, exec, s[14:15]
	s_movk_i32 s2, 0x80
	v_lshlrev_b32_e32 v3, 3, v0
	v_cmp_gt_u32_e32 vcc, s2, v0
	ds_write_b64 v3, v[1:2]
	s_waitcnt vmcnt(0) lgkmcnt(0)
	s_barrier
	s_and_saveexec_b64 s[2:3], vcc
	s_cbranch_execz .LBB18_45
; %bb.44:
	ds_read2st64_b64 v[9:12], v3 offset1:2
	s_waitcnt lgkmcnt(0)
	v_add_f64 v[1:2], v[9:10], v[11:12]
	ds_write_b64 v3, v[1:2]
.LBB18_45:
	s_or_b64 exec, exec, s[2:3]
	v_cmp_gt_u32_e32 vcc, 64, v0
	s_waitcnt lgkmcnt(0)
	s_barrier
	s_and_saveexec_b64 s[2:3], vcc
	s_cbranch_execz .LBB18_47
; %bb.46:
	ds_read2st64_b64 v[9:12], v3 offset1:1
	s_waitcnt lgkmcnt(0)
	v_add_f64 v[1:2], v[9:10], v[11:12]
	ds_write_b64 v3, v[1:2]
.LBB18_47:
	s_or_b64 exec, exec, s[2:3]
	v_cmp_gt_u32_e32 vcc, 32, v0
	s_waitcnt lgkmcnt(0)
	s_barrier
	s_and_saveexec_b64 s[2:3], vcc
	s_cbranch_execz .LBB18_49
; %bb.48:
	ds_read2_b64 v[9:12], v3 offset1:32
	s_waitcnt lgkmcnt(0)
	v_add_f64 v[1:2], v[9:10], v[11:12]
	ds_write_b64 v3, v[1:2]
.LBB18_49:
	s_or_b64 exec, exec, s[2:3]
	v_cmp_gt_u32_e32 vcc, 16, v0
	s_waitcnt lgkmcnt(0)
	s_barrier
	s_and_saveexec_b64 s[2:3], vcc
	s_cbranch_execz .LBB18_51
; %bb.50:
	ds_read2_b64 v[9:12], v3 offset1:16
	s_waitcnt lgkmcnt(0)
	v_add_f64 v[1:2], v[9:10], v[11:12]
	ds_write_b64 v3, v[1:2]
.LBB18_51:
	;; [unrolled: 12-line block ×5, first 2 shown]
	s_or_b64 exec, exec, s[2:3]
	s_waitcnt lgkmcnt(0)
	s_barrier
	s_and_saveexec_b64 s[2:3], s[0:1]
	s_cbranch_execz .LBB18_59
; %bb.58:
	v_mov_b32_e32 v9, 0
	ds_read_b128 v[1:4], v9
	s_waitcnt lgkmcnt(0)
	v_add_f64 v[1:2], v[1:2], v[3:4]
	ds_write_b64 v9, v[1:2]
.LBB18_59:
	s_or_b64 exec, exec, s[2:3]
	s_waitcnt lgkmcnt(0)
	s_barrier
	s_and_saveexec_b64 s[2:3], s[0:1]
	s_cbranch_execz .LBB18_69
; %bb.60:
	s_andn2_b64 vcc, exec, s[12:13]
	s_cbranch_vccnz .LBB18_66
; %bb.61:
	s_lshl_b64 s[0:1], s[10:11], 2
	s_add_u32 s0, s8, s0
	s_addc_u32 s1, s9, s1
	v_mov_b32_e32 v1, 0
	s_branch .LBB18_63
.LBB18_62:                              ;   in Loop: Header=BB18_63 Depth=1
	s_or_b64 exec, exec, s[8:9]
	s_waitcnt vmcnt(0)
	v_readfirstlane_b32 s8, v2
	v_cmp_eq_u32_e32 vcc, s8, v13
	s_cbranch_vccz .LBB18_65
.LBB18_63:                              ; =>This Inner Loop Header: Depth=1
	v_mbcnt_lo_u32_b32 v2, exec_lo, 0
	v_mbcnt_hi_u32_b32 v2, exec_hi, v2
	v_cmp_eq_u32_e32 vcc, 0, v2
                                        ; implicit-def: $vgpr2
	s_and_saveexec_b64 s[8:9], vcc
	s_cbranch_execz .LBB18_62
; %bb.64:                               ;   in Loop: Header=BB18_63 Depth=1
	global_load_dword v2, v1, s[0:1] glc
	s_branch .LBB18_62
.LBB18_65:
	v_mov_b32_e32 v1, 0
	global_load_ushort v2, v1, s[6:7]
	s_waitcnt vmcnt(0)
	v_xor_b32_e32 v2, 1, v2
	global_store_short v1, v2, s[6:7]
.LBB18_66:
	s_mov_b64 s[6:7], exec
	v_mbcnt_lo_u32_b32 v1, s6, 0
	v_mbcnt_hi_u32_b32 v1, s7, v1
	v_cmp_eq_u32_e32 vcc, 0, v1
	s_and_b64 s[0:1], exec, vcc
	s_mov_b64 exec, s[0:1]
	s_cbranch_execz .LBB18_69
; %bb.67:
	s_add_u32 s0, s34, s48
	s_addc_u32 s1, s35, s49
	v_mov_b32_e32 v11, 0
	global_load_dwordx2 v[3:4], v11, s[0:1]
	ds_read_b64 v[1:2], v11
	s_bcnt1_i32_b64 s6, s[6:7]
	v_cvt_f64_u32_e32 v[9:10], s6
	s_mov_b64 s[6:7], 0
	s_waitcnt lgkmcnt(0)
	v_mul_f64 v[9:10], v[1:2], v[9:10]
.LBB18_68:                              ; =>This Inner Loop Header: Depth=1
	s_waitcnt vmcnt(0)
	v_add_f64 v[1:2], v[3:4], v[9:10]
	global_atomic_cmpswap_x2 v[1:2], v11, v[1:4], s[0:1] glc
	s_waitcnt vmcnt(0)
	v_cmp_eq_u64_e32 vcc, v[1:2], v[3:4]
	v_mov_b32_e32 v4, v2
	s_or_b64 s[6:7], vcc, s[6:7]
	v_mov_b32_e32 v3, v1
	s_andn2_b64 exec, exec, s[6:7]
	s_cbranch_execnz .LBB18_68
.LBB18_69:
	s_or_b64 exec, exec, s[2:3]
.LBB18_70:
	s_mov_b64 s[2:3], 0
.LBB18_71:
	s_andn2_b64 vcc, exec, s[2:3]
	s_cbranch_vccnz .LBB18_115
; %bb.72:
	s_load_dwordx2 s[0:1], s[4:5], 0x8
	v_subrev_co_u32_e32 v1, vcc, s46, v0
	v_subb_co_u32_e64 v2, s[2:3], 0, 0, vcc
	s_waitcnt lgkmcnt(0)
	v_mov_b32_e32 v3, s43
	v_add_co_u32_e32 v1, vcc, s42, v1
	v_addc_co_u32_e32 v2, vcc, v3, v2, vcc
	v_add_co_u32_e32 v3, vcc, 0x300, v1
	v_addc_co_u32_e32 v4, vcc, 0, v2, vcc
	v_cmp_le_i64_e32 vcc, s[0:1], v[3:4]
	s_and_saveexec_b64 s[0:1], vcc
	s_xor_b64 s[2:3], exec, s[0:1]
	s_cbranch_execz .LBB18_77
; %bb.73:
	s_lshl_b64 s[0:1], s[38:39], 3
	s_add_u32 s0, s24, s0
	s_addc_u32 s1, s25, s1
	s_load_dwordx2 s[0:1], s[0:1], 0x0
	s_waitcnt lgkmcnt(0)
	s_sub_u32 s4, s0, s46
	s_subb_u32 s5, s1, 0
	v_cmp_gt_i64_e32 vcc, s[4:5], v[1:2]
	s_and_saveexec_b64 s[6:7], vcc
	s_cbranch_execz .LBB18_76
; %bb.74:
	v_lshlrev_b64 v[9:10], 3, v[1:2]
	v_mov_b32_e32 v4, s29
	v_add_co_u32_e32 v3, vcc, s28, v9
	v_addc_co_u32_e32 v4, vcc, v4, v10, vcc
	v_mov_b32_e32 v12, s27
	v_add_co_u32_e32 v9, vcc, s26, v9
	v_lshlrev_b32_e32 v11, 3, v0
	v_addc_co_u32_e32 v10, vcc, v12, v10, vcc
	s_mov_b64 s[8:9], 0
	v_mov_b32_e32 v12, s31
	s_movk_i32 s10, 0x100
.LBB18_75:                              ; =>This Inner Loop Header: Depth=1
	global_load_dwordx2 v[13:14], v[9:10], off
	global_load_dwordx2 v[15:16], v[3:4], off
	s_waitcnt vmcnt(1)
	v_subrev_co_u32_e32 v13, vcc, s46, v13
	v_subbrev_co_u32_e32 v14, vcc, 0, v14, vcc
	v_lshlrev_b64 v[13:14], 3, v[13:14]
	s_waitcnt vmcnt(0)
	v_mul_f64 v[15:16], v[7:8], v[15:16]
	v_add_co_u32_e32 v13, vcc, s30, v13
	v_addc_co_u32_e32 v14, vcc, v12, v14, vcc
	global_load_dwordx2 v[13:14], v[13:14], off
	v_add_co_u32_e32 v1, vcc, s10, v1
	v_addc_co_u32_e32 v2, vcc, 0, v2, vcc
	v_add_co_u32_e32 v3, vcc, 0x800, v3
	v_addc_co_u32_e32 v4, vcc, 0, v4, vcc
	v_cmp_le_i64_e64 s[0:1], s[4:5], v[1:2]
	v_add_co_u32_e32 v9, vcc, 0x800, v9
	v_addc_co_u32_e32 v10, vcc, 0, v10, vcc
	s_or_b64 s[8:9], s[0:1], s[8:9]
	s_waitcnt vmcnt(0)
	v_mul_f64 v[13:14], v[15:16], v[13:14]
	ds_write_b64 v11, v[13:14]
	v_add_u32_e32 v11, 0x800, v11
	s_andn2_b64 exec, exec, s[8:9]
	s_cbranch_execnz .LBB18_75
.LBB18_76:
	s_or_b64 exec, exec, s[6:7]
                                        ; implicit-def: $vgpr1_vgpr2
                                        ; implicit-def: $vgpr7_vgpr8
.LBB18_77:
	s_or_saveexec_b64 s[0:1], s[2:3]
	v_lshlrev_b32_e32 v15, 3, v0
	s_xor_b64 exec, exec, s[0:1]
	s_cbranch_execz .LBB18_79
; %bb.78:
	v_lshlrev_b64 v[1:2], 3, v[1:2]
	v_mov_b32_e32 v4, s27
	v_add_co_u32_e32 v3, vcc, s26, v1
	v_addc_co_u32_e32 v4, vcc, v4, v2, vcc
	global_load_dwordx2 v[9:10], v[3:4], off
	global_load_dwordx2 v[11:12], v[3:4], off offset:2048
	s_movk_i32 s2, 0x1000
	v_add_co_u32_e32 v3, vcc, s2, v3
	v_addc_co_u32_e32 v4, vcc, 0, v4, vcc
	global_load_dwordx2 v[13:14], v[3:4], off
	global_load_dwordx2 v[16:17], v[3:4], off offset:2048
	v_mov_b32_e32 v3, s29
	v_add_co_u32_e32 v1, vcc, s28, v1
	v_addc_co_u32_e32 v2, vcc, v3, v2, vcc
	global_load_dwordx2 v[3:4], v[1:2], off
	global_load_dwordx2 v[18:19], v[1:2], off offset:2048
	v_add_co_u32_e32 v1, vcc, s2, v1
	v_addc_co_u32_e32 v2, vcc, 0, v2, vcc
	global_load_dwordx2 v[20:21], v[1:2], off
	global_load_dwordx2 v[22:23], v[1:2], off offset:2048
	v_mov_b32_e32 v24, s31
	v_mov_b32_e32 v25, s31
	;; [unrolled: 1-line block ×4, first 2 shown]
	s_waitcnt vmcnt(7)
	v_subrev_co_u32_e32 v1, vcc, s46, v9
	v_subbrev_co_u32_e32 v2, vcc, 0, v10, vcc
	s_waitcnt vmcnt(6)
	v_subrev_co_u32_e32 v9, vcc, s46, v11
	v_subbrev_co_u32_e32 v10, vcc, 0, v12, vcc
	;; [unrolled: 3-line block ×3, first 2 shown]
	v_lshlrev_b64 v[1:2], 3, v[1:2]
	s_waitcnt vmcnt(4)
	v_subrev_co_u32_e32 v13, vcc, s46, v16
	v_subbrev_co_u32_e32 v14, vcc, 0, v17, vcc
	v_lshlrev_b64 v[9:10], 3, v[9:10]
	v_add_co_u32_e32 v1, vcc, s30, v1
	v_addc_co_u32_e32 v2, vcc, v24, v2, vcc
	v_lshlrev_b64 v[11:12], 3, v[11:12]
	v_add_co_u32_e32 v9, vcc, s30, v9
	v_addc_co_u32_e32 v10, vcc, v25, v10, vcc
	v_lshlrev_b64 v[13:14], 3, v[13:14]
	global_load_dwordx2 v[16:17], v[1:2], off
	global_load_dwordx2 v[24:25], v[9:10], off
	v_add_co_u32_e32 v1, vcc, s30, v11
	v_addc_co_u32_e32 v2, vcc, v26, v12, vcc
	v_add_co_u32_e32 v9, vcc, s30, v13
	v_addc_co_u32_e32 v10, vcc, v27, v14, vcc
	global_load_dwordx2 v[11:12], v[1:2], off
	global_load_dwordx2 v[13:14], v[9:10], off
	s_waitcnt vmcnt(7)
	v_mul_f64 v[1:2], v[7:8], v[3:4]
	s_waitcnt vmcnt(6)
	v_mul_f64 v[3:4], v[7:8], v[18:19]
	s_waitcnt vmcnt(5)
	v_mul_f64 v[9:10], v[7:8], v[20:21]
	s_waitcnt vmcnt(4)
	v_mul_f64 v[7:8], v[7:8], v[22:23]
	s_waitcnt vmcnt(3)
	v_mul_f64 v[1:2], v[1:2], v[16:17]
	s_waitcnt vmcnt(2)
	v_mul_f64 v[3:4], v[3:4], v[24:25]
	s_waitcnt vmcnt(1)
	v_mul_f64 v[9:10], v[9:10], v[11:12]
	s_waitcnt vmcnt(0)
	v_mul_f64 v[7:8], v[7:8], v[13:14]
	ds_write2st64_b64 v15, v[1:2], v[3:4] offset1:4
	ds_write2st64_b64 v15, v[9:10], v[7:8] offset0:8 offset1:12
.LBB18_79:
	s_or_b64 exec, exec, s[0:1]
	v_cmp_lt_i64_e64 s[2:3], s[40:41], 2
	s_mov_b64 s[0:1], -1
	s_and_b64 vcc, exec, s[2:3]
	s_waitcnt vmcnt(0) lgkmcnt(0)
	s_barrier
	s_cbranch_vccz .LBB18_90
; %bb.80:
	v_mov_b32_e32 v1, s37
	v_add_co_u32_e32 v7, vcc, s36, v0
	v_addc_co_u32_e32 v8, vcc, 0, v1, vcc
	v_cmp_gt_i64_e32 vcc, s[38:39], v[7:8]
	s_and_saveexec_b64 s[4:5], vcc
	s_cbranch_execz .LBB18_89
; %bb.81:
	v_cmp_neq_f64_e64 s[0:1], 0, v[5:6]
	s_lshl_b32 s2, s42, 3
	s_mov_b64 s[6:7], 0
	s_sub_i32 s10, 0, s2
	v_mov_b32_e32 v16, s25
	v_mov_b32_e32 v17, s35
	s_branch .LBB18_83
.LBB18_82:                              ;   in Loop: Header=BB18_83 Depth=1
	s_or_b64 exec, exec, s[2:3]
	v_add_co_u32_e32 v7, vcc, 0x100, v7
	v_addc_co_u32_e32 v8, vcc, 0, v8, vcc
	v_cmp_le_i64_e32 vcc, s[38:39], v[7:8]
	v_add_co_u32_e64 v1, s[2:3], s34, v9
	v_addc_co_u32_e64 v2, s[2:3], v17, v10, s[2:3]
	s_or_b64 s[6:7], vcc, s[6:7]
	global_store_dwordx2 v[1:2], v[11:12], off
	s_andn2_b64 exec, exec, s[6:7]
	s_cbranch_execz .LBB18_89
.LBB18_83:                              ; =>This Loop Header: Depth=1
                                        ;     Child Loop BB18_85 Depth 2
	v_lshlrev_b64 v[9:10], 3, v[7:8]
	v_mov_b32_e32 v11, 0
	v_add_co_u32_e32 v1, vcc, s24, v9
	v_addc_co_u32_e32 v2, vcc, v16, v10, vcc
	global_load_dwordx4 v[1:4], v[1:2], off
	v_mov_b32_e32 v12, 0
	s_waitcnt vmcnt(0)
	v_cmp_lt_i64_e32 vcc, v[1:2], v[3:4]
	s_and_saveexec_b64 s[2:3], vcc
	s_cbranch_execz .LBB18_87
; %bb.84:                               ;   in Loop: Header=BB18_83 Depth=1
	v_mov_b32_e32 v11, s43
	v_subrev_co_u32_e32 v3, vcc, s42, v3
	v_subb_co_u32_e32 v4, vcc, v4, v11, vcc
	v_subrev_co_u32_e32 v13, vcc, s42, v1
	v_subb_co_u32_e32 v14, vcc, v2, v11, vcc
	v_mov_b32_e32 v11, 0
	v_lshl_add_u32 v1, v1, 3, s10
	v_mov_b32_e32 v12, 0
	s_mov_b64 s[8:9], 0
.LBB18_85:                              ;   Parent Loop BB18_83 Depth=1
                                        ; =>  This Inner Loop Header: Depth=2
	ds_read_b64 v[18:19], v1
	v_add_co_u32_e32 v13, vcc, 1, v13
	v_addc_co_u32_e32 v14, vcc, 0, v14, vcc
	s_waitcnt lgkmcnt(0)
	v_add_f64 v[11:12], v[11:12], v[18:19]
	v_cmp_ge_i64_e32 vcc, v[13:14], v[3:4]
	v_add_u32_e32 v1, 8, v1
	s_or_b64 s[8:9], vcc, s[8:9]
	s_andn2_b64 exec, exec, s[8:9]
	s_cbranch_execnz .LBB18_85
; %bb.86:                               ;   in Loop: Header=BB18_83 Depth=1
	s_or_b64 exec, exec, s[8:9]
.LBB18_87:                              ;   in Loop: Header=BB18_83 Depth=1
	s_or_b64 exec, exec, s[2:3]
	s_and_saveexec_b64 s[2:3], s[0:1]
	s_cbranch_execz .LBB18_82
; %bb.88:                               ;   in Loop: Header=BB18_83 Depth=1
	v_mov_b32_e32 v2, s35
	v_add_co_u32_e32 v1, vcc, s34, v9
	v_addc_co_u32_e32 v2, vcc, v2, v10, vcc
	global_load_dwordx2 v[1:2], v[1:2], off
	s_waitcnt vmcnt(0)
	v_fma_f64 v[11:12], v[5:6], v[1:2], v[11:12]
	s_branch .LBB18_82
.LBB18_89:
	s_or_b64 exec, exec, s[4:5]
	s_mov_b64 s[0:1], 0
.LBB18_90:
	s_andn2_b64 vcc, exec, s[0:1]
	s_cbranch_vccnz .LBB18_115
; %bb.91:
	s_flbit_i32_b32 s0, s40
	s_min_u32 s0, s0, 32
	s_sub_i32 s0, 31, s0
	v_lshrrev_b32_e32 v9, s0, v0
	v_mov_b32_e32 v2, s37
	v_add_co_u32_e32 v1, vcc, s36, v9
	v_addc_co_u32_e32 v2, vcc, 0, v2, vcc
	s_add_i32 s2, s40, -1
	v_cmp_le_i64_e64 s[0:1], s[38:39], v[1:2]
	v_cmp_gt_i64_e32 vcc, s[38:39], v[1:2]
	v_mov_b32_e32 v7, 0
	v_mov_b32_e32 v4, 0
	v_mov_b32_e32 v8, 0
	v_and_b32_e32 v3, s2, v0
	s_and_saveexec_b64 s[2:3], vcc
	s_cbranch_execz .LBB18_97
; %bb.92:
	v_lshlrev_b32_e32 v0, 3, v9
	global_load_dwordx4 v[7:10], v0, s[44:45]
	v_mov_b32_e32 v11, s43
	v_subrev_co_u32_e32 v12, vcc, s42, v3
	v_subb_co_u32_e32 v13, vcc, 0, v11, vcc
	v_mov_b32_e32 v0, s43
	s_waitcnt vmcnt(0)
	v_subrev_co_u32_e32 v9, vcc, s42, v9
	v_subb_co_u32_e32 v10, vcc, v10, v0, vcc
	v_add_co_u32_e32 v11, vcc, v7, v12
	v_addc_co_u32_e32 v12, vcc, v8, v13, vcc
	v_cmp_lt_i64_e32 vcc, v[11:12], v[9:10]
	v_mov_b32_e32 v7, 0
	v_mov_b32_e32 v8, 0
	s_and_saveexec_b64 s[4:5], vcc
	s_cbranch_execz .LBB18_96
; %bb.93:
	v_mov_b32_e32 v7, 0
	v_lshlrev_b32_e32 v0, 3, v11
	s_lshl_b32 s8, s40, 3
	v_mov_b32_e32 v8, 0
	s_mov_b64 s[6:7], 0
	v_mov_b32_e32 v13, s41
.LBB18_94:                              ; =>This Inner Loop Header: Depth=1
	ds_read_b64 v[16:17], v0
	v_add_co_u32_e32 v11, vcc, s40, v11
	v_addc_co_u32_e32 v12, vcc, v12, v13, vcc
	s_waitcnt lgkmcnt(0)
	v_add_f64 v[7:8], v[7:8], v[16:17]
	v_cmp_ge_i64_e32 vcc, v[11:12], v[9:10]
	v_add_u32_e32 v0, s8, v0
	s_or_b64 s[6:7], vcc, s[6:7]
	s_andn2_b64 exec, exec, s[6:7]
	s_cbranch_execnz .LBB18_94
; %bb.95:
	s_or_b64 exec, exec, s[6:7]
.LBB18_96:
	s_or_b64 exec, exec, s[4:5]
.LBB18_97:
	s_or_b64 exec, exec, s[2:3]
	v_mov_b32_e32 v9, 0x81
	v_mov_b32_e32 v10, 0
	v_cmp_lt_u64_e32 vcc, s[40:41], v[9:10]
	s_and_b64 vcc, exec, vcc
	s_waitcnt vmcnt(0)
	s_barrier
	ds_write_b64 v15, v[7:8]
	s_waitcnt lgkmcnt(0)
	s_barrier
	s_cbranch_vccnz .LBB18_99
; %bb.98:
	ds_read_b64 v[9:10], v15 offset:1024
	s_waitcnt lgkmcnt(0)
	s_barrier
	v_add_f64 v[7:8], v[7:8], v[9:10]
	ds_write_b64 v15, v[7:8]
.LBB18_99:
	v_mov_b32_e32 v9, 0x41
	v_mov_b32_e32 v10, 0
	v_cmp_lt_u64_e32 vcc, s[40:41], v[9:10]
	s_waitcnt lgkmcnt(0)
	s_barrier
	s_cbranch_vccnz .LBB18_101
; %bb.100:
	ds_read_b64 v[9:10], v15 offset:512
	s_waitcnt lgkmcnt(0)
	s_barrier
	v_add_f64 v[7:8], v[7:8], v[9:10]
	ds_write_b64 v15, v[7:8]
.LBB18_101:
	v_cmp_lt_u64_e64 s[2:3], s[40:41], 33
	s_waitcnt lgkmcnt(0)
	s_and_b64 vcc, exec, s[2:3]
	s_barrier
	s_cbranch_vccnz .LBB18_103
; %bb.102:
	ds_read_b64 v[9:10], v15 offset:256
	s_waitcnt lgkmcnt(0)
	s_barrier
	v_add_f64 v[7:8], v[7:8], v[9:10]
	ds_write_b64 v15, v[7:8]
.LBB18_103:
	v_cmp_lt_u64_e64 s[2:3], s[40:41], 17
	s_waitcnt lgkmcnt(0)
	s_and_b64 vcc, exec, s[2:3]
	;; [unrolled: 12-line block ×4, first 2 shown]
	s_barrier
	s_cbranch_vccnz .LBB18_109
; %bb.108:
	ds_read_b64 v[9:10], v15 offset:32
	s_waitcnt lgkmcnt(0)
	s_barrier
	v_add_f64 v[7:8], v[7:8], v[9:10]
	ds_write_b64 v15, v[7:8]
.LBB18_109:
	s_cmp_eq_u64 s[40:41], 2
	s_waitcnt lgkmcnt(0)
	s_barrier
	s_cbranch_scc1 .LBB18_111
; %bb.110:
	ds_read_b64 v[9:10], v15 offset:16
	s_waitcnt lgkmcnt(0)
	s_barrier
	v_add_f64 v[7:8], v[7:8], v[9:10]
	ds_write_b64 v15, v[7:8]
.LBB18_111:
	s_waitcnt lgkmcnt(0)
	s_barrier
	ds_read_b64 v[9:10], v15 offset:8
	v_cmp_eq_u64_e32 vcc, 0, v[3:4]
	s_xor_b64 s[0:1], s[0:1], -1
	s_and_b64 s[0:1], vcc, s[0:1]
	s_waitcnt lgkmcnt(0)
	v_add_f64 v[7:8], v[7:8], v[9:10]
	s_barrier
	ds_write_b64 v15, v[7:8]
	s_and_b64 exec, exec, s[0:1]
	s_cbranch_execz .LBB18_115
; %bb.112:
	v_cmp_neq_f64_e32 vcc, 0, v[5:6]
	v_lshlrev_b64 v[0:1], 3, v[1:2]
	s_and_saveexec_b64 s[0:1], vcc
	s_cbranch_execz .LBB18_114
; %bb.113:
	v_mov_b32_e32 v3, s35
	v_add_co_u32_e32 v2, vcc, s34, v0
	v_addc_co_u32_e32 v3, vcc, v3, v1, vcc
	global_load_dwordx2 v[2:3], v[2:3], off
	s_waitcnt vmcnt(0)
	v_fma_f64 v[7:8], v[5:6], v[2:3], v[7:8]
.LBB18_114:
	s_or_b64 exec, exec, s[0:1]
	v_mov_b32_e32 v2, s35
	v_add_co_u32_e32 v0, vcc, s34, v0
	v_addc_co_u32_e32 v1, vcc, v2, v1, vcc
	global_store_dwordx2 v[0:1], v[7:8], off
.LBB18_115:
	s_endpgm
	.section	.rodata,"a",@progbits
	.p2align	6, 0x0
	.amdhsa_kernel _ZN9rocsparseL22csrmvn_adaptive_kernelIllddddEEvbT_PKS1_PjPKT0_NS_24const_host_device_scalarIT4_EES3_S7_PKT1_PKT2_SA_PT3_21rocsparse_index_base_b
		.amdhsa_group_segment_fixed_size 8192
		.amdhsa_private_segment_fixed_size 0
		.amdhsa_kernarg_size 104
		.amdhsa_user_sgpr_count 6
		.amdhsa_user_sgpr_private_segment_buffer 1
		.amdhsa_user_sgpr_dispatch_ptr 0
		.amdhsa_user_sgpr_queue_ptr 0
		.amdhsa_user_sgpr_kernarg_segment_ptr 1
		.amdhsa_user_sgpr_dispatch_id 0
		.amdhsa_user_sgpr_flat_scratch_init 0
		.amdhsa_user_sgpr_private_segment_size 0
		.amdhsa_uses_dynamic_stack 0
		.amdhsa_system_sgpr_private_segment_wavefront_offset 0
		.amdhsa_system_sgpr_workgroup_id_x 1
		.amdhsa_system_sgpr_workgroup_id_y 0
		.amdhsa_system_sgpr_workgroup_id_z 0
		.amdhsa_system_sgpr_workgroup_info 0
		.amdhsa_system_vgpr_workitem_id 0
		.amdhsa_next_free_vgpr 29
		.amdhsa_next_free_sgpr 61
		.amdhsa_reserve_vcc 1
		.amdhsa_reserve_flat_scratch 0
		.amdhsa_float_round_mode_32 0
		.amdhsa_float_round_mode_16_64 0
		.amdhsa_float_denorm_mode_32 3
		.amdhsa_float_denorm_mode_16_64 3
		.amdhsa_dx10_clamp 1
		.amdhsa_ieee_mode 1
		.amdhsa_fp16_overflow 0
		.amdhsa_exception_fp_ieee_invalid_op 0
		.amdhsa_exception_fp_denorm_src 0
		.amdhsa_exception_fp_ieee_div_zero 0
		.amdhsa_exception_fp_ieee_overflow 0
		.amdhsa_exception_fp_ieee_underflow 0
		.amdhsa_exception_fp_ieee_inexact 0
		.amdhsa_exception_int_div_zero 0
	.end_amdhsa_kernel
	.section	.text._ZN9rocsparseL22csrmvn_adaptive_kernelIllddddEEvbT_PKS1_PjPKT0_NS_24const_host_device_scalarIT4_EES3_S7_PKT1_PKT2_SA_PT3_21rocsparse_index_base_b,"axG",@progbits,_ZN9rocsparseL22csrmvn_adaptive_kernelIllddddEEvbT_PKS1_PjPKT0_NS_24const_host_device_scalarIT4_EES3_S7_PKT1_PKT2_SA_PT3_21rocsparse_index_base_b,comdat
.Lfunc_end18:
	.size	_ZN9rocsparseL22csrmvn_adaptive_kernelIllddddEEvbT_PKS1_PjPKT0_NS_24const_host_device_scalarIT4_EES3_S7_PKT1_PKT2_SA_PT3_21rocsparse_index_base_b, .Lfunc_end18-_ZN9rocsparseL22csrmvn_adaptive_kernelIllddddEEvbT_PKS1_PjPKT0_NS_24const_host_device_scalarIT4_EES3_S7_PKT1_PKT2_SA_PT3_21rocsparse_index_base_b
                                        ; -- End function
	.set _ZN9rocsparseL22csrmvn_adaptive_kernelIllddddEEvbT_PKS1_PjPKT0_NS_24const_host_device_scalarIT4_EES3_S7_PKT1_PKT2_SA_PT3_21rocsparse_index_base_b.num_vgpr, 28
	.set _ZN9rocsparseL22csrmvn_adaptive_kernelIllddddEEvbT_PKS1_PjPKT0_NS_24const_host_device_scalarIT4_EES3_S7_PKT1_PKT2_SA_PT3_21rocsparse_index_base_b.num_agpr, 0
	.set _ZN9rocsparseL22csrmvn_adaptive_kernelIllddddEEvbT_PKS1_PjPKT0_NS_24const_host_device_scalarIT4_EES3_S7_PKT1_PKT2_SA_PT3_21rocsparse_index_base_b.numbered_sgpr, 60
	.set _ZN9rocsparseL22csrmvn_adaptive_kernelIllddddEEvbT_PKS1_PjPKT0_NS_24const_host_device_scalarIT4_EES3_S7_PKT1_PKT2_SA_PT3_21rocsparse_index_base_b.num_named_barrier, 0
	.set _ZN9rocsparseL22csrmvn_adaptive_kernelIllddddEEvbT_PKS1_PjPKT0_NS_24const_host_device_scalarIT4_EES3_S7_PKT1_PKT2_SA_PT3_21rocsparse_index_base_b.private_seg_size, 0
	.set _ZN9rocsparseL22csrmvn_adaptive_kernelIllddddEEvbT_PKS1_PjPKT0_NS_24const_host_device_scalarIT4_EES3_S7_PKT1_PKT2_SA_PT3_21rocsparse_index_base_b.uses_vcc, 1
	.set _ZN9rocsparseL22csrmvn_adaptive_kernelIllddddEEvbT_PKS1_PjPKT0_NS_24const_host_device_scalarIT4_EES3_S7_PKT1_PKT2_SA_PT3_21rocsparse_index_base_b.uses_flat_scratch, 0
	.set _ZN9rocsparseL22csrmvn_adaptive_kernelIllddddEEvbT_PKS1_PjPKT0_NS_24const_host_device_scalarIT4_EES3_S7_PKT1_PKT2_SA_PT3_21rocsparse_index_base_b.has_dyn_sized_stack, 0
	.set _ZN9rocsparseL22csrmvn_adaptive_kernelIllddddEEvbT_PKS1_PjPKT0_NS_24const_host_device_scalarIT4_EES3_S7_PKT1_PKT2_SA_PT3_21rocsparse_index_base_b.has_recursion, 0
	.set _ZN9rocsparseL22csrmvn_adaptive_kernelIllddddEEvbT_PKS1_PjPKT0_NS_24const_host_device_scalarIT4_EES3_S7_PKT1_PKT2_SA_PT3_21rocsparse_index_base_b.has_indirect_call, 0
	.section	.AMDGPU.csdata,"",@progbits
; Kernel info:
; codeLenInByte = 4220
; TotalNumSgprs: 64
; NumVgprs: 28
; ScratchSize: 0
; MemoryBound: 1
; FloatMode: 240
; IeeeMode: 1
; LDSByteSize: 8192 bytes/workgroup (compile time only)
; SGPRBlocks: 8
; VGPRBlocks: 7
; NumSGPRsForWavesPerEU: 65
; NumVGPRsForWavesPerEU: 29
; Occupancy: 8
; WaveLimiterHint : 1
; COMPUTE_PGM_RSRC2:SCRATCH_EN: 0
; COMPUTE_PGM_RSRC2:USER_SGPR: 6
; COMPUTE_PGM_RSRC2:TRAP_HANDLER: 0
; COMPUTE_PGM_RSRC2:TGID_X_EN: 1
; COMPUTE_PGM_RSRC2:TGID_Y_EN: 0
; COMPUTE_PGM_RSRC2:TGID_Z_EN: 0
; COMPUTE_PGM_RSRC2:TIDIG_COMP_CNT: 0
	.section	.text._ZN9rocsparseL22partial_scale_y_kernelIlddEEvT_S1_S1_NS_24const_host_device_scalarIT1_EEPT0_b,"axG",@progbits,_ZN9rocsparseL22partial_scale_y_kernelIlddEEvT_S1_S1_NS_24const_host_device_scalarIT1_EEPT0_b,comdat
	.globl	_ZN9rocsparseL22partial_scale_y_kernelIlddEEvT_S1_S1_NS_24const_host_device_scalarIT1_EEPT0_b ; -- Begin function _ZN9rocsparseL22partial_scale_y_kernelIlddEEvT_S1_S1_NS_24const_host_device_scalarIT1_EEPT0_b
	.p2align	8
	.type	_ZN9rocsparseL22partial_scale_y_kernelIlddEEvT_S1_S1_NS_24const_host_device_scalarIT1_EEPT0_b,@function
_ZN9rocsparseL22partial_scale_y_kernelIlddEEvT_S1_S1_NS_24const_host_device_scalarIT1_EEPT0_b: ; @_ZN9rocsparseL22partial_scale_y_kernelIlddEEvT_S1_S1_NS_24const_host_device_scalarIT1_EEPT0_b
; %bb.0:
	s_load_dword s0, s[4:5], 0x28
	s_load_dwordx8 s[8:15], s[4:5], 0x0
	s_waitcnt lgkmcnt(0)
	s_bitcmp1_b32 s0, 0
	s_cselect_b64 s[0:1], -1, 0
	v_mov_b32_e32 v1, s14
	s_and_b64 vcc, exec, s[0:1]
	v_mov_b32_e32 v2, s15
	s_cbranch_vccnz .LBB19_2
; %bb.1:
	v_mov_b32_e32 v1, s14
	v_mov_b32_e32 v2, s15
	flat_load_dwordx2 v[1:2], v[1:2]
.LBB19_2:
	s_waitcnt vmcnt(0) lgkmcnt(0)
	v_cmp_neq_f64_e32 vcc, 1.0, v[1:2]
	s_and_saveexec_b64 s[0:1], vcc
	s_cbranch_execz .LBB19_15
; %bb.3:
	s_add_u32 s0, s10, s8
	s_addc_u32 s1, s11, s9
	s_sub_u32 s0, s0, s12
	v_lshl_or_b32 v3, s6, 8, v0
	v_mov_b32_e32 v4, 0
	s_subb_u32 s1, s1, s13
	v_cmp_gt_i64_e32 vcc, s[0:1], v[3:4]
	s_and_b64 exec, exec, vcc
	s_cbranch_execz .LBB19_15
; %bb.4:
	v_cmp_neq_f64_e32 vcc, 0, v[1:2]
	s_load_dwordx2 s[2:3], s[4:5], 0x20
	v_cmp_le_i64_e64 s[0:1], s[10:11], v[3:4]
	s_and_saveexec_b64 s[4:5], s[0:1]
	s_xor_b64 s[4:5], exec, s[4:5]
	s_cbranch_execz .LBB19_10
; %bb.5:
	v_mov_b32_e32 v0, s11
	v_subrev_co_u32_e64 v3, s[0:1], s10, v3
	v_subb_co_u32_e64 v4, s[0:1], 0, v0, s[0:1]
	s_lshl_b64 s[0:1], s[12:13], 3
	s_waitcnt lgkmcnt(0)
	s_add_u32 s0, s2, s0
	v_lshlrev_b64 v[3:4], 3, v[3:4]
	s_addc_u32 s1, s3, s1
	v_mov_b32_e32 v0, s1
	v_add_co_u32_e64 v3, s[0:1], s0, v3
	v_addc_co_u32_e64 v4, s[0:1], v0, v4, s[0:1]
	s_and_saveexec_b64 s[0:1], vcc
	s_xor_b64 s[0:1], exec, s[0:1]
	s_cbranch_execz .LBB19_7
; %bb.6:
	global_load_dwordx2 v[5:6], v[3:4], off
	s_waitcnt vmcnt(0)
	v_mul_f64 v[0:1], v[1:2], v[5:6]
	global_store_dwordx2 v[3:4], v[0:1], off
                                        ; implicit-def: $vgpr3_vgpr4
.LBB19_7:
	s_andn2_saveexec_b64 s[0:1], s[0:1]
	s_cbranch_execz .LBB19_9
; %bb.8:
	v_mov_b32_e32 v0, 0
	v_mov_b32_e32 v1, v0
	global_store_dwordx2 v[3:4], v[0:1], off
.LBB19_9:
	s_or_b64 exec, exec, s[0:1]
                                        ; implicit-def: $vgpr3_vgpr4
                                        ; implicit-def: $vgpr1_vgpr2
.LBB19_10:
	s_andn2_saveexec_b64 s[0:1], s[4:5]
	s_cbranch_execz .LBB19_15
; %bb.11:
	v_lshlrev_b64 v[3:4], 3, v[3:4]
	s_waitcnt lgkmcnt(0)
	v_mov_b32_e32 v0, s3
	v_add_co_u32_e64 v3, s[0:1], s2, v3
	v_addc_co_u32_e64 v4, s[0:1], v0, v4, s[0:1]
	s_and_saveexec_b64 s[0:1], vcc
	s_xor_b64 s[0:1], exec, s[0:1]
	s_cbranch_execz .LBB19_13
; %bb.12:
	global_load_dwordx2 v[5:6], v[3:4], off
	s_waitcnt vmcnt(0)
	v_mul_f64 v[0:1], v[1:2], v[5:6]
	global_store_dwordx2 v[3:4], v[0:1], off
                                        ; implicit-def: $vgpr3_vgpr4
.LBB19_13:
	s_andn2_saveexec_b64 s[0:1], s[0:1]
	s_cbranch_execz .LBB19_15
; %bb.14:
	v_mov_b32_e32 v0, 0
	v_mov_b32_e32 v1, v0
	global_store_dwordx2 v[3:4], v[0:1], off
.LBB19_15:
	s_endpgm
	.section	.rodata,"a",@progbits
	.p2align	6, 0x0
	.amdhsa_kernel _ZN9rocsparseL22partial_scale_y_kernelIlddEEvT_S1_S1_NS_24const_host_device_scalarIT1_EEPT0_b
		.amdhsa_group_segment_fixed_size 0
		.amdhsa_private_segment_fixed_size 0
		.amdhsa_kernarg_size 44
		.amdhsa_user_sgpr_count 6
		.amdhsa_user_sgpr_private_segment_buffer 1
		.amdhsa_user_sgpr_dispatch_ptr 0
		.amdhsa_user_sgpr_queue_ptr 0
		.amdhsa_user_sgpr_kernarg_segment_ptr 1
		.amdhsa_user_sgpr_dispatch_id 0
		.amdhsa_user_sgpr_flat_scratch_init 0
		.amdhsa_user_sgpr_private_segment_size 0
		.amdhsa_uses_dynamic_stack 0
		.amdhsa_system_sgpr_private_segment_wavefront_offset 0
		.amdhsa_system_sgpr_workgroup_id_x 1
		.amdhsa_system_sgpr_workgroup_id_y 0
		.amdhsa_system_sgpr_workgroup_id_z 0
		.amdhsa_system_sgpr_workgroup_info 0
		.amdhsa_system_vgpr_workitem_id 0
		.amdhsa_next_free_vgpr 7
		.amdhsa_next_free_sgpr 16
		.amdhsa_reserve_vcc 1
		.amdhsa_reserve_flat_scratch 0
		.amdhsa_float_round_mode_32 0
		.amdhsa_float_round_mode_16_64 0
		.amdhsa_float_denorm_mode_32 3
		.amdhsa_float_denorm_mode_16_64 3
		.amdhsa_dx10_clamp 1
		.amdhsa_ieee_mode 1
		.amdhsa_fp16_overflow 0
		.amdhsa_exception_fp_ieee_invalid_op 0
		.amdhsa_exception_fp_denorm_src 0
		.amdhsa_exception_fp_ieee_div_zero 0
		.amdhsa_exception_fp_ieee_overflow 0
		.amdhsa_exception_fp_ieee_underflow 0
		.amdhsa_exception_fp_ieee_inexact 0
		.amdhsa_exception_int_div_zero 0
	.end_amdhsa_kernel
	.section	.text._ZN9rocsparseL22partial_scale_y_kernelIlddEEvT_S1_S1_NS_24const_host_device_scalarIT1_EEPT0_b,"axG",@progbits,_ZN9rocsparseL22partial_scale_y_kernelIlddEEvT_S1_S1_NS_24const_host_device_scalarIT1_EEPT0_b,comdat
.Lfunc_end19:
	.size	_ZN9rocsparseL22partial_scale_y_kernelIlddEEvT_S1_S1_NS_24const_host_device_scalarIT1_EEPT0_b, .Lfunc_end19-_ZN9rocsparseL22partial_scale_y_kernelIlddEEvT_S1_S1_NS_24const_host_device_scalarIT1_EEPT0_b
                                        ; -- End function
	.set _ZN9rocsparseL22partial_scale_y_kernelIlddEEvT_S1_S1_NS_24const_host_device_scalarIT1_EEPT0_b.num_vgpr, 7
	.set _ZN9rocsparseL22partial_scale_y_kernelIlddEEvT_S1_S1_NS_24const_host_device_scalarIT1_EEPT0_b.num_agpr, 0
	.set _ZN9rocsparseL22partial_scale_y_kernelIlddEEvT_S1_S1_NS_24const_host_device_scalarIT1_EEPT0_b.numbered_sgpr, 16
	.set _ZN9rocsparseL22partial_scale_y_kernelIlddEEvT_S1_S1_NS_24const_host_device_scalarIT1_EEPT0_b.num_named_barrier, 0
	.set _ZN9rocsparseL22partial_scale_y_kernelIlddEEvT_S1_S1_NS_24const_host_device_scalarIT1_EEPT0_b.private_seg_size, 0
	.set _ZN9rocsparseL22partial_scale_y_kernelIlddEEvT_S1_S1_NS_24const_host_device_scalarIT1_EEPT0_b.uses_vcc, 1
	.set _ZN9rocsparseL22partial_scale_y_kernelIlddEEvT_S1_S1_NS_24const_host_device_scalarIT1_EEPT0_b.uses_flat_scratch, 0
	.set _ZN9rocsparseL22partial_scale_y_kernelIlddEEvT_S1_S1_NS_24const_host_device_scalarIT1_EEPT0_b.has_dyn_sized_stack, 0
	.set _ZN9rocsparseL22partial_scale_y_kernelIlddEEvT_S1_S1_NS_24const_host_device_scalarIT1_EEPT0_b.has_recursion, 0
	.set _ZN9rocsparseL22partial_scale_y_kernelIlddEEvT_S1_S1_NS_24const_host_device_scalarIT1_EEPT0_b.has_indirect_call, 0
	.section	.AMDGPU.csdata,"",@progbits
; Kernel info:
; codeLenInByte = 388
; TotalNumSgprs: 20
; NumVgprs: 7
; ScratchSize: 0
; MemoryBound: 0
; FloatMode: 240
; IeeeMode: 1
; LDSByteSize: 0 bytes/workgroup (compile time only)
; SGPRBlocks: 2
; VGPRBlocks: 1
; NumSGPRsForWavesPerEU: 20
; NumVGPRsForWavesPerEU: 7
; Occupancy: 10
; WaveLimiterHint : 0
; COMPUTE_PGM_RSRC2:SCRATCH_EN: 0
; COMPUTE_PGM_RSRC2:USER_SGPR: 6
; COMPUTE_PGM_RSRC2:TRAP_HANDLER: 0
; COMPUTE_PGM_RSRC2:TGID_X_EN: 1
; COMPUTE_PGM_RSRC2:TGID_Y_EN: 0
; COMPUTE_PGM_RSRC2:TGID_Z_EN: 0
; COMPUTE_PGM_RSRC2:TIDIG_COMP_CNT: 0
	.section	.text._ZN9rocsparseL27csrmvn_symm_adaptive_kernelIllddddEEvbT_S1_PKS1_NS_24const_host_device_scalarIT4_EES3_PKT0_PKT1_PKT2_S6_PT3_21rocsparse_index_base_b,"axG",@progbits,_ZN9rocsparseL27csrmvn_symm_adaptive_kernelIllddddEEvbT_S1_PKS1_NS_24const_host_device_scalarIT4_EES3_PKT0_PKT1_PKT2_S6_PT3_21rocsparse_index_base_b,comdat
	.globl	_ZN9rocsparseL27csrmvn_symm_adaptive_kernelIllddddEEvbT_S1_PKS1_NS_24const_host_device_scalarIT4_EES3_PKT0_PKT1_PKT2_S6_PT3_21rocsparse_index_base_b ; -- Begin function _ZN9rocsparseL27csrmvn_symm_adaptive_kernelIllddddEEvbT_S1_PKS1_NS_24const_host_device_scalarIT4_EES3_PKT0_PKT1_PKT2_S6_PT3_21rocsparse_index_base_b
	.p2align	8
	.type	_ZN9rocsparseL27csrmvn_symm_adaptive_kernelIllddddEEvbT_S1_PKS1_NS_24const_host_device_scalarIT4_EES3_PKT0_PKT1_PKT2_S6_PT3_21rocsparse_index_base_b,@function
_ZN9rocsparseL27csrmvn_symm_adaptive_kernelIllddddEEvbT_S1_PKS1_NS_24const_host_device_scalarIT4_EES3_PKT0_PKT1_PKT2_S6_PT3_21rocsparse_index_base_b: ; @_ZN9rocsparseL27csrmvn_symm_adaptive_kernelIllddddEEvbT_S1_PKS1_NS_24const_host_device_scalarIT4_EES3_PKT0_PKT1_PKT2_S6_PT3_21rocsparse_index_base_b
; %bb.0:
	s_load_dwordx2 s[30:31], s[4:5], 0x58
	s_load_dwordx2 s[8:9], s[4:5], 0x20
	;; [unrolled: 1-line block ×3, first 2 shown]
	s_waitcnt lgkmcnt(0)
	s_bitcmp1_b32 s31, 0
	s_cselect_b64 s[10:11], -1, 0
	v_mov_b32_e32 v11, s9
	s_xor_b64 s[2:3], s[10:11], -1
	s_and_b64 vcc, exec, s[10:11]
	v_mov_b32_e32 v10, s8
	s_cbranch_vccnz .LBB20_2
; %bb.1:
	v_mov_b32_e32 v1, s8
	v_mov_b32_e32 v2, s9
	flat_load_dwordx2 v[10:11], v[1:2]
.LBB20_2:
	v_mov_b32_e32 v2, s1
	s_andn2_b64 vcc, exec, s[2:3]
	v_mov_b32_e32 v1, s0
	s_cbranch_vccnz .LBB20_4
; %bb.3:
	v_mov_b32_e32 v2, s1
	v_mov_b32_e32 v1, s0
	flat_load_dwordx2 v[1:2], v[1:2]
.LBB20_4:
	s_waitcnt vmcnt(0) lgkmcnt(0)
	v_cmp_neq_f64_e32 vcc, 0, v[10:11]
	v_cmp_neq_f64_e64 s[0:1], 1.0, v[1:2]
	s_or_b64 s[0:1], vcc, s[0:1]
	s_and_saveexec_b64 s[2:3], s[0:1]
	s_cbranch_execz .LBB20_167
; %bb.5:
	s_load_dwordx2 s[0:1], s[4:5], 0x18
	s_mov_b32 s2, 0
	s_mov_b32 s3, s2
	v_mov_b32_e32 v1, s2
	s_ashr_i32 s7, s6, 31
	v_mov_b32_e32 v2, s3
	s_lshl_b64 s[2:3], s[6:7], 3
	s_waitcnt lgkmcnt(0)
	s_add_u32 s0, s0, s2
	v_lshlrev_b32_e32 v18, 3, v0
	s_addc_u32 s1, s1, s3
	ds_write2st64_b64 v18, v[1:2], v[1:2] offset1:4
	ds_write2st64_b64 v18, v[1:2], v[1:2] offset0:8 offset1:12
	s_waitcnt lgkmcnt(0)
	s_barrier
	s_load_dwordx4 s[24:27], s[0:1], 0x0
	s_load_dwordx8 s[16:23], s[4:5], 0x28
	s_load_dwordx2 s[14:15], s[4:5], 0x50
	s_mov_b64 s[0:1], -1
	s_waitcnt lgkmcnt(0)
	s_sub_u32 s28, s26, s24
	s_subb_u32 s29, s27, s25
	v_cmp_gt_i64_e64 s[2:3], s[28:29], 2
	s_and_b64 vcc, exec, s[2:3]
	s_cbranch_vccnz .LBB20_41
; %bb.6:
	v_mov_b32_e32 v1, s24
	v_mov_b32_e32 v2, s25
	v_cmp_le_i64_e32 vcc, s[26:27], v[1:2]
	v_subrev_co_u32_e64 v9, s[0:1], s30, v0
	v_mov_b32_e32 v15, 0
	v_subb_co_u32_e64 v14, s[0:1], 0, 0, s[0:1]
	s_cbranch_vccnz .LBB20_30
; %bb.7:
	s_movk_i32 s31, 0x100
	v_mov_b32_e32 v5, s26
	v_cmp_gt_u32_e64 s[0:1], s31, v0
	v_cmp_gt_u32_e64 s[2:3], 64, v0
	;; [unrolled: 1-line block ×4, first 2 shown]
	v_cmp_eq_u32_e64 s[10:11], 0, v0
	v_mov_b32_e32 v6, s27
	s_mov_b64 s[34:35], s[24:25]
	s_branch .LBB20_9
.LBB20_8:                               ;   in Loop: Header=BB20_9 Depth=1
	s_or_b64 exec, exec, s[12:13]
	s_add_u32 s34, s34, 1
	s_addc_u32 s35, s35, 0
	v_cmp_ge_i64_e32 vcc, s[34:35], v[5:6]
	s_cbranch_vccnz .LBB20_30
.LBB20_9:                               ; =>This Loop Header: Depth=1
                                        ;     Child Loop BB20_11 Depth 2
                                        ;     Child Loop BB20_25 Depth 2
	;; [unrolled: 1-line block ×3, first 2 shown]
	s_lshl_b64 s[36:37], s[34:35], 3
	s_add_u32 s12, s16, s36
	s_addc_u32 s13, s17, s37
	s_load_dwordx4 s[40:43], s[12:13], 0x0
	v_mov_b32_e32 v3, 0
	v_mov_b32_e32 v4, 0
	s_waitcnt lgkmcnt(0)
	s_sub_u32 s38, s42, s30
	v_mov_b32_e32 v2, s41
	v_add_co_u32_e32 v1, vcc, s40, v9
	s_subb_u32 s39, s43, 0
	v_addc_co_u32_e32 v2, vcc, v2, v14, vcc
	v_cmp_gt_i64_e32 vcc, s[38:39], v[1:2]
	s_and_saveexec_b64 s[40:41], vcc
	s_cbranch_execz .LBB20_13
; %bb.10:                               ;   in Loop: Header=BB20_9 Depth=1
	v_lshlrev_b64 v[3:4], 3, v[1:2]
	v_mov_b32_e32 v8, s19
	v_add_co_u32_e32 v7, vcc, s18, v3
	v_addc_co_u32_e32 v8, vcc, v8, v4, vcc
	v_mov_b32_e32 v13, s21
	v_add_co_u32_e32 v12, vcc, s20, v3
	v_addc_co_u32_e32 v13, vcc, v13, v4, vcc
	v_mov_b32_e32 v3, 0
	v_mov_b32_e32 v4, 0
	s_mov_b64 s[42:43], 0
.LBB20_11:                              ;   Parent Loop BB20_9 Depth=1
                                        ; =>  This Inner Loop Header: Depth=2
	global_load_dwordx2 v[16:17], v[7:8], off
	global_load_dwordx2 v[19:20], v[12:13], off
	v_mov_b32_e32 v21, s23
	s_waitcnt vmcnt(1)
	v_subrev_co_u32_e32 v16, vcc, s30, v16
	v_subbrev_co_u32_e32 v17, vcc, 0, v17, vcc
	v_lshlrev_b64 v[16:17], 3, v[16:17]
	v_add_co_u32_e32 v16, vcc, s22, v16
	v_addc_co_u32_e32 v17, vcc, v21, v17, vcc
	global_load_dwordx2 v[16:17], v[16:17], off
	v_add_co_u32_e32 v1, vcc, s31, v1
	v_addc_co_u32_e32 v2, vcc, 0, v2, vcc
	v_add_co_u32_e32 v7, vcc, 0x800, v7
	v_addc_co_u32_e32 v8, vcc, 0, v8, vcc
	v_cmp_le_i64_e64 s[12:13], s[38:39], v[1:2]
	v_add_co_u32_e32 v12, vcc, 0x800, v12
	s_or_b64 s[42:43], s[12:13], s[42:43]
	v_addc_co_u32_e32 v13, vcc, 0, v13, vcc
	s_waitcnt vmcnt(0)
	v_fma_f64 v[3:4], v[19:20], v[16:17], v[3:4]
	s_andn2_b64 exec, exec, s[42:43]
	s_cbranch_execnz .LBB20_11
; %bb.12:                               ;   in Loop: Header=BB20_9 Depth=1
	s_or_b64 exec, exec, s[42:43]
.LBB20_13:                              ;   in Loop: Header=BB20_9 Depth=1
	s_or_b64 exec, exec, s[40:41]
	ds_write_b64 v18, v[3:4]
	s_waitcnt lgkmcnt(0)
	s_barrier
	s_and_saveexec_b64 s[12:13], s[0:1]
	s_cbranch_execz .LBB20_15
; %bb.14:                               ;   in Loop: Header=BB20_9 Depth=1
	ds_read2st64_b64 v[1:4], v18 offset1:4
	ds_read2st64_b64 v[19:22], v18 offset0:8 offset1:12
	s_waitcnt lgkmcnt(0)
	v_add_f64 v[3:4], v[3:4], v[19:20]
	v_add_f64 v[3:4], v[3:4], v[21:22]
	;; [unrolled: 1-line block ×3, first 2 shown]
	ds_write_b64 v18, v[1:2]
.LBB20_15:                              ;   in Loop: Header=BB20_9 Depth=1
	s_or_b64 exec, exec, s[12:13]
	s_waitcnt lgkmcnt(0)
	s_barrier
	s_and_saveexec_b64 s[12:13], s[2:3]
	s_cbranch_execz .LBB20_17
; %bb.16:                               ;   in Loop: Header=BB20_9 Depth=1
	ds_read2st64_b64 v[1:4], v18 offset1:1
	ds_read2st64_b64 v[19:22], v18 offset0:2 offset1:3
	s_waitcnt lgkmcnt(0)
	v_add_f64 v[3:4], v[3:4], v[19:20]
	v_add_f64 v[3:4], v[3:4], v[21:22]
	;; [unrolled: 1-line block ×3, first 2 shown]
	ds_write_b64 v18, v[1:2]
.LBB20_17:                              ;   in Loop: Header=BB20_9 Depth=1
	s_or_b64 exec, exec, s[12:13]
	s_waitcnt lgkmcnt(0)
	s_barrier
	s_and_saveexec_b64 s[12:13], s[6:7]
	s_cbranch_execz .LBB20_19
; %bb.18:                               ;   in Loop: Header=BB20_9 Depth=1
	ds_read2_b64 v[1:4], v18 offset1:16
	ds_read2_b64 v[19:22], v18 offset0:32 offset1:48
	s_waitcnt lgkmcnt(0)
	v_add_f64 v[3:4], v[3:4], v[19:20]
	v_add_f64 v[3:4], v[3:4], v[21:22]
	;; [unrolled: 1-line block ×3, first 2 shown]
	ds_write_b64 v18, v[1:2]
.LBB20_19:                              ;   in Loop: Header=BB20_9 Depth=1
	s_or_b64 exec, exec, s[12:13]
	s_waitcnt lgkmcnt(0)
	s_barrier
	s_and_saveexec_b64 s[12:13], s[8:9]
	s_cbranch_execz .LBB20_21
; %bb.20:                               ;   in Loop: Header=BB20_9 Depth=1
	ds_read2_b64 v[1:4], v18 offset1:4
	ds_read2_b64 v[19:22], v18 offset0:8 offset1:12
	s_waitcnt lgkmcnt(0)
	v_add_f64 v[3:4], v[3:4], v[19:20]
	v_add_f64 v[3:4], v[3:4], v[21:22]
	;; [unrolled: 1-line block ×3, first 2 shown]
	ds_write_b64 v18, v[1:2]
.LBB20_21:                              ;   in Loop: Header=BB20_9 Depth=1
	s_or_b64 exec, exec, s[12:13]
	s_waitcnt lgkmcnt(0)
	s_barrier
	s_and_saveexec_b64 s[12:13], s[10:11]
	s_cbranch_execz .LBB20_23
; %bb.22:                               ;   in Loop: Header=BB20_9 Depth=1
	ds_read2_b64 v[1:4], v15 offset0:1 offset1:2
	ds_read_b64 v[7:8], v18
	s_waitcnt lgkmcnt(1)
	v_add_f64 v[1:2], v[1:2], v[3:4]
	ds_read_b64 v[3:4], v15 offset:24
	s_waitcnt lgkmcnt(0)
	v_add_f64 v[1:2], v[1:2], v[3:4]
	v_add_f64 v[1:2], v[7:8], v[1:2]
	ds_write_b64 v18, v[1:2]
.LBB20_23:                              ;   in Loop: Header=BB20_9 Depth=1
	s_or_b64 exec, exec, s[12:13]
	s_waitcnt lgkmcnt(0)
	s_barrier
	s_and_saveexec_b64 s[12:13], s[10:11]
	s_cbranch_execz .LBB20_8
; %bb.24:                               ;   in Loop: Header=BB20_9 Depth=1
	ds_read_b64 v[1:2], v15
	v_mov_b32_e32 v7, 0
	s_mov_b64 s[38:39], exec
	v_bfrev_b32_e32 v8, 1
	s_waitcnt lgkmcnt(0)
	v_mul_f64 v[1:2], v[10:11], v[1:2]
.LBB20_25:                              ;   Parent Loop BB20_9 Depth=1
                                        ; =>  This Inner Loop Header: Depth=2
	s_ff1_i32_b64 s33, s[38:39]
	v_readlane_b32 s41, v2, s33
	v_readlane_b32 s40, v1, s33
	v_add_f64 v[7:8], v[7:8], s[40:41]
	s_lshl_b64 s[40:41], 1, s33
	s_andn2_b64 s[38:39], s[38:39], s[40:41]
	s_cmp_lg_u64 s[38:39], 0
	s_cbranch_scc1 .LBB20_25
; %bb.26:                               ;   in Loop: Header=BB20_9 Depth=1
	v_mbcnt_lo_u32_b32 v1, exec_lo, 0
	v_mbcnt_hi_u32_b32 v1, exec_hi, v1
	v_cmp_eq_u32_e32 vcc, 0, v1
	s_and_saveexec_b64 s[38:39], vcc
	s_xor_b64 s[38:39], exec, s[38:39]
	s_cbranch_execz .LBB20_8
; %bb.27:                               ;   in Loop: Header=BB20_9 Depth=1
	s_add_u32 s36, s14, s36
	s_addc_u32 s37, s15, s37
	global_load_dwordx2 v[3:4], v15, s[36:37]
	s_mov_b64 s[38:39], 0
.LBB20_28:                              ;   Parent Loop BB20_9 Depth=1
                                        ; =>  This Inner Loop Header: Depth=2
	s_waitcnt vmcnt(0)
	v_add_f64 v[1:2], v[3:4], v[7:8]
	global_atomic_cmpswap_x2 v[1:2], v15, v[1:4], s[36:37] glc
	s_waitcnt vmcnt(0)
	v_cmp_eq_u64_e32 vcc, v[1:2], v[3:4]
	v_mov_b32_e32 v4, v2
	s_or_b64 s[38:39], vcc, s[38:39]
	v_mov_b32_e32 v3, v1
	s_andn2_b64 exec, exec, s[38:39]
	s_cbranch_execnz .LBB20_28
; %bb.29:                               ;   in Loop: Header=BB20_9 Depth=1
	s_or_b64 exec, exec, s[38:39]
	s_branch .LBB20_8
.LBB20_30:
	s_lshl_b64 s[0:1], s[24:25], 3
	s_add_u32 s0, s16, s0
	s_addc_u32 s1, s17, s1
	s_lshl_b64 s[2:3], s[26:27], 3
	s_add_u32 s2, s16, s2
	s_addc_u32 s3, s17, s3
	s_load_dwordx2 s[8:9], s[0:1], 0x0
	s_load_dwordx2 s[6:7], s[2:3], 0x0
	s_waitcnt lgkmcnt(0)
	v_mov_b32_e32 v1, s9
	s_sub_u32 s6, s6, s30
	v_add_co_u32_e32 v5, vcc, s8, v9
	s_subb_u32 s7, s7, 0
	v_addc_co_u32_e32 v6, vcc, v1, v14, vcc
	v_cmp_gt_i64_e32 vcc, s[6:7], v[5:6]
	s_and_saveexec_b64 s[8:9], vcc
	s_cbranch_execz .LBB20_40
; %bb.31:
	s_add_u32 s10, s26, -1
	s_addc_u32 s11, s27, -1
	v_mov_b32_e32 v1, s10
	s_add_u32 s0, s26, -2
	v_mov_b32_e32 v2, s11
	s_addc_u32 s1, s27, -1
	v_cmp_lt_i64_e32 vcc, s[24:25], v[1:2]
	s_cmp_lg_u64 s[24:25], s[0:1]
	s_cselect_b64 s[0:1], -1, 0
	s_and_b64 s[0:1], vcc, s[0:1]
	v_cndmask_b32_e64 v1, 0, 1, s[0:1]
	s_mov_b64 s[12:13], 0
	v_cmp_ne_u32_e64 s[0:1], 1, v1
	v_mov_b32_e32 v9, s17
	v_mov_b32_e32 v14, s19
	s_branch .LBB20_33
.LBB20_32:                              ;   in Loop: Header=BB20_33 Depth=1
	s_or_b64 exec, exec, s[2:3]
	v_add_co_u32_e32 v5, vcc, 0x100, v5
	v_addc_co_u32_e32 v6, vcc, 0, v6, vcc
	v_cmp_le_i64_e32 vcc, s[6:7], v[5:6]
	s_or_b64 s[12:13], vcc, s[12:13]
	s_andn2_b64 exec, exec, s[12:13]
	s_cbranch_execz .LBB20_40
.LBB20_33:                              ; =>This Loop Header: Depth=1
                                        ;     Child Loop BB20_35 Depth 2
                                        ;     Child Loop BB20_39 Depth 2
	v_mov_b32_e32 v1, s24
	v_mov_b32_e32 v3, s10
	s_and_b64 vcc, exec, s[0:1]
	v_mov_b32_e32 v2, s25
	v_mov_b32_e32 v4, s11
	s_cbranch_vccnz .LBB20_37
; %bb.34:                               ;   in Loop: Header=BB20_33 Depth=1
	v_mov_b32_e32 v1, s24
	v_mov_b32_e32 v3, s10
	s_mov_b64 s[34:35], 0
	v_mov_b32_e32 v2, s25
	v_mov_b32_e32 v4, s11
.LBB20_35:                              ;   Parent Loop BB20_33 Depth=1
                                        ; =>  This Inner Loop Header: Depth=2
	v_add_co_u32_e32 v7, vcc, v3, v1
	v_addc_co_u32_e32 v8, vcc, v4, v2, vcc
	v_lshrrev_b32_e32 v12, 31, v8
	v_add_co_u32_e32 v7, vcc, v7, v12
	v_addc_co_u32_e32 v8, vcc, 0, v8, vcc
	v_ashrrev_i64 v[7:8], 1, v[7:8]
	v_mov_b32_e32 v15, s17
	v_lshlrev_b64 v[12:13], 3, v[7:8]
	v_add_co_u32_e32 v12, vcc, s16, v12
	v_addc_co_u32_e32 v13, vcc, v15, v13, vcc
	global_load_dwordx2 v[12:13], v[12:13], off
	s_waitcnt vmcnt(0)
	v_subrev_co_u32_e32 v12, vcc, s30, v12
	v_subbrev_co_u32_e32 v13, vcc, 0, v13, vcc
	v_cmp_lt_i64_e32 vcc, v[5:6], v[12:13]
	v_cndmask_b32_e32 v3, v3, v7, vcc
	v_cndmask_b32_e32 v4, v4, v8, vcc
	;; [unrolled: 1-line block ×3, first 2 shown]
	v_add_co_u32_e64 v7, s[2:3], -1, v3
	v_cndmask_b32_e32 v2, v8, v2, vcc
	v_addc_co_u32_e64 v8, s[2:3], -1, v4, s[2:3]
	v_cmp_ge_i64_e32 vcc, v[1:2], v[3:4]
	v_cmp_eq_u64_e64 s[2:3], v[1:2], v[7:8]
	s_or_b64 s[2:3], vcc, s[2:3]
	s_and_b64 s[2:3], exec, s[2:3]
	s_or_b64 s[34:35], s[2:3], s[34:35]
	s_andn2_b64 exec, exec, s[34:35]
	s_cbranch_execnz .LBB20_35
; %bb.36:                               ;   in Loop: Header=BB20_33 Depth=1
	s_or_b64 exec, exec, s[34:35]
.LBB20_37:                              ;   in Loop: Header=BB20_33 Depth=1
	v_lshlrev_b64 v[7:8], 3, v[3:4]
	v_add_co_u32_e32 v7, vcc, s16, v7
	v_addc_co_u32_e32 v8, vcc, v9, v8, vcc
	global_load_dwordx2 v[12:13], v[7:8], off
	v_lshlrev_b64 v[7:8], 3, v[5:6]
	v_add_co_u32_e32 v15, vcc, s18, v7
	v_addc_co_u32_e32 v16, vcc, v14, v8, vcc
	global_load_dwordx2 v[15:16], v[15:16], off
	s_waitcnt vmcnt(1)
	v_subrev_co_u32_e32 v12, vcc, s30, v12
	v_subbrev_co_u32_e32 v13, vcc, 0, v13, vcc
	v_cmp_lt_i64_e32 vcc, v[5:6], v[12:13]
	v_cndmask_b32_e32 v4, v4, v2, vcc
	v_cndmask_b32_e32 v3, v3, v1, vcc
	s_waitcnt vmcnt(0)
	v_subrev_co_u32_e32 v1, vcc, s30, v15
	v_subbrev_co_u32_e32 v2, vcc, 0, v16, vcc
	v_cmp_ne_u64_e32 vcc, v[1:2], v[3:4]
	s_and_saveexec_b64 s[2:3], vcc
	s_cbranch_execz .LBB20_32
; %bb.38:                               ;   in Loop: Header=BB20_33 Depth=1
	v_mov_b32_e32 v12, s21
	v_add_co_u32_e32 v7, vcc, s20, v7
	v_addc_co_u32_e32 v8, vcc, v12, v8, vcc
	global_load_dwordx2 v[12:13], v[7:8], off
	v_lshlrev_b64 v[3:4], 3, v[3:4]
	v_mov_b32_e32 v7, s23
	v_add_co_u32_e32 v3, vcc, s22, v3
	v_addc_co_u32_e32 v4, vcc, v7, v4, vcc
	global_load_dwordx2 v[15:16], v[3:4], off
	v_lshlrev_b64 v[1:2], 3, v[1:2]
	v_mov_b32_e32 v3, s15
	v_add_co_u32_e32 v7, vcc, s14, v1
	v_addc_co_u32_e32 v8, vcc, v3, v2, vcc
	global_load_dwordx2 v[3:4], v[7:8], off
	s_mov_b64 s[34:35], 0
	s_waitcnt vmcnt(2)
	v_mul_f64 v[1:2], v[10:11], v[12:13]
	s_waitcnt vmcnt(1)
	v_mul_f64 v[12:13], v[1:2], v[15:16]
.LBB20_39:                              ;   Parent Loop BB20_33 Depth=1
                                        ; =>  This Inner Loop Header: Depth=2
	s_waitcnt vmcnt(0)
	v_add_f64 v[1:2], v[3:4], v[12:13]
	global_atomic_cmpswap_x2 v[1:2], v[7:8], v[1:4], off glc
	s_waitcnt vmcnt(0)
	v_cmp_eq_u64_e32 vcc, v[1:2], v[3:4]
	v_mov_b32_e32 v4, v2
	s_or_b64 s[34:35], vcc, s[34:35]
	v_mov_b32_e32 v3, v1
	s_andn2_b64 exec, exec, s[34:35]
	s_cbranch_execnz .LBB20_39
	s_branch .LBB20_32
.LBB20_40:
	s_or_b64 exec, exec, s[8:9]
	s_mov_b64 s[0:1], 0
.LBB20_41:
	s_and_b64 vcc, exec, s[0:1]
	s_cbranch_vccz .LBB20_167
; %bb.42:
	s_load_dword s0, s[4:5], 0x6c
	v_mov_b32_e32 v1, s28
	s_mov_b32 s13, 0
	v_mov_b32_e32 v2, s29
	s_mov_b64 s[36:37], 0
	s_waitcnt lgkmcnt(0)
	s_and_b32 s12, s0, 0xffff
	v_cmp_lt_u64_e32 vcc, s[12:13], v[1:2]
	s_cbranch_vccnz .LBB20_44
; %bb.43:
	v_cvt_f32_u32_e32 v1, s28
	s_sub_i32 s0, 0, s28
	v_rcp_iflag_f32_e32 v1, v1
	v_mul_f32_e32 v1, 0x4f7ffffe, v1
	v_cvt_u32_f32_e32 v1, v1
	v_readfirstlane_b32 s1, v1
	s_mul_i32 s0, s0, s1
	s_mul_hi_u32 s0, s1, s0
	s_add_i32 s1, s1, s0
	s_mul_hi_u32 s0, s12, s1
	s_mul_i32 s2, s0, s28
	s_sub_i32 s2, s12, s2
	s_add_i32 s1, s0, 1
	s_sub_i32 s3, s2, s28
	s_cmp_ge_u32 s2, s28
	s_cselect_b32 s0, s1, s0
	s_cselect_b32 s2, s3, s2
	s_add_i32 s1, s0, 1
	s_cmp_ge_u32 s2, s28
	s_cselect_b32 s36, s1, s0
.LBB20_44:
	s_lshl_b64 s[0:1], s[24:25], 3
	s_add_u32 s34, s16, s0
	s_addc_u32 s35, s17, s1
	s_load_dwordx2 s[6:7], s[34:35], 0x0
	s_load_dwordx4 s[8:11], s[4:5], 0x8
	v_subrev_co_u32_e32 v1, vcc, s30, v0
	v_subb_co_u32_e64 v2, s[0:1], 0, 0, vcc
	s_waitcnt lgkmcnt(0)
	v_mov_b32_e32 v3, s7
	v_add_co_u32_e32 v6, vcc, s6, v1
	v_addc_co_u32_e32 v7, vcc, v3, v2, vcc
	v_add_co_u32_e32 v8, vcc, 0x300, v6
	v_addc_co_u32_e32 v9, vcc, 0, v7, vcc
	v_cmp_le_i64_e64 s[0:1], s[8:9], v[8:9]
	v_mov_b32_e32 v1, 0
	s_and_saveexec_b64 s[2:3], s[0:1]
	s_xor_b64 s[2:3], exec, s[2:3]
	s_cbranch_execnz .LBB20_47
; %bb.45:
	s_or_saveexec_b64 s[2:3], s[2:3]
	v_lshlrev_b64 v[2:3], 3, v[6:7]
	s_xor_b64 exec, exec, s[2:3]
	s_cbranch_execnz .LBB20_51
.LBB20_46:
	s_or_b64 exec, exec, s[2:3]
	v_cmp_gt_i64_e32 vcc, s[10:11], v[0:1]
	s_and_saveexec_b64 s[2:3], vcc
	s_cbranch_execnz .LBB20_52
	s_branch .LBB20_54
.LBB20_47:
	s_lshl_b64 s[4:5], s[26:27], 3
	s_add_u32 s4, s16, s4
	s_addc_u32 s5, s17, s5
	s_load_dwordx2 s[4:5], s[4:5], 0x0
	s_waitcnt lgkmcnt(0)
	s_sub_u32 s4, s4, s6
	s_subb_u32 s5, s5, s7
	v_cmp_gt_i64_e32 vcc, s[4:5], v[0:1]
	s_and_saveexec_b64 s[8:9], vcc
	s_cbranch_execz .LBB20_50
; %bb.48:
	v_lshlrev_b64 v[2:3], 3, v[6:7]
	v_mov_b32_e32 v4, s21
	v_add_co_u32_e32 v2, vcc, s20, v2
	v_addc_co_u32_e32 v3, vcc, v4, v3, vcc
	v_mov_b32_e32 v5, v1
	s_mov_b64 s[38:39], 0
	v_mov_b32_e32 v12, v18
	v_mov_b32_e32 v4, v0
.LBB20_49:                              ; =>This Inner Loop Header: Depth=1
	global_load_dwordx2 v[13:14], v[2:3], off
	v_add_co_u32_e32 v2, vcc, 0x800, v2
	v_addc_co_u32_e32 v3, vcc, 0, v3, vcc
	v_add_co_u32_e32 v4, vcc, 0x100, v4
	v_addc_co_u32_e32 v5, vcc, 0, v5, vcc
	v_cmp_le_i64_e32 vcc, s[4:5], v[4:5]
	s_or_b64 s[38:39], vcc, s[38:39]
	s_waitcnt vmcnt(0)
	v_mul_f64 v[13:14], v[10:11], v[13:14]
	ds_write_b64 v12, v[13:14]
	v_add_u32_e32 v12, 0x800, v12
	s_andn2_b64 exec, exec, s[38:39]
	s_cbranch_execnz .LBB20_49
.LBB20_50:
	s_or_b64 exec, exec, s[8:9]
                                        ; implicit-def: $vgpr10_vgpr11
	s_or_saveexec_b64 s[2:3], s[2:3]
	v_lshlrev_b64 v[2:3], 3, v[6:7]
	s_xor_b64 exec, exec, s[2:3]
	s_cbranch_execz .LBB20_46
.LBB20_51:
	v_mov_b32_e32 v5, s21
	v_add_co_u32_e32 v4, vcc, s20, v2
	v_addc_co_u32_e32 v5, vcc, v5, v3, vcc
	v_add_co_u32_e32 v12, vcc, 0x1000, v4
	v_addc_co_u32_e32 v13, vcc, 0, v5, vcc
	global_load_dwordx2 v[14:15], v[4:5], off
	global_load_dwordx2 v[16:17], v[4:5], off offset:2048
	global_load_dwordx2 v[19:20], v[12:13], off
	global_load_dwordx2 v[21:22], v[12:13], off offset:2048
	s_waitcnt vmcnt(3)
	v_mul_f64 v[4:5], v[10:11], v[14:15]
	s_waitcnt vmcnt(2)
	v_mul_f64 v[12:13], v[10:11], v[16:17]
	;; [unrolled: 2-line block ×4, first 2 shown]
	ds_write2st64_b64 v18, v[4:5], v[12:13] offset1:4
	ds_write2st64_b64 v18, v[14:15], v[10:11] offset0:8 offset1:12
	s_or_b64 exec, exec, s[2:3]
	v_cmp_gt_i64_e32 vcc, s[10:11], v[0:1]
	s_and_saveexec_b64 s[2:3], vcc
	s_cbranch_execz .LBB20_54
.LBB20_52:
	v_mov_b32_e32 v4, 0x2000
	v_lshl_add_u32 v12, v0, 3, v4
	v_mov_b32_e32 v4, 0
	v_mov_b32_e32 v11, v1
	s_mov_b64 s[4:5], 0
	v_mov_b32_e32 v5, v4
	v_mov_b32_e32 v10, v0
.LBB20_53:                              ; =>This Inner Loop Header: Depth=1
	v_add_co_u32_e32 v10, vcc, 0x100, v10
	v_addc_co_u32_e32 v11, vcc, 0, v11, vcc
	v_cmp_le_i64_e32 vcc, s[10:11], v[10:11]
	ds_write_b64 v12, v[4:5]
	s_or_b64 s[4:5], vcc, s[4:5]
	v_add_u32_e32 v12, 0x800, v12
	s_andn2_b64 exec, exec, s[4:5]
	s_cbranch_execnz .LBB20_53
.LBB20_54:
	s_or_b64 exec, exec, s[2:3]
	v_mov_b32_e32 v4, s10
	v_mov_b32_e32 v5, s11
	s_sub_u32 s4, s26, s10
	v_cmp_ge_i64_e32 vcc, s[26:27], v[4:5]
	s_subb_u32 s5, s27, s11
	s_and_b64 s[2:3], vcc, exec
	s_cselect_b32 s9, s5, 0
	s_cselect_b32 s8, s4, 0
	s_waitcnt lgkmcnt(0)
	s_barrier
	s_and_saveexec_b64 s[2:3], s[0:1]
	s_xor_b64 s[20:21], exec, s[2:3]
	s_cbranch_execz .LBB20_75
; %bb.55:
	s_lshl_b64 s[0:1], s[26:27], 3
	s_add_u32 s0, s16, s0
	s_addc_u32 s1, s17, s1
	s_load_dwordx2 s[0:1], s[0:1], 0x0
	s_waitcnt lgkmcnt(0)
	s_sub_u32 s38, s0, s6
	s_subb_u32 s39, s1, s7
	v_cmp_gt_i64_e32 vcc, s[38:39], v[0:1]
	s_and_saveexec_b64 s[40:41], vcc
	s_cbranch_execz .LBB20_74
; %bb.56:
	s_add_u32 s42, s26, -1
	s_addc_u32 s43, s27, -1
	s_add_u32 s2, s26, -2
	s_addc_u32 s3, s27, -1
	s_cmp_lg_u64 s[24:25], s[2:3]
	s_cselect_b64 s[2:3], -1, 0
	s_sub_u32 s44, s0, s30
	v_cndmask_b32_e64 v2, 0, 1, s[2:3]
	s_subb_u32 s45, s1, 0
	s_mov_b64 s[46:47], 0
	v_cmp_ne_u32_e64 s[0:1], 1, v2
	v_mov_b32_e32 v16, s17
	v_mov_b32_e32 v17, s19
	;; [unrolled: 1-line block ×4, first 2 shown]
	s_mov_b64 s[48:49], 0
	s_branch .LBB20_59
.LBB20_57:                              ;   in Loop: Header=BB20_59 Depth=1
	s_or_b64 exec, exec, s[2:3]
.LBB20_58:                              ;   in Loop: Header=BB20_59 Depth=1
	s_or_b64 exec, exec, s[4:5]
	v_lshlrev_b64 v[2:3], 3, v[8:9]
	s_add_u32 s48, s48, 0x100
	v_add_co_u32_e32 v2, vcc, s22, v2
	v_addc_co_u32_e32 v3, vcc, v19, v3, vcc
	global_load_dwordx2 v[2:3], v[2:3], off
	s_addc_u32 s49, s49, 0
	v_mov_b32_e32 v5, s49
	v_add_co_u32_e32 v4, vcc, s48, v0
	v_addc_co_u32_e32 v5, vcc, 0, v5, vcc
	v_cmp_le_i64_e32 vcc, s[38:39], v[4:5]
	v_lshlrev_b32_e32 v4, 3, v21
	s_or_b64 s[46:47], vcc, s[46:47]
	s_waitcnt vmcnt(0) lgkmcnt(0)
	v_mul_f64 v[2:3], v[2:3], v[10:11]
	ds_write_b64 v4, v[2:3]
	s_andn2_b64 exec, exec, s[46:47]
	s_cbranch_execz .LBB20_74
.LBB20_59:                              ; =>This Loop Header: Depth=1
                                        ;     Child Loop BB20_61 Depth 2
                                        ;     Child Loop BB20_68 Depth 2
	;; [unrolled: 1-line block ×3, first 2 shown]
	v_mov_b32_e32 v3, s49
	v_add_co_u32_e32 v2, vcc, s48, v6
	v_addc_co_u32_e32 v3, vcc, v3, v7, vcc
	v_mov_b32_e32 v4, s24
	v_mov_b32_e32 v10, s42
	s_and_b64 vcc, exec, s[0:1]
	v_mov_b32_e32 v5, s25
	v_mov_b32_e32 v11, s43
	s_cbranch_vccnz .LBB20_63
; %bb.60:                               ;   in Loop: Header=BB20_59 Depth=1
	v_mov_b32_e32 v4, s24
	v_mov_b32_e32 v10, s42
	s_mov_b64 s[4:5], 0
	v_mov_b32_e32 v5, s25
	v_mov_b32_e32 v11, s43
.LBB20_61:                              ;   Parent Loop BB20_59 Depth=1
                                        ; =>  This Inner Loop Header: Depth=2
	v_add_co_u32_e32 v8, vcc, v10, v4
	v_addc_co_u32_e32 v9, vcc, v11, v5, vcc
	v_lshrrev_b32_e32 v12, 31, v9
	v_add_co_u32_e32 v8, vcc, v8, v12
	v_addc_co_u32_e32 v9, vcc, 0, v9, vcc
	v_ashrrev_i64 v[8:9], 1, v[8:9]
	v_mov_b32_e32 v14, s17
	v_lshlrev_b64 v[12:13], 3, v[8:9]
	v_add_co_u32_e32 v12, vcc, s16, v12
	v_addc_co_u32_e32 v13, vcc, v14, v13, vcc
	global_load_dwordx2 v[12:13], v[12:13], off
	s_waitcnt vmcnt(0)
	v_subrev_co_u32_e32 v12, vcc, s30, v12
	v_subbrev_co_u32_e32 v13, vcc, 0, v13, vcc
	v_cmp_lt_i64_e32 vcc, v[2:3], v[12:13]
	v_cndmask_b32_e32 v10, v10, v8, vcc
	v_cndmask_b32_e32 v11, v11, v9, vcc
	v_cndmask_b32_e32 v4, v8, v4, vcc
	v_add_co_u32_e64 v8, s[2:3], -1, v10
	v_cndmask_b32_e32 v5, v9, v5, vcc
	v_addc_co_u32_e64 v9, s[2:3], -1, v11, s[2:3]
	v_cmp_ge_i64_e32 vcc, v[4:5], v[10:11]
	v_cmp_eq_u64_e64 s[2:3], v[4:5], v[8:9]
	s_or_b64 s[2:3], vcc, s[2:3]
	s_and_b64 s[2:3], exec, s[2:3]
	s_or_b64 s[4:5], s[2:3], s[4:5]
	s_andn2_b64 exec, exec, s[4:5]
	s_cbranch_execnz .LBB20_61
; %bb.62:                               ;   in Loop: Header=BB20_59 Depth=1
	s_or_b64 exec, exec, s[4:5]
.LBB20_63:                              ;   in Loop: Header=BB20_59 Depth=1
	v_lshlrev_b64 v[8:9], 3, v[10:11]
	v_lshlrev_b64 v[12:13], 3, v[2:3]
	v_add_co_u32_e32 v8, vcc, s16, v8
	v_addc_co_u32_e32 v9, vcc, v16, v9, vcc
	global_load_dwordx2 v[8:9], v[8:9], off
	v_add_co_u32_e32 v12, vcc, s18, v12
	v_addc_co_u32_e32 v13, vcc, v17, v13, vcc
	global_load_dwordx2 v[12:13], v[12:13], off
	v_cmp_le_i64_e32 vcc, s[44:45], v[2:3]
	v_add_co_u32_e64 v21, s[4:5], s48, v0
	s_waitcnt vmcnt(1)
	v_subrev_co_u32_e64 v14, s[2:3], s30, v8
	v_subbrev_co_u32_e64 v15, s[2:3], 0, v9, s[2:3]
	s_waitcnt vmcnt(0)
	v_subrev_co_u32_e64 v8, s[2:3], s30, v12
	v_subbrev_co_u32_e64 v9, s[2:3], 0, v13, s[2:3]
	v_cmp_lt_i64_e64 s[2:3], v[2:3], v[14:15]
	v_lshlrev_b32_e32 v14, 3, v21
	v_cndmask_b32_e64 v3, v11, v5, s[2:3]
	v_cndmask_b32_e64 v2, v10, v4, s[2:3]
	v_cmp_eq_u64_e64 s[2:3], v[8:9], v[2:3]
                                        ; implicit-def: $vgpr10_vgpr11
	s_or_b64 s[2:3], s[2:3], vcc
	s_and_saveexec_b64 s[4:5], s[2:3]
	s_xor_b64 s[2:3], exec, s[4:5]
; %bb.64:                               ;   in Loop: Header=BB20_59 Depth=1
	ds_read_b64 v[10:11], v14
                                        ; implicit-def: $vgpr2_vgpr3
                                        ; implicit-def: $vgpr14
; %bb.65:                               ;   in Loop: Header=BB20_59 Depth=1
	s_andn2_saveexec_b64 s[4:5], s[2:3]
	s_cbranch_execz .LBB20_58
; %bb.66:                               ;   in Loop: Header=BB20_59 Depth=1
	v_cmp_gt_i64_e32 vcc, s[8:9], v[8:9]
	v_cmp_le_i64_e64 s[2:3], s[26:27], v[8:9]
	v_lshlrev_b64 v[2:3], 3, v[2:3]
	s_or_b64 s[2:3], vcc, s[2:3]
                                        ; implicit-def: $vgpr10_vgpr11
	s_and_saveexec_b64 s[50:51], s[2:3]
	s_xor_b64 s[2:3], exec, s[50:51]
	s_cbranch_execz .LBB20_70
; %bb.67:                               ;   in Loop: Header=BB20_59 Depth=1
	v_mov_b32_e32 v4, s23
	v_add_co_u32_e32 v2, vcc, s22, v2
	v_addc_co_u32_e32 v3, vcc, v4, v3, vcc
	global_load_dwordx2 v[2:3], v[2:3], off
	v_lshlrev_b64 v[4:5], 3, v[8:9]
	s_waitcnt lgkmcnt(0)
	v_mov_b32_e32 v10, s15
	v_add_co_u32_e32 v12, vcc, s14, v4
	v_addc_co_u32_e32 v13, vcc, v10, v5, vcc
	global_load_dwordx2 v[4:5], v[12:13], off
	ds_read_b64 v[10:11], v14
	s_mov_b64 s[50:51], 0
	s_waitcnt vmcnt(1) lgkmcnt(0)
	v_mul_f64 v[14:15], v[10:11], v[2:3]
.LBB20_68:                              ;   Parent Loop BB20_59 Depth=1
                                        ; =>  This Inner Loop Header: Depth=2
	s_waitcnt vmcnt(0)
	v_add_f64 v[2:3], v[4:5], v[14:15]
	global_atomic_cmpswap_x2 v[2:3], v[12:13], v[2:5], off glc
	s_waitcnt vmcnt(0)
	v_cmp_eq_u64_e32 vcc, v[2:3], v[4:5]
	v_mov_b32_e32 v5, v3
	s_or_b64 s[50:51], vcc, s[50:51]
	v_mov_b32_e32 v4, v2
	s_andn2_b64 exec, exec, s[50:51]
	s_cbranch_execnz .LBB20_68
; %bb.69:                               ;   in Loop: Header=BB20_59 Depth=1
	s_or_b64 exec, exec, s[50:51]
                                        ; implicit-def: $vgpr14
                                        ; implicit-def: $vgpr2_vgpr3
.LBB20_70:                              ;   in Loop: Header=BB20_59 Depth=1
	s_andn2_saveexec_b64 s[2:3], s[2:3]
	s_cbranch_execz .LBB20_57
; %bb.71:                               ;   in Loop: Header=BB20_59 Depth=1
	v_add_co_u32_e32 v2, vcc, s22, v2
	v_addc_co_u32_e32 v3, vcc, v19, v3, vcc
	global_load_dwordx2 v[2:3], v[2:3], off
	s_waitcnt lgkmcnt(0)
	ds_read_b64 v[10:11], v14
	v_subrev_u32_e32 v4, s8, v8
	v_lshl_add_u32 v12, v4, 3, v20
	ds_read_b64 v[4:5], v12
	s_mov_b64 s[50:51], 0
	s_waitcnt vmcnt(0) lgkmcnt(1)
	v_mul_f64 v[2:3], v[10:11], v[2:3]
.LBB20_72:                              ;   Parent Loop BB20_59 Depth=1
                                        ; =>  This Inner Loop Header: Depth=2
	s_waitcnt lgkmcnt(0)
	v_add_f64 v[13:14], v[4:5], v[2:3]
	ds_cmpst_rtn_b64 v[13:14], v12, v[4:5], v[13:14]
	s_waitcnt lgkmcnt(0)
	v_cmp_eq_u64_e32 vcc, v[13:14], v[4:5]
	v_mov_b32_e32 v4, v13
	s_or_b64 s[50:51], vcc, s[50:51]
	v_mov_b32_e32 v5, v14
	s_andn2_b64 exec, exec, s[50:51]
	s_cbranch_execnz .LBB20_72
; %bb.73:                               ;   in Loop: Header=BB20_59 Depth=1
	s_or_b64 exec, exec, s[50:51]
	s_branch .LBB20_57
.LBB20_74:
	s_or_b64 exec, exec, s[40:41]
                                        ; implicit-def: $vgpr8_vgpr9
                                        ; implicit-def: $vgpr6
                                        ; implicit-def: $vgpr2_vgpr3
.LBB20_75:
	s_andn2_saveexec_b64 s[4:5], s[20:21]
	s_cbranch_execz .LBB20_133
; %bb.76:
	s_add_u32 s20, s26, -1
	s_addc_u32 s21, s27, -1
	s_add_u32 s0, s26, -2
	s_addc_u32 s1, s27, -1
	s_cmp_lg_u64 s[24:25], s[0:1]
	v_mov_b32_e32 v4, s24
	v_mov_b32_e32 v12, s20
	s_cselect_b64 s[2:3], -1, 0
	s_cmp_eq_u64 s[24:25], s[0:1]
	v_mov_b32_e32 v5, s25
	v_mov_b32_e32 v13, s21
	s_cbranch_scc1 .LBB20_80
; %bb.77:
	v_mov_b32_e32 v4, s24
	v_mov_b32_e32 v12, s20
	s_mov_b64 s[38:39], 0
	v_mov_b32_e32 v5, s25
	v_mov_b32_e32 v13, s21
	;; [unrolled: 1-line block ×3, first 2 shown]
.LBB20_78:                              ; =>This Inner Loop Header: Depth=1
	v_add_co_u32_e32 v11, vcc, v12, v4
	v_addc_co_u32_e32 v15, vcc, v13, v5, vcc
	v_lshrrev_b32_e32 v14, 31, v15
	v_add_co_u32_e32 v14, vcc, v11, v14
	v_addc_co_u32_e32 v15, vcc, 0, v15, vcc
	v_ashrrev_i64 v[14:15], 1, v[14:15]
	v_lshlrev_b64 v[16:17], 3, v[14:15]
	v_add_co_u32_e32 v16, vcc, s16, v16
	v_addc_co_u32_e32 v17, vcc, v10, v17, vcc
	global_load_dwordx2 v[16:17], v[16:17], off
	s_waitcnt vmcnt(0)
	v_subrev_co_u32_e32 v16, vcc, s30, v16
	v_subbrev_co_u32_e32 v17, vcc, 0, v17, vcc
	v_cmp_lt_i64_e32 vcc, v[6:7], v[16:17]
	v_cndmask_b32_e32 v12, v12, v14, vcc
	v_cndmask_b32_e32 v13, v13, v15, vcc
	v_cndmask_b32_e32 v4, v14, v4, vcc
	v_add_co_u32_e64 v14, s[0:1], -1, v12
	v_cndmask_b32_e32 v5, v15, v5, vcc
	v_addc_co_u32_e64 v15, s[0:1], -1, v13, s[0:1]
	v_cmp_ge_i64_e32 vcc, v[4:5], v[12:13]
	v_cmp_eq_u64_e64 s[0:1], v[4:5], v[14:15]
	s_or_b64 s[0:1], vcc, s[0:1]
	s_and_b64 s[0:1], exec, s[0:1]
	s_or_b64 s[38:39], s[0:1], s[38:39]
	s_andn2_b64 exec, exec, s[38:39]
	s_cbranch_execnz .LBB20_78
; %bb.79:
	s_or_b64 exec, exec, s[38:39]
.LBB20_80:
	v_lshlrev_b64 v[10:11], 3, v[12:13]
	v_mov_b32_e32 v14, s17
	v_add_co_u32_e32 v10, vcc, s16, v10
	v_addc_co_u32_e32 v11, vcc, v14, v11, vcc
	global_load_dwordx2 v[14:15], v[10:11], off
	v_mov_b32_e32 v11, s19
	v_add_co_u32_e32 v10, vcc, s18, v2
	v_addc_co_u32_e32 v11, vcc, v11, v3, vcc
	global_load_dwordx2 v[16:17], v[10:11], off
	s_lshl_b64 s[0:1], s[26:27], 3
	s_add_u32 s18, s16, s0
	s_addc_u32 s19, s17, s1
	s_waitcnt vmcnt(1)
	v_subrev_co_u32_e32 v2, vcc, s30, v14
	v_subbrev_co_u32_e32 v3, vcc, 0, v15, vcc
	v_cmp_lt_i64_e32 vcc, v[6:7], v[2:3]
	v_cndmask_b32_e32 v3, v13, v5, vcc
	v_cndmask_b32_e32 v2, v12, v4, vcc
	s_waitcnt vmcnt(0)
	v_subrev_co_u32_e32 v12, vcc, s30, v16
	v_subbrev_co_u32_e32 v13, vcc, 0, v17, vcc
	v_cmp_ne_u64_e32 vcc, v[12:13], v[2:3]
	s_and_saveexec_b64 s[38:39], vcc
	s_cbranch_execz .LBB20_90
; %bb.81:
	s_load_dwordx2 s[0:1], s[18:19], 0x0
	s_waitcnt lgkmcnt(0)
	s_sub_u32 s0, s0, s30
	s_subb_u32 s1, s1, 0
	v_cmp_gt_i64_e32 vcc, s[0:1], v[6:7]
	s_and_b64 exec, exec, vcc
	s_cbranch_execz .LBB20_90
; %bb.82:
	v_cmp_gt_i64_e32 vcc, s[8:9], v[12:13]
	v_cmp_le_i64_e64 s[0:1], s[26:27], v[12:13]
	v_lshlrev_b64 v[2:3], 3, v[2:3]
	s_or_b64 s[0:1], vcc, s[0:1]
	s_and_saveexec_b64 s[40:41], s[0:1]
	s_xor_b64 s[0:1], exec, s[40:41]
	s_cbranch_execz .LBB20_86
; %bb.83:
	v_mov_b32_e32 v4, s23
	v_add_co_u32_e32 v2, vcc, s22, v2
	v_addc_co_u32_e32 v3, vcc, v4, v3, vcc
	global_load_dwordx2 v[2:3], v[2:3], off
	v_lshlrev_b64 v[4:5], 3, v[12:13]
	v_mov_b32_e32 v15, s15
	v_add_co_u32_e32 v14, vcc, s14, v4
	v_addc_co_u32_e32 v15, vcc, v15, v5, vcc
	global_load_dwordx2 v[4:5], v[14:15], off
	ds_read_b64 v[16:17], v18
	s_mov_b64 s[40:41], 0
	s_waitcnt vmcnt(1) lgkmcnt(0)
	v_mul_f64 v[16:17], v[16:17], v[2:3]
.LBB20_84:                              ; =>This Inner Loop Header: Depth=1
	s_waitcnt vmcnt(0)
	v_add_f64 v[2:3], v[4:5], v[16:17]
	global_atomic_cmpswap_x2 v[2:3], v[14:15], v[2:5], off glc
	s_waitcnt vmcnt(0)
	v_cmp_eq_u64_e32 vcc, v[2:3], v[4:5]
	v_mov_b32_e32 v5, v3
	s_or_b64 s[40:41], vcc, s[40:41]
	v_mov_b32_e32 v4, v2
	s_andn2_b64 exec, exec, s[40:41]
	s_cbranch_execnz .LBB20_84
; %bb.85:
	s_or_b64 exec, exec, s[40:41]
                                        ; implicit-def: $vgpr2_vgpr3
.LBB20_86:
	s_andn2_saveexec_b64 s[0:1], s[0:1]
	s_cbranch_execz .LBB20_90
; %bb.87:
	v_mov_b32_e32 v4, s23
	v_add_co_u32_e32 v2, vcc, s22, v2
	v_addc_co_u32_e32 v3, vcc, v4, v3, vcc
	global_load_dwordx2 v[2:3], v[2:3], off
	ds_read_b64 v[4:5], v18
	v_subrev_u32_e32 v14, s8, v12
	s_mov_b64 s[0:1], 0
	s_waitcnt vmcnt(0) lgkmcnt(0)
	v_mul_f64 v[2:3], v[4:5], v[2:3]
	v_mov_b32_e32 v4, 0x2000
	v_lshl_add_u32 v14, v14, 3, v4
	ds_read_b64 v[4:5], v14
.LBB20_88:                              ; =>This Inner Loop Header: Depth=1
	s_waitcnt lgkmcnt(0)
	v_add_f64 v[15:16], v[4:5], v[2:3]
	ds_cmpst_rtn_b64 v[15:16], v14, v[4:5], v[15:16]
	s_waitcnt lgkmcnt(0)
	v_cmp_eq_u64_e32 vcc, v[15:16], v[4:5]
	v_mov_b32_e32 v4, v15
	s_or_b64 s[0:1], vcc, s[0:1]
	v_mov_b32_e32 v5, v16
	s_andn2_b64 exec, exec, s[0:1]
	s_cbranch_execnz .LBB20_88
; %bb.89:
	s_or_b64 exec, exec, s[0:1]
.LBB20_90:
	s_or_b64 exec, exec, s[38:39]
	v_lshlrev_b64 v[2:3], 3, v[12:13]
	v_mov_b32_e32 v4, s23
	v_add_co_u32_e32 v2, vcc, s22, v2
	v_addc_co_u32_e32 v3, vcc, v4, v3, vcc
	global_load_dwordx2 v[3:4], v[2:3], off
	ds_read_b64 v[12:13], v18
	v_add_co_u32_e32 v2, vcc, 0x100, v6
	v_cndmask_b32_e64 v14, 0, 1, s[2:3]
	v_cmp_ne_u32_e64 s[0:1], 1, v14
	s_waitcnt vmcnt(0) lgkmcnt(0)
	v_mul_f64 v[12:13], v[3:4], v[12:13]
	v_mov_b32_e32 v4, s24
	v_addc_co_u32_e32 v3, vcc, 0, v7, vcc
	v_mov_b32_e32 v5, s25
	s_andn2_b64 vcc, exec, s[2:3]
	ds_write_b64 v18, v[12:13]
	v_mov_b32_e32 v12, s20
	v_mov_b32_e32 v13, s21
	s_cbranch_vccnz .LBB20_94
; %bb.91:
	v_mov_b32_e32 v4, s24
	v_mov_b32_e32 v12, s20
	s_mov_b64 s[38:39], 0
	v_mov_b32_e32 v5, s25
	v_mov_b32_e32 v13, s21
	;; [unrolled: 1-line block ×3, first 2 shown]
.LBB20_92:                              ; =>This Inner Loop Header: Depth=1
	v_add_co_u32_e32 v15, vcc, v12, v4
	v_addc_co_u32_e32 v16, vcc, v13, v5, vcc
	v_lshrrev_b32_e32 v17, 31, v16
	v_add_co_u32_e32 v15, vcc, v15, v17
	v_addc_co_u32_e32 v16, vcc, 0, v16, vcc
	v_ashrrev_i64 v[15:16], 1, v[15:16]
	v_lshlrev_b64 v[19:20], 3, v[15:16]
	v_add_co_u32_e32 v19, vcc, s16, v19
	v_addc_co_u32_e32 v20, vcc, v14, v20, vcc
	global_load_dwordx2 v[19:20], v[19:20], off
	s_waitcnt vmcnt(0)
	v_subrev_co_u32_e32 v19, vcc, s30, v19
	v_subbrev_co_u32_e32 v20, vcc, 0, v20, vcc
	v_cmp_lt_i64_e32 vcc, v[2:3], v[19:20]
	v_cndmask_b32_e32 v12, v12, v15, vcc
	v_cndmask_b32_e32 v13, v13, v16, vcc
	;; [unrolled: 1-line block ×3, first 2 shown]
	v_add_co_u32_e64 v15, s[2:3], -1, v12
	v_cndmask_b32_e32 v5, v16, v5, vcc
	v_addc_co_u32_e64 v16, s[2:3], -1, v13, s[2:3]
	v_cmp_ge_i64_e32 vcc, v[4:5], v[12:13]
	v_cmp_eq_u64_e64 s[2:3], v[4:5], v[15:16]
	s_or_b64 s[2:3], vcc, s[2:3]
	s_and_b64 s[2:3], exec, s[2:3]
	s_or_b64 s[38:39], s[2:3], s[38:39]
	s_andn2_b64 exec, exec, s[38:39]
	s_cbranch_execnz .LBB20_92
; %bb.93:
	s_or_b64 exec, exec, s[38:39]
.LBB20_94:
	v_lshlrev_b64 v[14:15], 3, v[12:13]
	v_mov_b32_e32 v16, s17
	v_add_co_u32_e32 v14, vcc, s16, v14
	v_addc_co_u32_e32 v15, vcc, v16, v15, vcc
	global_load_dwordx2 v[16:17], v[14:15], off
	global_load_dwordx2 v[19:20], v[10:11], off offset:2048
	s_waitcnt vmcnt(1)
	v_subrev_co_u32_e32 v14, vcc, s30, v16
	v_subbrev_co_u32_e32 v15, vcc, 0, v17, vcc
	v_cmp_lt_i64_e32 vcc, v[2:3], v[14:15]
	v_cndmask_b32_e32 v5, v13, v5, vcc
	v_cndmask_b32_e32 v4, v12, v4, vcc
	s_waitcnt vmcnt(0)
	v_subrev_co_u32_e32 v12, vcc, s30, v19
	v_subbrev_co_u32_e32 v13, vcc, 0, v20, vcc
	v_cmp_ne_u64_e32 vcc, v[12:13], v[4:5]
	s_and_saveexec_b64 s[38:39], vcc
	s_cbranch_execz .LBB20_104
; %bb.95:
	s_load_dwordx2 s[2:3], s[18:19], 0x0
	s_waitcnt lgkmcnt(0)
	s_sub_u32 s2, s2, s30
	s_subb_u32 s3, s3, 0
	v_cmp_gt_i64_e32 vcc, s[2:3], v[2:3]
	s_and_b64 exec, exec, vcc
	s_cbranch_execz .LBB20_104
; %bb.96:
	v_cmp_gt_i64_e32 vcc, s[8:9], v[12:13]
	v_cmp_le_i64_e64 s[2:3], s[26:27], v[12:13]
	v_lshlrev_b64 v[2:3], 3, v[4:5]
	s_or_b64 s[2:3], vcc, s[2:3]
	s_and_saveexec_b64 s[40:41], s[2:3]
	s_xor_b64 s[2:3], exec, s[40:41]
	s_cbranch_execz .LBB20_100
; %bb.97:
	v_mov_b32_e32 v4, s23
	v_add_co_u32_e32 v2, vcc, s22, v2
	v_addc_co_u32_e32 v3, vcc, v4, v3, vcc
	global_load_dwordx2 v[2:3], v[2:3], off
	v_lshlrev_b64 v[4:5], 3, v[12:13]
	v_mov_b32_e32 v15, s15
	v_add_co_u32_e32 v14, vcc, s14, v4
	v_addc_co_u32_e32 v15, vcc, v15, v5, vcc
	global_load_dwordx2 v[4:5], v[14:15], off
	ds_read_b64 v[16:17], v18 offset:2048
	s_mov_b64 s[40:41], 0
	s_waitcnt vmcnt(1) lgkmcnt(0)
	v_mul_f64 v[16:17], v[16:17], v[2:3]
.LBB20_98:                              ; =>This Inner Loop Header: Depth=1
	s_waitcnt vmcnt(0)
	v_add_f64 v[2:3], v[4:5], v[16:17]
	global_atomic_cmpswap_x2 v[2:3], v[14:15], v[2:5], off glc
	s_waitcnt vmcnt(0)
	v_cmp_eq_u64_e32 vcc, v[2:3], v[4:5]
	v_mov_b32_e32 v5, v3
	s_or_b64 s[40:41], vcc, s[40:41]
	v_mov_b32_e32 v4, v2
	s_andn2_b64 exec, exec, s[40:41]
	s_cbranch_execnz .LBB20_98
; %bb.99:
	s_or_b64 exec, exec, s[40:41]
                                        ; implicit-def: $vgpr2_vgpr3
.LBB20_100:
	s_andn2_saveexec_b64 s[2:3], s[2:3]
	s_cbranch_execz .LBB20_104
; %bb.101:
	v_mov_b32_e32 v4, s23
	v_add_co_u32_e32 v2, vcc, s22, v2
	v_addc_co_u32_e32 v3, vcc, v4, v3, vcc
	global_load_dwordx2 v[2:3], v[2:3], off
	ds_read_b64 v[4:5], v18 offset:2048
	v_subrev_u32_e32 v14, s8, v12
	s_mov_b64 s[2:3], 0
	s_waitcnt vmcnt(0) lgkmcnt(0)
	v_mul_f64 v[2:3], v[4:5], v[2:3]
	v_mov_b32_e32 v4, 0x2000
	v_lshl_add_u32 v14, v14, 3, v4
	ds_read_b64 v[4:5], v14
.LBB20_102:                             ; =>This Inner Loop Header: Depth=1
	s_waitcnt lgkmcnt(0)
	v_add_f64 v[15:16], v[4:5], v[2:3]
	ds_cmpst_rtn_b64 v[15:16], v14, v[4:5], v[15:16]
	s_waitcnt lgkmcnt(0)
	v_cmp_eq_u64_e32 vcc, v[15:16], v[4:5]
	v_mov_b32_e32 v4, v15
	s_or_b64 s[2:3], vcc, s[2:3]
	v_mov_b32_e32 v5, v16
	s_andn2_b64 exec, exec, s[2:3]
	s_cbranch_execnz .LBB20_102
; %bb.103:
	s_or_b64 exec, exec, s[2:3]
.LBB20_104:
	s_or_b64 exec, exec, s[38:39]
	v_lshlrev_b64 v[2:3], 3, v[12:13]
	v_mov_b32_e32 v4, s23
	v_add_co_u32_e32 v2, vcc, s22, v2
	v_addc_co_u32_e32 v3, vcc, v4, v3, vcc
	global_load_dwordx2 v[2:3], v[2:3], off
	ds_read_b64 v[4:5], v18 offset:2048
	s_waitcnt vmcnt(0) lgkmcnt(0)
	v_mul_f64 v[12:13], v[2:3], v[4:5]
	v_add_co_u32_e32 v2, vcc, 0x200, v6
	v_mov_b32_e32 v4, s24
	v_addc_co_u32_e32 v3, vcc, 0, v7, vcc
	v_mov_b32_e32 v6, s20
	v_mov_b32_e32 v5, s25
	s_and_b64 vcc, exec, s[0:1]
	v_mov_b32_e32 v7, s21
	ds_write_b64 v18, v[12:13] offset:2048
	s_cbranch_vccnz .LBB20_108
; %bb.105:
	v_mov_b32_e32 v4, s24
	v_mov_b32_e32 v6, s20
	s_mov_b64 s[38:39], 0
	v_mov_b32_e32 v5, s25
	v_mov_b32_e32 v7, s21
	;; [unrolled: 1-line block ×3, first 2 shown]
.LBB20_106:                             ; =>This Inner Loop Header: Depth=1
	v_add_co_u32_e32 v13, vcc, v6, v4
	v_addc_co_u32_e32 v14, vcc, v7, v5, vcc
	v_lshrrev_b32_e32 v15, 31, v14
	v_add_co_u32_e32 v13, vcc, v13, v15
	v_addc_co_u32_e32 v14, vcc, 0, v14, vcc
	v_ashrrev_i64 v[13:14], 1, v[13:14]
	v_lshlrev_b64 v[15:16], 3, v[13:14]
	v_add_co_u32_e32 v15, vcc, s16, v15
	v_addc_co_u32_e32 v16, vcc, v12, v16, vcc
	global_load_dwordx2 v[15:16], v[15:16], off
	s_waitcnt vmcnt(0)
	v_subrev_co_u32_e32 v15, vcc, s30, v15
	v_subbrev_co_u32_e32 v16, vcc, 0, v16, vcc
	v_cmp_lt_i64_e32 vcc, v[2:3], v[15:16]
	v_cndmask_b32_e32 v6, v6, v13, vcc
	v_cndmask_b32_e32 v7, v7, v14, vcc
	;; [unrolled: 1-line block ×3, first 2 shown]
	v_add_co_u32_e64 v13, s[2:3], -1, v6
	v_cndmask_b32_e32 v5, v14, v5, vcc
	v_addc_co_u32_e64 v14, s[2:3], -1, v7, s[2:3]
	v_cmp_ge_i64_e32 vcc, v[4:5], v[6:7]
	v_cmp_eq_u64_e64 s[2:3], v[4:5], v[13:14]
	s_or_b64 s[2:3], vcc, s[2:3]
	s_and_b64 s[2:3], exec, s[2:3]
	s_or_b64 s[38:39], s[2:3], s[38:39]
	s_andn2_b64 exec, exec, s[38:39]
	s_cbranch_execnz .LBB20_106
; %bb.107:
	s_or_b64 exec, exec, s[38:39]
.LBB20_108:
	v_lshlrev_b64 v[12:13], 3, v[6:7]
	v_mov_b32_e32 v14, s17
	v_add_co_u32_e32 v12, vcc, s16, v12
	v_addc_co_u32_e32 v13, vcc, v14, v13, vcc
	global_load_dwordx2 v[12:13], v[12:13], off
	v_add_co_u32_e32 v14, vcc, 0x1000, v10
	v_addc_co_u32_e32 v15, vcc, 0, v11, vcc
	global_load_dwordx2 v[14:15], v[14:15], off
	s_waitcnt vmcnt(1)
	v_subrev_co_u32_e32 v12, vcc, s30, v12
	v_subbrev_co_u32_e32 v13, vcc, 0, v13, vcc
	v_cmp_lt_i64_e32 vcc, v[2:3], v[12:13]
	v_cndmask_b32_e32 v5, v7, v5, vcc
	v_cndmask_b32_e32 v4, v6, v4, vcc
	s_waitcnt vmcnt(0)
	v_subrev_co_u32_e32 v6, vcc, s30, v14
	v_subbrev_co_u32_e32 v7, vcc, 0, v15, vcc
	v_cmp_ne_u64_e32 vcc, v[6:7], v[4:5]
	s_and_saveexec_b64 s[38:39], vcc
	s_cbranch_execz .LBB20_118
; %bb.109:
	s_load_dwordx2 s[2:3], s[18:19], 0x0
	s_waitcnt lgkmcnt(0)
	s_sub_u32 s2, s2, s30
	s_subb_u32 s3, s3, 0
	v_cmp_gt_i64_e32 vcc, s[2:3], v[2:3]
	s_and_b64 exec, exec, vcc
	s_cbranch_execz .LBB20_118
; %bb.110:
	v_cmp_gt_i64_e32 vcc, s[8:9], v[6:7]
	v_cmp_le_i64_e64 s[2:3], s[26:27], v[6:7]
	v_lshlrev_b64 v[2:3], 3, v[4:5]
	s_or_b64 s[2:3], vcc, s[2:3]
	s_and_saveexec_b64 s[40:41], s[2:3]
	s_xor_b64 s[2:3], exec, s[40:41]
	s_cbranch_execz .LBB20_114
; %bb.111:
	v_mov_b32_e32 v4, s23
	v_add_co_u32_e32 v2, vcc, s22, v2
	v_addc_co_u32_e32 v3, vcc, v4, v3, vcc
	global_load_dwordx2 v[2:3], v[2:3], off
	v_lshlrev_b64 v[4:5], 3, v[6:7]
	v_mov_b32_e32 v13, s15
	v_add_co_u32_e32 v12, vcc, s14, v4
	v_addc_co_u32_e32 v13, vcc, v13, v5, vcc
	global_load_dwordx2 v[4:5], v[12:13], off
	ds_read_b64 v[14:15], v18 offset:4096
	s_mov_b64 s[40:41], 0
	s_waitcnt vmcnt(1) lgkmcnt(0)
	v_mul_f64 v[14:15], v[14:15], v[2:3]
.LBB20_112:                             ; =>This Inner Loop Header: Depth=1
	s_waitcnt vmcnt(0)
	v_add_f64 v[2:3], v[4:5], v[14:15]
	global_atomic_cmpswap_x2 v[2:3], v[12:13], v[2:5], off glc
	s_waitcnt vmcnt(0)
	v_cmp_eq_u64_e32 vcc, v[2:3], v[4:5]
	v_mov_b32_e32 v5, v3
	s_or_b64 s[40:41], vcc, s[40:41]
	v_mov_b32_e32 v4, v2
	s_andn2_b64 exec, exec, s[40:41]
	s_cbranch_execnz .LBB20_112
; %bb.113:
	s_or_b64 exec, exec, s[40:41]
                                        ; implicit-def: $vgpr2_vgpr3
.LBB20_114:
	s_andn2_saveexec_b64 s[2:3], s[2:3]
	s_cbranch_execz .LBB20_118
; %bb.115:
	v_mov_b32_e32 v4, s23
	v_add_co_u32_e32 v2, vcc, s22, v2
	v_addc_co_u32_e32 v3, vcc, v4, v3, vcc
	global_load_dwordx2 v[2:3], v[2:3], off
	ds_read_b64 v[4:5], v18 offset:4096
	v_subrev_u32_e32 v12, s8, v6
	s_mov_b64 s[2:3], 0
	s_waitcnt vmcnt(0) lgkmcnt(0)
	v_mul_f64 v[2:3], v[4:5], v[2:3]
	v_mov_b32_e32 v4, 0x2000
	v_lshl_add_u32 v12, v12, 3, v4
	ds_read_b64 v[4:5], v12
.LBB20_116:                             ; =>This Inner Loop Header: Depth=1
	s_waitcnt lgkmcnt(0)
	v_add_f64 v[13:14], v[4:5], v[2:3]
	ds_cmpst_rtn_b64 v[13:14], v12, v[4:5], v[13:14]
	s_waitcnt lgkmcnt(0)
	v_cmp_eq_u64_e32 vcc, v[13:14], v[4:5]
	v_mov_b32_e32 v4, v13
	s_or_b64 s[2:3], vcc, s[2:3]
	v_mov_b32_e32 v5, v14
	s_andn2_b64 exec, exec, s[2:3]
	s_cbranch_execnz .LBB20_116
; %bb.117:
	s_or_b64 exec, exec, s[2:3]
.LBB20_118:
	s_or_b64 exec, exec, s[38:39]
	v_lshlrev_b64 v[2:3], 3, v[6:7]
	v_mov_b32_e32 v4, s23
	v_add_co_u32_e32 v2, vcc, s22, v2
	v_addc_co_u32_e32 v3, vcc, v4, v3, vcc
	global_load_dwordx2 v[2:3], v[2:3], off
	ds_read_b64 v[4:5], v18 offset:4096
	s_and_b64 vcc, exec, s[0:1]
	s_waitcnt vmcnt(0) lgkmcnt(0)
	v_mul_f64 v[4:5], v[2:3], v[4:5]
	v_mov_b32_e32 v2, s24
	v_mov_b32_e32 v3, s25
	ds_write_b64 v18, v[4:5] offset:4096
	v_mov_b32_e32 v4, s20
	v_mov_b32_e32 v5, s21
	s_cbranch_vccnz .LBB20_122
; %bb.119:
	v_mov_b32_e32 v2, s24
	v_mov_b32_e32 v4, s20
	s_mov_b64 s[2:3], 0
	v_mov_b32_e32 v3, s25
	v_mov_b32_e32 v5, s21
	;; [unrolled: 1-line block ×3, first 2 shown]
.LBB20_120:                             ; =>This Inner Loop Header: Depth=1
	v_add_co_u32_e32 v7, vcc, v4, v2
	v_addc_co_u32_e32 v13, vcc, v5, v3, vcc
	v_lshrrev_b32_e32 v12, 31, v13
	v_add_co_u32_e32 v12, vcc, v7, v12
	v_addc_co_u32_e32 v13, vcc, 0, v13, vcc
	v_ashrrev_i64 v[12:13], 1, v[12:13]
	v_lshlrev_b64 v[14:15], 3, v[12:13]
	v_add_co_u32_e32 v14, vcc, s16, v14
	v_addc_co_u32_e32 v15, vcc, v6, v15, vcc
	global_load_dwordx2 v[14:15], v[14:15], off
	s_waitcnt vmcnt(0)
	v_subrev_co_u32_e32 v14, vcc, s30, v14
	v_subbrev_co_u32_e32 v15, vcc, 0, v15, vcc
	v_cmp_lt_i64_e32 vcc, v[8:9], v[14:15]
	v_cndmask_b32_e32 v4, v4, v12, vcc
	v_cndmask_b32_e32 v5, v5, v13, vcc
	;; [unrolled: 1-line block ×3, first 2 shown]
	v_add_co_u32_e64 v12, s[0:1], -1, v4
	v_cndmask_b32_e32 v3, v13, v3, vcc
	v_addc_co_u32_e64 v13, s[0:1], -1, v5, s[0:1]
	v_cmp_ge_i64_e32 vcc, v[2:3], v[4:5]
	v_cmp_eq_u64_e64 s[0:1], v[2:3], v[12:13]
	s_or_b64 s[0:1], vcc, s[0:1]
	s_and_b64 s[0:1], exec, s[0:1]
	s_or_b64 s[2:3], s[0:1], s[2:3]
	s_andn2_b64 exec, exec, s[2:3]
	s_cbranch_execnz .LBB20_120
; %bb.121:
	s_or_b64 exec, exec, s[2:3]
.LBB20_122:
	v_lshlrev_b64 v[6:7], 3, v[4:5]
	v_mov_b32_e32 v12, s17
	v_add_co_u32_e32 v6, vcc, s16, v6
	v_addc_co_u32_e32 v7, vcc, v12, v7, vcc
	global_load_dwordx2 v[6:7], v[6:7], off
	v_add_co_u32_e32 v10, vcc, 0x1000, v10
	v_addc_co_u32_e32 v11, vcc, 0, v11, vcc
	global_load_dwordx2 v[10:11], v[10:11], off offset:2048
	s_waitcnt vmcnt(1)
	v_subrev_co_u32_e32 v6, vcc, s30, v6
	v_subbrev_co_u32_e32 v7, vcc, 0, v7, vcc
	v_cmp_lt_i64_e32 vcc, v[8:9], v[6:7]
	v_cndmask_b32_e32 v3, v5, v3, vcc
	v_cndmask_b32_e32 v2, v4, v2, vcc
	s_waitcnt vmcnt(0)
	v_subrev_co_u32_e32 v6, vcc, s30, v10
	v_subbrev_co_u32_e32 v7, vcc, 0, v11, vcc
	v_cmp_ne_u64_e32 vcc, v[6:7], v[2:3]
	s_and_saveexec_b64 s[2:3], vcc
	s_cbranch_execz .LBB20_132
; %bb.123:
	s_load_dwordx2 s[0:1], s[18:19], 0x0
	s_waitcnt lgkmcnt(0)
	s_sub_u32 s0, s0, s30
	s_subb_u32 s1, s1, 0
	v_cmp_gt_i64_e32 vcc, s[0:1], v[8:9]
	s_and_b64 exec, exec, vcc
	s_cbranch_execz .LBB20_132
; %bb.124:
	v_cmp_gt_i64_e32 vcc, s[8:9], v[6:7]
	v_cmp_le_i64_e64 s[0:1], s[26:27], v[6:7]
	v_lshlrev_b64 v[2:3], 3, v[2:3]
	s_or_b64 s[0:1], vcc, s[0:1]
	s_and_saveexec_b64 s[18:19], s[0:1]
	s_xor_b64 s[0:1], exec, s[18:19]
	s_cbranch_execz .LBB20_128
; %bb.125:
	v_mov_b32_e32 v4, s23
	v_add_co_u32_e32 v2, vcc, s22, v2
	v_addc_co_u32_e32 v3, vcc, v4, v3, vcc
	global_load_dwordx2 v[2:3], v[2:3], off
	v_lshlrev_b64 v[4:5], 3, v[6:7]
	v_mov_b32_e32 v9, s15
	v_add_co_u32_e32 v8, vcc, s14, v4
	v_addc_co_u32_e32 v9, vcc, v9, v5, vcc
	global_load_dwordx2 v[4:5], v[8:9], off
	ds_read_b64 v[10:11], v18 offset:6144
	s_mov_b64 s[18:19], 0
	s_waitcnt vmcnt(1) lgkmcnt(0)
	v_mul_f64 v[10:11], v[10:11], v[2:3]
.LBB20_126:                             ; =>This Inner Loop Header: Depth=1
	s_waitcnt vmcnt(0)
	v_add_f64 v[2:3], v[4:5], v[10:11]
	global_atomic_cmpswap_x2 v[2:3], v[8:9], v[2:5], off glc
	s_waitcnt vmcnt(0)
	v_cmp_eq_u64_e32 vcc, v[2:3], v[4:5]
	v_mov_b32_e32 v5, v3
	s_or_b64 s[18:19], vcc, s[18:19]
	v_mov_b32_e32 v4, v2
	s_andn2_b64 exec, exec, s[18:19]
	s_cbranch_execnz .LBB20_126
; %bb.127:
	s_or_b64 exec, exec, s[18:19]
                                        ; implicit-def: $vgpr2_vgpr3
.LBB20_128:
	s_andn2_saveexec_b64 s[0:1], s[0:1]
	s_cbranch_execz .LBB20_132
; %bb.129:
	v_mov_b32_e32 v4, s23
	v_add_co_u32_e32 v2, vcc, s22, v2
	v_addc_co_u32_e32 v3, vcc, v4, v3, vcc
	global_load_dwordx2 v[2:3], v[2:3], off
	ds_read_b64 v[4:5], v18 offset:6144
	v_subrev_u32_e32 v8, s8, v6
	s_mov_b64 s[0:1], 0
	s_waitcnt vmcnt(0) lgkmcnt(0)
	v_mul_f64 v[2:3], v[4:5], v[2:3]
	v_mov_b32_e32 v4, 0x2000
	v_lshl_add_u32 v8, v8, 3, v4
	ds_read_b64 v[4:5], v8
.LBB20_130:                             ; =>This Inner Loop Header: Depth=1
	s_waitcnt lgkmcnt(0)
	v_add_f64 v[9:10], v[4:5], v[2:3]
	ds_cmpst_rtn_b64 v[9:10], v8, v[4:5], v[9:10]
	s_waitcnt lgkmcnt(0)
	v_cmp_eq_u64_e32 vcc, v[9:10], v[4:5]
	v_mov_b32_e32 v4, v9
	s_or_b64 s[0:1], vcc, s[0:1]
	v_mov_b32_e32 v5, v10
	s_andn2_b64 exec, exec, s[0:1]
	s_cbranch_execnz .LBB20_130
; %bb.131:
	s_or_b64 exec, exec, s[0:1]
.LBB20_132:
	s_or_b64 exec, exec, s[2:3]
	v_lshlrev_b64 v[2:3], 3, v[6:7]
	v_mov_b32_e32 v4, s23
	v_add_co_u32_e32 v2, vcc, s22, v2
	v_addc_co_u32_e32 v3, vcc, v4, v3, vcc
	global_load_dwordx2 v[2:3], v[2:3], off
	ds_read_b64 v[4:5], v18 offset:6144
	s_waitcnt vmcnt(0) lgkmcnt(0)
	v_mul_f64 v[2:3], v[2:3], v[4:5]
	ds_write_b64 v18, v[2:3] offset:6144
.LBB20_133:
	s_or_b64 exec, exec, s[4:5]
	v_mov_b32_e32 v2, s10
	v_mov_b32_e32 v3, s11
	v_cmp_lt_i64_e32 vcc, s[26:27], v[2:3]
	s_waitcnt lgkmcnt(0)
	s_and_b64 s[0:1], vcc, exec
	s_cselect_b32 s10, s26, s10
	s_cselect_b32 s0, s27, s11
	s_sub_u32 s2, s10, s28
	s_subb_u32 s3, s0, s29
	v_cmp_gt_i64_e32 vcc, s[2:3], v[0:1]
	s_barrier
	s_and_saveexec_b64 s[0:1], vcc
	s_cbranch_execz .LBB20_138
; %bb.134:
	s_lshl_b64 s[4:5], s[8:9], 3
	s_add_u32 s11, s14, s4
	s_addc_u32 s8, s15, s5
	v_mov_b32_e32 v7, v1
	s_mov_b64 s[4:5], 0
	v_mov_b32_e32 v12, s8
	v_mov_b32_e32 v13, 0x2000
	v_mov_b32_e32 v6, v0
.LBB20_135:                             ; =>This Loop Header: Depth=1
                                        ;     Child Loop BB20_136 Depth 2
	v_lshlrev_b64 v[2:3], 3, v[6:7]
	s_mov_b64 s[8:9], 0
	v_add_co_u32_e32 v8, vcc, s11, v2
	v_addc_co_u32_e32 v9, vcc, v12, v3, vcc
	global_load_dwordx2 v[4:5], v[8:9], off
	v_lshl_add_u32 v2, v6, 3, v13
	ds_read_b64 v[10:11], v2
.LBB20_136:                             ;   Parent Loop BB20_135 Depth=1
                                        ; =>  This Inner Loop Header: Depth=2
	s_waitcnt vmcnt(0) lgkmcnt(0)
	v_add_f64 v[2:3], v[4:5], v[10:11]
	global_atomic_cmpswap_x2 v[2:3], v[8:9], v[2:5], off glc
	s_waitcnt vmcnt(0)
	v_cmp_eq_u64_e32 vcc, v[2:3], v[4:5]
	v_mov_b32_e32 v5, v3
	s_or_b64 s[8:9], vcc, s[8:9]
	v_mov_b32_e32 v4, v2
	s_andn2_b64 exec, exec, s[8:9]
	s_cbranch_execnz .LBB20_136
; %bb.137:                              ;   in Loop: Header=BB20_135 Depth=1
	s_or_b64 exec, exec, s[8:9]
	v_add_co_u32_e32 v6, vcc, 0x100, v6
	v_addc_co_u32_e32 v7, vcc, 0, v7, vcc
	v_cmp_le_i64_e32 vcc, s[2:3], v[6:7]
	s_or_b64 s[4:5], vcc, s[4:5]
	s_andn2_b64 exec, exec, s[4:5]
	s_cbranch_execnz .LBB20_135
.LBB20_138:
	s_or_b64 exec, exec, s[0:1]
	s_add_i32 s0, s36, -1
	s_ashr_i32 s1, s0, 1
	s_or_b32 s0, s1, s0
	s_ashr_i32 s1, s0, 2
	s_or_b32 s0, s1, s0
	;; [unrolled: 2-line block ×5, first 2 shown]
	s_add_i32 s0, s0, 1
	s_ashr_i32 s3, s0, 1
	v_mov_b32_e32 v2, s25
	v_add_co_u32_e32 v6, vcc, s24, v0
	v_addc_co_u32_e32 v7, vcc, 0, v2, vcc
	s_cmp_gt_i32 s3, 1
	s_mov_b64 s[0:1], -1
	s_barrier
	s_cbranch_scc1 .LBB20_149
; %bb.139:
	v_cmp_gt_i64_e32 vcc, s[26:27], v[6:7]
	s_and_saveexec_b64 s[0:1], vcc
	s_cbranch_execz .LBB20_148
; %bb.140:
	s_sub_i32 s4, s10, s26
	s_lshl_b32 s4, s4, 3
	s_add_i32 s13, s4, 0x2000
	s_lshl_b32 s4, s6, 3
	v_mov_b32_e32 v9, v7
	s_sub_i32 s18, 0, s4
	s_mov_b64 s[4:5], 0
	v_mov_b32_e32 v16, s17
	v_mov_b32_e32 v17, s15
	;; [unrolled: 1-line block ×3, first 2 shown]
.LBB20_141:                             ; =>This Loop Header: Depth=1
                                        ;     Child Loop BB20_143 Depth 2
                                        ;     Child Loop BB20_146 Depth 2
	v_lshlrev_b64 v[10:11], 3, v[8:9]
	v_mov_b32_e32 v12, 0
	v_add_co_u32_e32 v2, vcc, s16, v10
	v_addc_co_u32_e32 v3, vcc, v16, v11, vcc
	global_load_dwordx4 v[2:5], v[2:3], off
	v_mov_b32_e32 v13, 0
	s_waitcnt vmcnt(0)
	v_cmp_lt_i64_e32 vcc, v[2:3], v[4:5]
	s_and_saveexec_b64 s[8:9], vcc
	s_cbranch_execz .LBB20_145
; %bb.142:                              ;   in Loop: Header=BB20_141 Depth=1
	v_mov_b32_e32 v12, s7
	v_subrev_co_u32_e32 v4, vcc, s6, v4
	v_subb_co_u32_e32 v5, vcc, v5, v12, vcc
	v_subrev_co_u32_e32 v14, vcc, s6, v2
	v_subb_co_u32_e32 v15, vcc, v3, v12, vcc
	v_mov_b32_e32 v12, 0
	v_lshl_add_u32 v2, v2, 3, s18
	v_mov_b32_e32 v13, 0
	s_mov_b64 s[10:11], 0
.LBB20_143:                             ;   Parent Loop BB20_141 Depth=1
                                        ; =>  This Inner Loop Header: Depth=2
	ds_read_b64 v[19:20], v2
	v_add_co_u32_e32 v14, vcc, 1, v14
	v_addc_co_u32_e32 v15, vcc, 0, v15, vcc
	s_waitcnt lgkmcnt(0)
	v_add_f64 v[12:13], v[12:13], v[19:20]
	v_cmp_ge_i64_e32 vcc, v[14:15], v[4:5]
	v_add_u32_e32 v2, 8, v2
	s_or_b64 s[10:11], vcc, s[10:11]
	s_andn2_b64 exec, exec, s[10:11]
	s_cbranch_execnz .LBB20_143
; %bb.144:                              ;   in Loop: Header=BB20_141 Depth=1
	s_or_b64 exec, exec, s[10:11]
.LBB20_145:                             ;   in Loop: Header=BB20_141 Depth=1
	s_or_b64 exec, exec, s[8:9]
	v_add_co_u32_e32 v10, vcc, s14, v10
	v_addc_co_u32_e32 v11, vcc, v17, v11, vcc
	global_load_dwordx2 v[4:5], v[10:11], off
	v_lshl_add_u32 v2, v8, 3, s13
	ds_read_b64 v[2:3], v2
	s_mov_b64 s[8:9], 0
	s_waitcnt lgkmcnt(0)
	v_add_f64 v[12:13], v[12:13], v[2:3]
.LBB20_146:                             ;   Parent Loop BB20_141 Depth=1
                                        ; =>  This Inner Loop Header: Depth=2
	s_waitcnt vmcnt(0)
	v_add_f64 v[2:3], v[4:5], v[12:13]
	global_atomic_cmpswap_x2 v[2:3], v[10:11], v[2:5], off glc
	s_waitcnt vmcnt(0)
	v_cmp_eq_u64_e32 vcc, v[2:3], v[4:5]
	v_mov_b32_e32 v5, v3
	s_or_b64 s[8:9], vcc, s[8:9]
	v_mov_b32_e32 v4, v2
	s_andn2_b64 exec, exec, s[8:9]
	s_cbranch_execnz .LBB20_146
; %bb.147:                              ;   in Loop: Header=BB20_141 Depth=1
	s_or_b64 exec, exec, s[8:9]
	v_add_co_u32_e32 v8, vcc, s12, v8
	v_addc_co_u32_e32 v9, vcc, 0, v9, vcc
	v_cmp_le_i64_e32 vcc, s[26:27], v[8:9]
	s_or_b64 s[4:5], vcc, s[4:5]
	s_andn2_b64 exec, exec, s[4:5]
	s_cbranch_execnz .LBB20_141
.LBB20_148:
	s_or_b64 exec, exec, s[0:1]
	s_mov_b64 s[0:1], 0
.LBB20_149:
	s_andn2_b64 vcc, exec, s[0:1]
	s_cbranch_vccnz .LBB20_167
; %bb.150:
	v_cvt_f32_u32_e32 v2, s3
	s_sub_i32 s8, 0, s3
	v_mov_b32_e32 v5, 0
	v_mov_b32_e32 v8, s35
	v_rcp_iflag_f32_e32 v2, v2
	v_mov_b32_e32 v12, s7
	v_mul_f32_e32 v2, 0x4f7ffffe, v2
	v_cvt_u32_f32_e32 v2, v2
	v_mul_lo_u32 v3, s8, v2
	v_mul_hi_u32 v3, v2, v3
	v_add_u32_e32 v2, v2, v3
	v_mul_hi_u32 v2, v0, v2
	v_mul_lo_u32 v3, v2, s3
	v_add_u32_e32 v4, 1, v2
	v_sub_u32_e32 v3, v0, v3
	v_cmp_le_u32_e32 vcc, s3, v3
	v_cndmask_b32_e32 v2, v2, v4, vcc
	v_subrev_u32_e32 v4, s3, v3
	v_cndmask_b32_e32 v3, v3, v4, vcc
	v_add_u32_e32 v4, 1, v2
	v_cmp_le_u32_e32 vcc, s3, v3
	v_cndmask_b32_e32 v4, v2, v4, vcc
	v_lshlrev_b64 v[2:3], 3, v[4:5]
	v_add_co_u32_e32 v2, vcc, s34, v2
	v_addc_co_u32_e32 v3, vcc, v8, v3, vcc
	global_load_dwordx4 v[8:11], v[2:3], off
	v_mov_b32_e32 v3, s7
	s_waitcnt vmcnt(0)
	v_subrev_co_u32_e32 v2, vcc, s6, v8
	v_subb_co_u32_e32 v3, vcc, v9, v3, vcc
	v_subrev_co_u32_e32 v13, vcc, s6, v10
	v_subb_co_u32_e32 v14, vcc, v11, v12, vcc
	v_sub_co_u32_e32 v11, vcc, v13, v2
	v_subb_co_u32_e32 v10, vcc, v14, v3, vcc
	v_mov_b32_e32 v9, v5
	v_cmp_ne_u64_e32 vcc, 0, v[9:10]
                                        ; implicit-def: $vgpr8_vgpr9
	s_and_saveexec_b64 s[0:1], vcc
	s_xor_b64 s[4:5], exec, s[0:1]
	s_cbranch_execz .LBB20_152
; %bb.151:
	s_add_u32 s0, s3, 0
	s_addc_u32 s1, 0, 0
	s_xor_b64 s[6:7], s[0:1], 0
	v_cvt_f32_u32_e32 v8, s6
	v_cvt_f32_u32_e32 v9, s7
	s_sub_u32 s9, 0, s6
	s_subb_u32 s10, 0, s7
	v_ashrrev_i32_e32 v12, 31, v10
	v_madmk_f32 v8, v9, 0x4f800000, v8
	v_rcp_f32_e32 v8, v8
	v_mul_f32_e32 v8, 0x5f7ffffc, v8
	v_mul_f32_e32 v9, 0x2f800000, v8
	v_trunc_f32_e32 v9, v9
	v_madmk_f32 v8, v9, 0xcf800000, v8
	v_cvt_u32_f32_e32 v9, v9
	v_cvt_u32_f32_e32 v8, v8
	v_readfirstlane_b32 s11, v9
	v_readfirstlane_b32 s0, v8
	s_mul_i32 s1, s9, s11
	s_mul_hi_u32 s13, s9, s0
	s_mul_i32 s12, s10, s0
	s_add_i32 s1, s13, s1
	s_mul_i32 s16, s9, s0
	s_add_i32 s1, s1, s12
	s_mul_i32 s13, s0, s1
	s_mul_hi_u32 s17, s0, s16
	s_mul_hi_u32 s12, s0, s1
	s_add_u32 s13, s17, s13
	s_addc_u32 s12, 0, s12
	s_mul_hi_u32 s18, s11, s16
	s_mul_i32 s16, s11, s16
	s_add_u32 s13, s13, s16
	s_mul_hi_u32 s17, s11, s1
	s_addc_u32 s12, s12, s18
	s_addc_u32 s13, s17, 0
	s_mul_i32 s1, s11, s1
	s_add_u32 s1, s12, s1
	s_addc_u32 s12, 0, s13
	s_add_u32 s13, s0, s1
	s_cselect_b64 s[0:1], -1, 0
	s_cmp_lg_u64 s[0:1], 0
	s_addc_u32 s11, s11, s12
	s_mul_i32 s0, s9, s11
	s_mul_hi_u32 s1, s9, s13
	s_add_i32 s0, s1, s0
	s_mul_i32 s10, s10, s13
	s_add_i32 s0, s0, s10
	s_mul_i32 s9, s9, s13
	s_mul_hi_u32 s10, s11, s9
	s_mul_i32 s12, s11, s9
	s_mul_i32 s17, s13, s0
	s_mul_hi_u32 s9, s13, s9
	s_mul_hi_u32 s16, s13, s0
	s_add_u32 s9, s9, s17
	s_addc_u32 s16, 0, s16
	s_add_u32 s9, s9, s12
	s_mul_hi_u32 s1, s11, s0
	s_addc_u32 s9, s16, s10
	s_addc_u32 s1, s1, 0
	s_mul_i32 s0, s11, s0
	s_add_u32 s0, s9, s0
	s_addc_u32 s9, 0, s1
	s_add_u32 s10, s13, s0
	s_cselect_b64 s[0:1], -1, 0
	s_cmp_lg_u64 s[0:1], 0
	v_add_co_u32_e32 v8, vcc, v11, v12
	s_addc_u32 s9, s11, s9
	v_xor_b32_e32 v15, v8, v12
	v_mad_u64_u32 v[8:9], s[0:1], v15, s9, 0
	v_mul_hi_u32 v11, v15, s10
	v_addc_co_u32_e32 v10, vcc, v10, v12, vcc
	v_xor_b32_e32 v16, v10, v12
	v_add_co_u32_e32 v17, vcc, v11, v8
	v_addc_co_u32_e32 v19, vcc, 0, v9, vcc
	v_mad_u64_u32 v[8:9], s[0:1], v16, s10, 0
	v_mad_u64_u32 v[10:11], s[0:1], v16, s9, 0
	v_add_co_u32_e32 v8, vcc, v17, v8
	v_addc_co_u32_e32 v8, vcc, v19, v9, vcc
	v_addc_co_u32_e32 v9, vcc, 0, v11, vcc
	v_add_co_u32_e32 v10, vcc, v8, v10
	v_addc_co_u32_e32 v11, vcc, 0, v9, vcc
	v_mul_lo_u32 v17, s7, v10
	v_mul_lo_u32 v19, s6, v11
	v_mad_u64_u32 v[8:9], s[0:1], s6, v10, 0
	v_add3_u32 v9, v9, v19, v17
	v_sub_u32_e32 v17, v16, v9
	v_mov_b32_e32 v19, s7
	v_sub_co_u32_e32 v8, vcc, v15, v8
	v_subb_co_u32_e64 v15, s[0:1], v17, v19, vcc
	v_subrev_co_u32_e64 v17, s[0:1], s6, v8
	v_subbrev_co_u32_e64 v15, s[0:1], 0, v15, s[0:1]
	v_cmp_le_u32_e64 s[0:1], s7, v15
	v_cndmask_b32_e64 v19, 0, -1, s[0:1]
	v_cmp_le_u32_e64 s[0:1], s6, v17
	v_cndmask_b32_e64 v17, 0, -1, s[0:1]
	v_cmp_eq_u32_e64 s[0:1], s7, v15
	v_cndmask_b32_e64 v15, v19, v17, s[0:1]
	v_add_co_u32_e64 v17, s[0:1], 2, v10
	v_subb_co_u32_e32 v9, vcc, v16, v9, vcc
	v_addc_co_u32_e64 v19, s[0:1], 0, v11, s[0:1]
	v_cmp_le_u32_e32 vcc, s7, v9
	v_add_co_u32_e64 v20, s[0:1], 1, v10
	v_cndmask_b32_e64 v16, 0, -1, vcc
	v_cmp_le_u32_e32 vcc, s6, v8
	v_addc_co_u32_e64 v21, s[0:1], 0, v11, s[0:1]
	v_cndmask_b32_e64 v8, 0, -1, vcc
	v_cmp_eq_u32_e32 vcc, s7, v9
	v_cmp_ne_u32_e64 s[0:1], 0, v15
	v_cndmask_b32_e32 v8, v16, v8, vcc
	v_cndmask_b32_e64 v15, v21, v19, s[0:1]
	v_cmp_ne_u32_e32 vcc, 0, v8
	v_cndmask_b32_e64 v9, v20, v17, s[0:1]
	v_cndmask_b32_e32 v8, v11, v15, vcc
	v_cndmask_b32_e32 v9, v10, v9, vcc
	v_xor_b32_e32 v10, v8, v12
	v_xor_b32_e32 v8, v9, v12
	v_sub_co_u32_e32 v8, vcc, v8, v12
	v_subb_co_u32_e32 v9, vcc, v10, v12, vcc
                                        ; implicit-def: $vgpr11
.LBB20_152:
	s_andn2_saveexec_b64 s[0:1], s[4:5]
	s_cbranch_execz .LBB20_154
; %bb.153:
	v_cvt_f32_u32_e32 v8, s3
	v_rcp_iflag_f32_e32 v8, v8
	v_mul_f32_e32 v8, 0x4f7ffffe, v8
	v_cvt_u32_f32_e32 v8, v8
	v_mul_lo_u32 v9, s8, v8
	v_mul_hi_u32 v9, v8, v9
	v_add_u32_e32 v8, v8, v9
	v_mul_hi_u32 v8, v11, v8
	v_mul_lo_u32 v9, v8, s3
	v_add_u32_e32 v10, 1, v8
	v_sub_u32_e32 v9, v11, v9
	v_subrev_u32_e32 v11, s3, v9
	v_cmp_le_u32_e32 vcc, s3, v9
	v_cndmask_b32_e32 v9, v9, v11, vcc
	v_cndmask_b32_e32 v8, v8, v10, vcc
	v_add_u32_e32 v10, 1, v8
	v_cmp_le_u32_e32 vcc, s3, v9
	v_cndmask_b32_e32 v8, v8, v10, vcc
	v_mov_b32_e32 v9, 0
.LBB20_154:
	s_or_b64 exec, exec, s[0:1]
	v_cmp_gt_i64_e32 vcc, s[28:29], v[4:5]
	v_mov_b32_e32 v4, 0
	v_mov_b32_e32 v5, 0
	s_and_saveexec_b64 s[0:1], vcc
	s_cbranch_execz .LBB20_162
; %bb.155:
	s_add_i32 s4, s3, -1
	v_and_b32_e32 v10, s4, v0
	v_cmp_lt_i64_e32 vcc, 0, v[8:9]
	v_mov_b32_e32 v4, 0
	s_mov_b64 s[4:5], 0
	v_mov_b32_e32 v5, 0
	v_lshlrev_b32_e32 v15, 3, v10
	s_and_saveexec_b64 s[6:7], vcc
	s_cbranch_execz .LBB20_159
; %bb.156:
	v_mov_b32_e32 v4, 0
	v_mov_b32_e32 v12, v9
	v_lshl_add_u32 v16, v2, 3, v15
	s_lshl_b32 s8, s3, 3
	v_mov_b32_e32 v5, 0
	v_mov_b32_e32 v11, v8
.LBB20_157:                             ; =>This Inner Loop Header: Depth=1
	ds_read_b64 v[19:20], v16
	v_add_co_u32_e32 v11, vcc, -1, v11
	v_addc_co_u32_e32 v12, vcc, -1, v12, vcc
	s_waitcnt lgkmcnt(0)
	v_add_f64 v[4:5], v[4:5], v[19:20]
	v_cmp_eq_u64_e32 vcc, 0, v[11:12]
	v_add_u32_e32 v16, s8, v16
	s_or_b64 s[4:5], vcc, s[4:5]
	s_andn2_b64 exec, exec, s[4:5]
	s_cbranch_execnz .LBB20_157
; %bb.158:
	s_or_b64 exec, exec, s[4:5]
.LBB20_159:
	s_or_b64 exec, exec, s[6:7]
	v_mad_u64_u32 v[2:3], s[4:5], v8, s3, v[2:3]
	v_mov_b32_e32 v11, 0
	v_mad_u64_u32 v[8:9], s[4:5], v9, s3, v[3:4]
	v_sub_co_u32_e32 v12, vcc, v13, v2
	v_subb_co_u32_e32 v13, vcc, v14, v8, vcc
	v_cmp_gt_i64_e32 vcc, v[12:13], v[10:11]
	s_and_saveexec_b64 s[4:5], vcc
	s_cbranch_execz .LBB20_161
; %bb.160:
	v_lshl_add_u32 v2, v2, 3, v15
	ds_read_b64 v[2:3], v2
	s_waitcnt lgkmcnt(0)
	v_add_f64 v[4:5], v[4:5], v[2:3]
.LBB20_161:
	s_or_b64 exec, exec, s[4:5]
.LBB20_162:
	s_or_b64 exec, exec, s[0:1]
	v_cmp_gt_i64_e32 vcc, s[28:29], v[0:1]
	s_barrier
	ds_write_b64 v18, v[4:5]
	s_waitcnt lgkmcnt(0)
	s_barrier
	s_and_b64 exec, exec, vcc
	s_cbranch_execz .LBB20_167
; %bb.163:
	v_mul_lo_u32 v1, s3, v0
	v_mov_b32_e32 v4, 0
	v_mov_b32_e32 v5, 0
	v_lshlrev_b32_e32 v1, 3, v1
.LBB20_164:                             ; =>This Inner Loop Header: Depth=1
	ds_read_b64 v[2:3], v1
	s_add_i32 s3, s3, -1
	s_cmp_eq_u32 s3, 0
	v_add_u32_e32 v1, 8, v1
	s_waitcnt lgkmcnt(0)
	v_add_f64 v[4:5], v[4:5], v[2:3]
	s_cbranch_scc0 .LBB20_164
; %bb.165:
	v_lshlrev_b64 v[1:2], 3, v[6:7]
	v_mov_b32_e32 v3, s15
	v_add_co_u32_e32 v6, vcc, s14, v1
	v_addc_co_u32_e32 v7, vcc, v3, v2, vcc
	global_load_dwordx2 v[2:3], v[6:7], off
	s_lshl_b32 s0, s2, 3
	s_addk_i32 s0, 0x2000
	v_lshl_add_u32 v0, v0, 3, s0
	ds_read_b64 v[0:1], v0
	s_mov_b64 s[0:1], 0
	s_waitcnt lgkmcnt(0)
	v_add_f64 v[4:5], v[4:5], v[0:1]
.LBB20_166:                             ; =>This Inner Loop Header: Depth=1
	s_waitcnt vmcnt(0)
	v_add_f64 v[0:1], v[2:3], v[4:5]
	global_atomic_cmpswap_x2 v[0:1], v[6:7], v[0:3], off glc
	s_waitcnt vmcnt(0)
	v_cmp_eq_u64_e32 vcc, v[0:1], v[2:3]
	v_mov_b32_e32 v3, v1
	s_or_b64 s[0:1], vcc, s[0:1]
	v_mov_b32_e32 v2, v0
	s_andn2_b64 exec, exec, s[0:1]
	s_cbranch_execnz .LBB20_166
.LBB20_167:
	s_endpgm
	.section	.rodata,"a",@progbits
	.p2align	6, 0x0
	.amdhsa_kernel _ZN9rocsparseL27csrmvn_symm_adaptive_kernelIllddddEEvbT_S1_PKS1_NS_24const_host_device_scalarIT4_EES3_PKT0_PKT1_PKT2_S6_PT3_21rocsparse_index_base_b
		.amdhsa_group_segment_fixed_size 8192
		.amdhsa_private_segment_fixed_size 0
		.amdhsa_kernarg_size 352
		.amdhsa_user_sgpr_count 6
		.amdhsa_user_sgpr_private_segment_buffer 1
		.amdhsa_user_sgpr_dispatch_ptr 0
		.amdhsa_user_sgpr_queue_ptr 0
		.amdhsa_user_sgpr_kernarg_segment_ptr 1
		.amdhsa_user_sgpr_dispatch_id 0
		.amdhsa_user_sgpr_flat_scratch_init 0
		.amdhsa_user_sgpr_private_segment_size 0
		.amdhsa_uses_dynamic_stack 0
		.amdhsa_system_sgpr_private_segment_wavefront_offset 0
		.amdhsa_system_sgpr_workgroup_id_x 1
		.amdhsa_system_sgpr_workgroup_id_y 0
		.amdhsa_system_sgpr_workgroup_id_z 0
		.amdhsa_system_sgpr_workgroup_info 0
		.amdhsa_system_vgpr_workitem_id 0
		.amdhsa_next_free_vgpr 29
		.amdhsa_next_free_sgpr 61
		.amdhsa_reserve_vcc 1
		.amdhsa_reserve_flat_scratch 0
		.amdhsa_float_round_mode_32 0
		.amdhsa_float_round_mode_16_64 0
		.amdhsa_float_denorm_mode_32 3
		.amdhsa_float_denorm_mode_16_64 3
		.amdhsa_dx10_clamp 1
		.amdhsa_ieee_mode 1
		.amdhsa_fp16_overflow 0
		.amdhsa_exception_fp_ieee_invalid_op 0
		.amdhsa_exception_fp_denorm_src 0
		.amdhsa_exception_fp_ieee_div_zero 0
		.amdhsa_exception_fp_ieee_overflow 0
		.amdhsa_exception_fp_ieee_underflow 0
		.amdhsa_exception_fp_ieee_inexact 0
		.amdhsa_exception_int_div_zero 0
	.end_amdhsa_kernel
	.section	.text._ZN9rocsparseL27csrmvn_symm_adaptive_kernelIllddddEEvbT_S1_PKS1_NS_24const_host_device_scalarIT4_EES3_PKT0_PKT1_PKT2_S6_PT3_21rocsparse_index_base_b,"axG",@progbits,_ZN9rocsparseL27csrmvn_symm_adaptive_kernelIllddddEEvbT_S1_PKS1_NS_24const_host_device_scalarIT4_EES3_PKT0_PKT1_PKT2_S6_PT3_21rocsparse_index_base_b,comdat
.Lfunc_end20:
	.size	_ZN9rocsparseL27csrmvn_symm_adaptive_kernelIllddddEEvbT_S1_PKS1_NS_24const_host_device_scalarIT4_EES3_PKT0_PKT1_PKT2_S6_PT3_21rocsparse_index_base_b, .Lfunc_end20-_ZN9rocsparseL27csrmvn_symm_adaptive_kernelIllddddEEvbT_S1_PKS1_NS_24const_host_device_scalarIT4_EES3_PKT0_PKT1_PKT2_S6_PT3_21rocsparse_index_base_b
                                        ; -- End function
	.set _ZN9rocsparseL27csrmvn_symm_adaptive_kernelIllddddEEvbT_S1_PKS1_NS_24const_host_device_scalarIT4_EES3_PKT0_PKT1_PKT2_S6_PT3_21rocsparse_index_base_b.num_vgpr, 23
	.set _ZN9rocsparseL27csrmvn_symm_adaptive_kernelIllddddEEvbT_S1_PKS1_NS_24const_host_device_scalarIT4_EES3_PKT0_PKT1_PKT2_S6_PT3_21rocsparse_index_base_b.num_agpr, 0
	.set _ZN9rocsparseL27csrmvn_symm_adaptive_kernelIllddddEEvbT_S1_PKS1_NS_24const_host_device_scalarIT4_EES3_PKT0_PKT1_PKT2_S6_PT3_21rocsparse_index_base_b.numbered_sgpr, 52
	.set _ZN9rocsparseL27csrmvn_symm_adaptive_kernelIllddddEEvbT_S1_PKS1_NS_24const_host_device_scalarIT4_EES3_PKT0_PKT1_PKT2_S6_PT3_21rocsparse_index_base_b.num_named_barrier, 0
	.set _ZN9rocsparseL27csrmvn_symm_adaptive_kernelIllddddEEvbT_S1_PKS1_NS_24const_host_device_scalarIT4_EES3_PKT0_PKT1_PKT2_S6_PT3_21rocsparse_index_base_b.private_seg_size, 0
	.set _ZN9rocsparseL27csrmvn_symm_adaptive_kernelIllddddEEvbT_S1_PKS1_NS_24const_host_device_scalarIT4_EES3_PKT0_PKT1_PKT2_S6_PT3_21rocsparse_index_base_b.uses_vcc, 1
	.set _ZN9rocsparseL27csrmvn_symm_adaptive_kernelIllddddEEvbT_S1_PKS1_NS_24const_host_device_scalarIT4_EES3_PKT0_PKT1_PKT2_S6_PT3_21rocsparse_index_base_b.uses_flat_scratch, 0
	.set _ZN9rocsparseL27csrmvn_symm_adaptive_kernelIllddddEEvbT_S1_PKS1_NS_24const_host_device_scalarIT4_EES3_PKT0_PKT1_PKT2_S6_PT3_21rocsparse_index_base_b.has_dyn_sized_stack, 0
	.set _ZN9rocsparseL27csrmvn_symm_adaptive_kernelIllddddEEvbT_S1_PKS1_NS_24const_host_device_scalarIT4_EES3_PKT0_PKT1_PKT2_S6_PT3_21rocsparse_index_base_b.has_recursion, 0
	.set _ZN9rocsparseL27csrmvn_symm_adaptive_kernelIllddddEEvbT_S1_PKS1_NS_24const_host_device_scalarIT4_EES3_PKT0_PKT1_PKT2_S6_PT3_21rocsparse_index_base_b.has_indirect_call, 0
	.section	.AMDGPU.csdata,"",@progbits
; Kernel info:
; codeLenInByte = 8096
; TotalNumSgprs: 56
; NumVgprs: 23
; ScratchSize: 0
; MemoryBound: 0
; FloatMode: 240
; IeeeMode: 1
; LDSByteSize: 8192 bytes/workgroup (compile time only)
; SGPRBlocks: 8
; VGPRBlocks: 7
; NumSGPRsForWavesPerEU: 65
; NumVGPRsForWavesPerEU: 29
; Occupancy: 8
; WaveLimiterHint : 1
; COMPUTE_PGM_RSRC2:SCRATCH_EN: 0
; COMPUTE_PGM_RSRC2:USER_SGPR: 6
; COMPUTE_PGM_RSRC2:TRAP_HANDLER: 0
; COMPUTE_PGM_RSRC2:TGID_X_EN: 1
; COMPUTE_PGM_RSRC2:TGID_Y_EN: 0
; COMPUTE_PGM_RSRC2:TGID_Z_EN: 0
; COMPUTE_PGM_RSRC2:TIDIG_COMP_CNT: 0
	.section	.text._ZL33csrmvn_symm_large_adaptive_kernelIllddddEvbT_PKS0_N9rocsparse24const_host_device_scalarIT4_EES2_PKT0_PKT1_PKT2_S6_PT3_21rocsparse_index_base_b,"axG",@progbits,_ZL33csrmvn_symm_large_adaptive_kernelIllddddEvbT_PKS0_N9rocsparse24const_host_device_scalarIT4_EES2_PKT0_PKT1_PKT2_S6_PT3_21rocsparse_index_base_b,comdat
	.globl	_ZL33csrmvn_symm_large_adaptive_kernelIllddddEvbT_PKS0_N9rocsparse24const_host_device_scalarIT4_EES2_PKT0_PKT1_PKT2_S6_PT3_21rocsparse_index_base_b ; -- Begin function _ZL33csrmvn_symm_large_adaptive_kernelIllddddEvbT_PKS0_N9rocsparse24const_host_device_scalarIT4_EES2_PKT0_PKT1_PKT2_S6_PT3_21rocsparse_index_base_b
	.p2align	8
	.type	_ZL33csrmvn_symm_large_adaptive_kernelIllddddEvbT_PKS0_N9rocsparse24const_host_device_scalarIT4_EES2_PKT0_PKT1_PKT2_S6_PT3_21rocsparse_index_base_b,@function
_ZL33csrmvn_symm_large_adaptive_kernelIllddddEvbT_PKS0_N9rocsparse24const_host_device_scalarIT4_EES2_PKT0_PKT1_PKT2_S6_PT3_21rocsparse_index_base_b: ; @_ZL33csrmvn_symm_large_adaptive_kernelIllddddEvbT_PKS0_N9rocsparse24const_host_device_scalarIT4_EES2_PKT0_PKT1_PKT2_S6_PT3_21rocsparse_index_base_b
; %bb.0:
	s_load_dwordx2 s[24:25], s[4:5], 0x50
	s_load_dwordx2 s[8:9], s[4:5], 0x18
	;; [unrolled: 1-line block ×3, first 2 shown]
	s_waitcnt lgkmcnt(0)
	s_bitcmp1_b32 s25, 0
	s_cselect_b64 s[10:11], -1, 0
	v_mov_b32_e32 v4, s8
	s_xor_b64 s[2:3], s[10:11], -1
	s_and_b64 vcc, exec, s[10:11]
	v_mov_b32_e32 v5, s9
	s_cbranch_vccnz .LBB21_2
; %bb.1:
	v_mov_b32_e32 v1, s8
	v_mov_b32_e32 v2, s9
	flat_load_dwordx2 v[4:5], v[1:2]
.LBB21_2:
	v_mov_b32_e32 v2, s1
	s_andn2_b64 vcc, exec, s[2:3]
	v_mov_b32_e32 v1, s0
	s_cbranch_vccnz .LBB21_4
; %bb.3:
	v_mov_b32_e32 v2, s1
	v_mov_b32_e32 v1, s0
	flat_load_dwordx2 v[1:2], v[1:2]
.LBB21_4:
	s_waitcnt vmcnt(0) lgkmcnt(0)
	v_cmp_neq_f64_e32 vcc, 0, v[4:5]
	v_cmp_neq_f64_e64 s[0:1], 1.0, v[1:2]
	s_or_b64 s[0:1], vcc, s[0:1]
	s_and_saveexec_b64 s[2:3], s[0:1]
	s_cbranch_execz .LBB21_39
; %bb.5:
	s_load_dwordx2 s[0:1], s[4:5], 0x10
	s_mov_b32 s2, 0
	s_mov_b32 s3, s2
	v_mov_b32_e32 v1, s2
	s_ashr_i32 s7, s6, 31
	v_mov_b32_e32 v2, s3
	s_lshl_b64 s[2:3], s[6:7], 3
	s_waitcnt lgkmcnt(0)
	s_add_u32 s0, s0, s2
	v_lshlrev_b32_e32 v12, 3, v0
	s_addc_u32 s1, s1, s3
	ds_write2st64_b64 v12, v[1:2], v[1:2] offset1:4
	ds_write2st64_b64 v12, v[1:2], v[1:2] offset0:8 offset1:12
	s_waitcnt lgkmcnt(0)
	s_barrier
	s_load_dwordx4 s[20:23], s[0:1], 0x0
	s_load_dwordx8 s[12:19], s[4:5], 0x20
	s_load_dwordx2 s[26:27], s[4:5], 0x48
	v_subrev_co_u32_e64 v13, s[0:1], s24, v0
	s_waitcnt lgkmcnt(0)
	v_mov_b32_e32 v1, s22
	v_mov_b32_e32 v2, s23
	v_cmp_ge_i64_e32 vcc, s[20:21], v[1:2]
	v_mov_b32_e32 v15, 0
	v_subb_co_u32_e64 v14, s[0:1], 0, 0, s[0:1]
	s_cbranch_vccnz .LBB21_29
; %bb.6:
	s_movk_i32 s25, 0x100
	v_mov_b32_e32 v6, s22
	v_cmp_gt_u32_e64 s[0:1], s25, v0
	v_cmp_gt_u32_e64 s[2:3], 64, v0
	;; [unrolled: 1-line block ×4, first 2 shown]
	v_cmp_eq_u32_e64 s[8:9], 0, v0
	v_mov_b32_e32 v7, s23
	s_mov_b64 s[28:29], s[20:21]
	s_branch .LBB21_8
.LBB21_7:                               ;   in Loop: Header=BB21_8 Depth=1
	s_or_b64 exec, exec, s[10:11]
	s_add_u32 s28, s28, 1
	s_addc_u32 s29, s29, 0
	v_cmp_ge_i64_e32 vcc, s[28:29], v[6:7]
	s_cbranch_vccnz .LBB21_29
.LBB21_8:                               ; =>This Loop Header: Depth=1
                                        ;     Child Loop BB21_10 Depth 2
                                        ;     Child Loop BB21_24 Depth 2
	;; [unrolled: 1-line block ×3, first 2 shown]
	s_lshl_b64 s[30:31], s[28:29], 3
	s_add_u32 s10, s12, s30
	s_addc_u32 s11, s13, s31
	s_load_dwordx4 s[36:39], s[10:11], 0x0
	v_mov_b32_e32 v2, 0
	v_mov_b32_e32 v3, 0
	s_waitcnt lgkmcnt(0)
	s_sub_u32 s34, s38, s24
	v_mov_b32_e32 v1, s37
	v_add_co_u32_e32 v0, vcc, s36, v13
	s_subb_u32 s35, s39, 0
	v_addc_co_u32_e32 v1, vcc, v1, v14, vcc
	v_cmp_gt_i64_e32 vcc, s[34:35], v[0:1]
	s_and_saveexec_b64 s[36:37], vcc
	s_cbranch_execz .LBB21_12
; %bb.9:                                ;   in Loop: Header=BB21_8 Depth=1
	v_lshlrev_b64 v[2:3], 3, v[0:1]
	v_mov_b32_e32 v9, s15
	v_add_co_u32_e32 v8, vcc, s14, v2
	v_addc_co_u32_e32 v9, vcc, v9, v3, vcc
	v_mov_b32_e32 v11, s17
	v_add_co_u32_e32 v10, vcc, s16, v2
	v_addc_co_u32_e32 v11, vcc, v11, v3, vcc
	v_mov_b32_e32 v2, 0
	v_mov_b32_e32 v3, 0
	s_mov_b64 s[38:39], 0
.LBB21_10:                              ;   Parent Loop BB21_8 Depth=1
                                        ; =>  This Inner Loop Header: Depth=2
	global_load_dwordx2 v[16:17], v[8:9], off
	global_load_dwordx2 v[18:19], v[10:11], off
	v_mov_b32_e32 v20, s19
	s_waitcnt vmcnt(1)
	v_subrev_co_u32_e32 v16, vcc, s24, v16
	v_subbrev_co_u32_e32 v17, vcc, 0, v17, vcc
	v_lshlrev_b64 v[16:17], 3, v[16:17]
	v_add_co_u32_e32 v16, vcc, s18, v16
	v_addc_co_u32_e32 v17, vcc, v20, v17, vcc
	global_load_dwordx2 v[16:17], v[16:17], off
	v_add_co_u32_e32 v0, vcc, s25, v0
	v_addc_co_u32_e32 v1, vcc, 0, v1, vcc
	v_add_co_u32_e32 v8, vcc, 0x800, v8
	v_addc_co_u32_e32 v9, vcc, 0, v9, vcc
	v_cmp_le_i64_e64 s[10:11], s[34:35], v[0:1]
	v_add_co_u32_e32 v10, vcc, 0x800, v10
	s_or_b64 s[38:39], s[10:11], s[38:39]
	v_addc_co_u32_e32 v11, vcc, 0, v11, vcc
	s_waitcnt vmcnt(0)
	v_fma_f64 v[2:3], v[18:19], v[16:17], v[2:3]
	s_andn2_b64 exec, exec, s[38:39]
	s_cbranch_execnz .LBB21_10
; %bb.11:                               ;   in Loop: Header=BB21_8 Depth=1
	s_or_b64 exec, exec, s[38:39]
.LBB21_12:                              ;   in Loop: Header=BB21_8 Depth=1
	s_or_b64 exec, exec, s[36:37]
	ds_write_b64 v12, v[2:3]
	s_waitcnt lgkmcnt(0)
	s_barrier
	s_and_saveexec_b64 s[10:11], s[0:1]
	s_cbranch_execz .LBB21_14
; %bb.13:                               ;   in Loop: Header=BB21_8 Depth=1
	ds_read2st64_b64 v[0:3], v12 offset1:4
	ds_read2st64_b64 v[8:11], v12 offset0:8 offset1:12
	s_waitcnt lgkmcnt(0)
	v_add_f64 v[2:3], v[2:3], v[8:9]
	v_add_f64 v[2:3], v[2:3], v[10:11]
	;; [unrolled: 1-line block ×3, first 2 shown]
	ds_write_b64 v12, v[0:1]
.LBB21_14:                              ;   in Loop: Header=BB21_8 Depth=1
	s_or_b64 exec, exec, s[10:11]
	s_waitcnt lgkmcnt(0)
	s_barrier
	s_and_saveexec_b64 s[10:11], s[2:3]
	s_cbranch_execz .LBB21_16
; %bb.15:                               ;   in Loop: Header=BB21_8 Depth=1
	ds_read2st64_b64 v[0:3], v12 offset1:1
	ds_read2st64_b64 v[8:11], v12 offset0:2 offset1:3
	s_waitcnt lgkmcnt(0)
	v_add_f64 v[2:3], v[2:3], v[8:9]
	v_add_f64 v[2:3], v[2:3], v[10:11]
	;; [unrolled: 1-line block ×3, first 2 shown]
	ds_write_b64 v12, v[0:1]
.LBB21_16:                              ;   in Loop: Header=BB21_8 Depth=1
	s_or_b64 exec, exec, s[10:11]
	s_waitcnt lgkmcnt(0)
	s_barrier
	s_and_saveexec_b64 s[10:11], s[4:5]
	s_cbranch_execz .LBB21_18
; %bb.17:                               ;   in Loop: Header=BB21_8 Depth=1
	ds_read2_b64 v[0:3], v12 offset1:16
	ds_read2_b64 v[8:11], v12 offset0:32 offset1:48
	s_waitcnt lgkmcnt(0)
	v_add_f64 v[2:3], v[2:3], v[8:9]
	v_add_f64 v[2:3], v[2:3], v[10:11]
	;; [unrolled: 1-line block ×3, first 2 shown]
	ds_write_b64 v12, v[0:1]
.LBB21_18:                              ;   in Loop: Header=BB21_8 Depth=1
	s_or_b64 exec, exec, s[10:11]
	s_waitcnt lgkmcnt(0)
	s_barrier
	s_and_saveexec_b64 s[10:11], s[6:7]
	s_cbranch_execz .LBB21_20
; %bb.19:                               ;   in Loop: Header=BB21_8 Depth=1
	ds_read2_b64 v[0:3], v12 offset1:4
	ds_read2_b64 v[8:11], v12 offset0:8 offset1:12
	s_waitcnt lgkmcnt(0)
	v_add_f64 v[2:3], v[2:3], v[8:9]
	v_add_f64 v[2:3], v[2:3], v[10:11]
	;; [unrolled: 1-line block ×3, first 2 shown]
	ds_write_b64 v12, v[0:1]
.LBB21_20:                              ;   in Loop: Header=BB21_8 Depth=1
	s_or_b64 exec, exec, s[10:11]
	s_waitcnt lgkmcnt(0)
	s_barrier
	s_and_saveexec_b64 s[10:11], s[8:9]
	s_cbranch_execz .LBB21_22
; %bb.21:                               ;   in Loop: Header=BB21_8 Depth=1
	ds_read2_b64 v[0:3], v15 offset0:1 offset1:2
	ds_read_b64 v[8:9], v12
	s_waitcnt lgkmcnt(1)
	v_add_f64 v[0:1], v[0:1], v[2:3]
	ds_read_b64 v[2:3], v15 offset:24
	s_waitcnt lgkmcnt(0)
	v_add_f64 v[0:1], v[0:1], v[2:3]
	v_add_f64 v[0:1], v[8:9], v[0:1]
	ds_write_b64 v12, v[0:1]
.LBB21_22:                              ;   in Loop: Header=BB21_8 Depth=1
	s_or_b64 exec, exec, s[10:11]
	s_waitcnt lgkmcnt(0)
	s_barrier
	s_and_saveexec_b64 s[10:11], s[8:9]
	s_cbranch_execz .LBB21_7
; %bb.23:                               ;   in Loop: Header=BB21_8 Depth=1
	ds_read_b64 v[0:1], v15
	v_mov_b32_e32 v8, 0
	s_mov_b64 s[34:35], exec
	v_bfrev_b32_e32 v9, 1
	s_waitcnt lgkmcnt(0)
	v_mul_f64 v[0:1], v[4:5], v[0:1]
.LBB21_24:                              ;   Parent Loop BB21_8 Depth=1
                                        ; =>  This Inner Loop Header: Depth=2
	s_ff1_i32_b64 s33, s[34:35]
	v_readlane_b32 s37, v1, s33
	v_readlane_b32 s36, v0, s33
	v_add_f64 v[8:9], v[8:9], s[36:37]
	s_lshl_b64 s[36:37], 1, s33
	s_andn2_b64 s[34:35], s[34:35], s[36:37]
	s_cmp_lg_u64 s[34:35], 0
	s_cbranch_scc1 .LBB21_24
; %bb.25:                               ;   in Loop: Header=BB21_8 Depth=1
	v_mbcnt_lo_u32_b32 v0, exec_lo, 0
	v_mbcnt_hi_u32_b32 v0, exec_hi, v0
	v_cmp_eq_u32_e32 vcc, 0, v0
	s_and_saveexec_b64 s[34:35], vcc
	s_xor_b64 s[34:35], exec, s[34:35]
	s_cbranch_execz .LBB21_7
; %bb.26:                               ;   in Loop: Header=BB21_8 Depth=1
	s_add_u32 s30, s26, s30
	s_addc_u32 s31, s27, s31
	global_load_dwordx2 v[2:3], v15, s[30:31]
	s_mov_b64 s[34:35], 0
.LBB21_27:                              ;   Parent Loop BB21_8 Depth=1
                                        ; =>  This Inner Loop Header: Depth=2
	s_waitcnt vmcnt(0)
	v_add_f64 v[0:1], v[2:3], v[8:9]
	global_atomic_cmpswap_x2 v[0:1], v15, v[0:3], s[30:31] glc
	s_waitcnt vmcnt(0)
	v_cmp_eq_u64_e32 vcc, v[0:1], v[2:3]
	v_mov_b32_e32 v3, v1
	s_or_b64 s[34:35], vcc, s[34:35]
	v_mov_b32_e32 v2, v0
	s_andn2_b64 exec, exec, s[34:35]
	s_cbranch_execnz .LBB21_27
; %bb.28:                               ;   in Loop: Header=BB21_8 Depth=1
	s_or_b64 exec, exec, s[34:35]
	s_branch .LBB21_7
.LBB21_29:
	s_lshl_b64 s[0:1], s[20:21], 3
	s_add_u32 s0, s12, s0
	s_addc_u32 s1, s13, s1
	s_lshl_b64 s[2:3], s[22:23], 3
	s_add_u32 s2, s12, s2
	s_addc_u32 s3, s13, s3
	s_load_dwordx2 s[6:7], s[0:1], 0x0
	s_load_dwordx2 s[4:5], s[2:3], 0x0
	s_waitcnt lgkmcnt(0)
	v_mov_b32_e32 v0, s7
	s_sub_u32 s4, s4, s24
	v_add_co_u32_e32 v6, vcc, s6, v13
	s_subb_u32 s5, s5, 0
	v_addc_co_u32_e32 v7, vcc, v0, v14, vcc
	v_cmp_gt_i64_e32 vcc, s[4:5], v[6:7]
	s_and_b64 exec, exec, vcc
	s_cbranch_execz .LBB21_39
; %bb.30:
	s_add_u32 s6, s22, -1
	s_addc_u32 s7, s23, -1
	v_mov_b32_e32 v0, s6
	s_add_u32 s0, s22, -2
	v_mov_b32_e32 v1, s7
	s_addc_u32 s1, s23, -1
	v_cmp_lt_i64_e32 vcc, s[20:21], v[0:1]
	s_cmp_lg_u64 s[20:21], s[0:1]
	s_cselect_b64 s[0:1], -1, 0
	s_and_b64 s[0:1], vcc, s[0:1]
	v_cndmask_b32_e64 v0, 0, 1, s[0:1]
	s_mov_b64 s[8:9], 0
	v_cmp_ne_u32_e64 s[0:1], 1, v0
	v_mov_b32_e32 v12, s13
	v_mov_b32_e32 v13, s15
	s_branch .LBB21_32
.LBB21_31:                              ;   in Loop: Header=BB21_32 Depth=1
	s_or_b64 exec, exec, s[2:3]
	v_add_co_u32_e32 v6, vcc, 0x100, v6
	v_addc_co_u32_e32 v7, vcc, 0, v7, vcc
	v_cmp_le_i64_e32 vcc, s[4:5], v[6:7]
	s_or_b64 s[8:9], vcc, s[8:9]
	s_andn2_b64 exec, exec, s[8:9]
	s_cbranch_execz .LBB21_39
.LBB21_32:                              ; =>This Loop Header: Depth=1
                                        ;     Child Loop BB21_34 Depth 2
                                        ;     Child Loop BB21_38 Depth 2
	v_mov_b32_e32 v0, s20
	v_mov_b32_e32 v2, s6
	s_and_b64 vcc, exec, s[0:1]
	v_mov_b32_e32 v1, s21
	v_mov_b32_e32 v3, s7
	s_cbranch_vccnz .LBB21_36
; %bb.33:                               ;   in Loop: Header=BB21_32 Depth=1
	v_mov_b32_e32 v0, s20
	v_mov_b32_e32 v2, s6
	s_mov_b64 s[10:11], 0
	v_mov_b32_e32 v1, s21
	v_mov_b32_e32 v3, s7
.LBB21_34:                              ;   Parent Loop BB21_32 Depth=1
                                        ; =>  This Inner Loop Header: Depth=2
	v_add_co_u32_e32 v8, vcc, v2, v0
	v_addc_co_u32_e32 v9, vcc, v3, v1, vcc
	v_lshrrev_b32_e32 v10, 31, v9
	v_add_co_u32_e32 v8, vcc, v8, v10
	v_addc_co_u32_e32 v9, vcc, 0, v9, vcc
	v_ashrrev_i64 v[8:9], 1, v[8:9]
	v_mov_b32_e32 v14, s13
	v_lshlrev_b64 v[10:11], 3, v[8:9]
	v_add_co_u32_e32 v10, vcc, s12, v10
	v_addc_co_u32_e32 v11, vcc, v14, v11, vcc
	global_load_dwordx2 v[10:11], v[10:11], off
	s_waitcnt vmcnt(0)
	v_subrev_co_u32_e32 v10, vcc, s24, v10
	v_subbrev_co_u32_e32 v11, vcc, 0, v11, vcc
	v_cmp_lt_i64_e32 vcc, v[6:7], v[10:11]
	v_cndmask_b32_e32 v2, v2, v8, vcc
	v_cndmask_b32_e32 v3, v3, v9, vcc
	;; [unrolled: 1-line block ×3, first 2 shown]
	v_add_co_u32_e64 v8, s[2:3], -1, v2
	v_cndmask_b32_e32 v1, v9, v1, vcc
	v_addc_co_u32_e64 v9, s[2:3], -1, v3, s[2:3]
	v_cmp_ge_i64_e32 vcc, v[0:1], v[2:3]
	v_cmp_eq_u64_e64 s[2:3], v[0:1], v[8:9]
	s_or_b64 s[2:3], vcc, s[2:3]
	s_and_b64 s[2:3], exec, s[2:3]
	s_or_b64 s[10:11], s[2:3], s[10:11]
	s_andn2_b64 exec, exec, s[10:11]
	s_cbranch_execnz .LBB21_34
; %bb.35:                               ;   in Loop: Header=BB21_32 Depth=1
	s_or_b64 exec, exec, s[10:11]
.LBB21_36:                              ;   in Loop: Header=BB21_32 Depth=1
	v_lshlrev_b64 v[8:9], 3, v[2:3]
	v_add_co_u32_e32 v8, vcc, s12, v8
	v_addc_co_u32_e32 v9, vcc, v12, v9, vcc
	global_load_dwordx2 v[10:11], v[8:9], off
	v_lshlrev_b64 v[8:9], 3, v[6:7]
	v_add_co_u32_e32 v14, vcc, s14, v8
	v_addc_co_u32_e32 v15, vcc, v13, v9, vcc
	global_load_dwordx2 v[14:15], v[14:15], off
	s_waitcnt vmcnt(1)
	v_subrev_co_u32_e32 v10, vcc, s24, v10
	v_subbrev_co_u32_e32 v11, vcc, 0, v11, vcc
	v_cmp_lt_i64_e32 vcc, v[6:7], v[10:11]
	v_cndmask_b32_e32 v3, v3, v1, vcc
	v_cndmask_b32_e32 v2, v2, v0, vcc
	s_waitcnt vmcnt(0)
	v_subrev_co_u32_e32 v0, vcc, s24, v14
	v_subbrev_co_u32_e32 v1, vcc, 0, v15, vcc
	v_cmp_ne_u64_e32 vcc, v[0:1], v[2:3]
	s_and_saveexec_b64 s[2:3], vcc
	s_cbranch_execz .LBB21_31
; %bb.37:                               ;   in Loop: Header=BB21_32 Depth=1
	v_mov_b32_e32 v10, s17
	v_add_co_u32_e32 v8, vcc, s16, v8
	v_addc_co_u32_e32 v9, vcc, v10, v9, vcc
	global_load_dwordx2 v[10:11], v[8:9], off
	v_lshlrev_b64 v[2:3], 3, v[2:3]
	v_mov_b32_e32 v8, s19
	v_add_co_u32_e32 v2, vcc, s18, v2
	v_addc_co_u32_e32 v3, vcc, v8, v3, vcc
	global_load_dwordx2 v[14:15], v[2:3], off
	v_lshlrev_b64 v[0:1], 3, v[0:1]
	v_mov_b32_e32 v2, s27
	v_add_co_u32_e32 v8, vcc, s26, v0
	v_addc_co_u32_e32 v9, vcc, v2, v1, vcc
	global_load_dwordx2 v[2:3], v[8:9], off
	s_mov_b64 s[10:11], 0
	s_waitcnt vmcnt(2)
	v_mul_f64 v[0:1], v[4:5], v[10:11]
	s_waitcnt vmcnt(1)
	v_mul_f64 v[10:11], v[0:1], v[14:15]
.LBB21_38:                              ;   Parent Loop BB21_32 Depth=1
                                        ; =>  This Inner Loop Header: Depth=2
	s_waitcnt vmcnt(0)
	v_add_f64 v[0:1], v[2:3], v[10:11]
	global_atomic_cmpswap_x2 v[0:1], v[8:9], v[0:3], off glc
	s_waitcnt vmcnt(0)
	v_cmp_eq_u64_e32 vcc, v[0:1], v[2:3]
	v_mov_b32_e32 v3, v1
	s_or_b64 s[10:11], vcc, s[10:11]
	v_mov_b32_e32 v2, v0
	s_andn2_b64 exec, exec, s[10:11]
	s_cbranch_execnz .LBB21_38
	s_branch .LBB21_31
.LBB21_39:
	s_endpgm
	.section	.rodata,"a",@progbits
	.p2align	6, 0x0
	.amdhsa_kernel _ZL33csrmvn_symm_large_adaptive_kernelIllddddEvbT_PKS0_N9rocsparse24const_host_device_scalarIT4_EES2_PKT0_PKT1_PKT2_S6_PT3_21rocsparse_index_base_b
		.amdhsa_group_segment_fixed_size 8192
		.amdhsa_private_segment_fixed_size 0
		.amdhsa_kernarg_size 88
		.amdhsa_user_sgpr_count 6
		.amdhsa_user_sgpr_private_segment_buffer 1
		.amdhsa_user_sgpr_dispatch_ptr 0
		.amdhsa_user_sgpr_queue_ptr 0
		.amdhsa_user_sgpr_kernarg_segment_ptr 1
		.amdhsa_user_sgpr_dispatch_id 0
		.amdhsa_user_sgpr_flat_scratch_init 0
		.amdhsa_user_sgpr_private_segment_size 0
		.amdhsa_uses_dynamic_stack 0
		.amdhsa_system_sgpr_private_segment_wavefront_offset 0
		.amdhsa_system_sgpr_workgroup_id_x 1
		.amdhsa_system_sgpr_workgroup_id_y 0
		.amdhsa_system_sgpr_workgroup_id_z 0
		.amdhsa_system_sgpr_workgroup_info 0
		.amdhsa_system_vgpr_workitem_id 0
		.amdhsa_next_free_vgpr 29
		.amdhsa_next_free_sgpr 61
		.amdhsa_reserve_vcc 1
		.amdhsa_reserve_flat_scratch 0
		.amdhsa_float_round_mode_32 0
		.amdhsa_float_round_mode_16_64 0
		.amdhsa_float_denorm_mode_32 3
		.amdhsa_float_denorm_mode_16_64 3
		.amdhsa_dx10_clamp 1
		.amdhsa_ieee_mode 1
		.amdhsa_fp16_overflow 0
		.amdhsa_exception_fp_ieee_invalid_op 0
		.amdhsa_exception_fp_denorm_src 0
		.amdhsa_exception_fp_ieee_div_zero 0
		.amdhsa_exception_fp_ieee_overflow 0
		.amdhsa_exception_fp_ieee_underflow 0
		.amdhsa_exception_fp_ieee_inexact 0
		.amdhsa_exception_int_div_zero 0
	.end_amdhsa_kernel
	.section	.text._ZL33csrmvn_symm_large_adaptive_kernelIllddddEvbT_PKS0_N9rocsparse24const_host_device_scalarIT4_EES2_PKT0_PKT1_PKT2_S6_PT3_21rocsparse_index_base_b,"axG",@progbits,_ZL33csrmvn_symm_large_adaptive_kernelIllddddEvbT_PKS0_N9rocsparse24const_host_device_scalarIT4_EES2_PKT0_PKT1_PKT2_S6_PT3_21rocsparse_index_base_b,comdat
.Lfunc_end21:
	.size	_ZL33csrmvn_symm_large_adaptive_kernelIllddddEvbT_PKS0_N9rocsparse24const_host_device_scalarIT4_EES2_PKT0_PKT1_PKT2_S6_PT3_21rocsparse_index_base_b, .Lfunc_end21-_ZL33csrmvn_symm_large_adaptive_kernelIllddddEvbT_PKS0_N9rocsparse24const_host_device_scalarIT4_EES2_PKT0_PKT1_PKT2_S6_PT3_21rocsparse_index_base_b
                                        ; -- End function
	.set _ZL33csrmvn_symm_large_adaptive_kernelIllddddEvbT_PKS0_N9rocsparse24const_host_device_scalarIT4_EES2_PKT0_PKT1_PKT2_S6_PT3_21rocsparse_index_base_b.num_vgpr, 21
	.set _ZL33csrmvn_symm_large_adaptive_kernelIllddddEvbT_PKS0_N9rocsparse24const_host_device_scalarIT4_EES2_PKT0_PKT1_PKT2_S6_PT3_21rocsparse_index_base_b.num_agpr, 0
	.set _ZL33csrmvn_symm_large_adaptive_kernelIllddddEvbT_PKS0_N9rocsparse24const_host_device_scalarIT4_EES2_PKT0_PKT1_PKT2_S6_PT3_21rocsparse_index_base_b.numbered_sgpr, 40
	.set _ZL33csrmvn_symm_large_adaptive_kernelIllddddEvbT_PKS0_N9rocsparse24const_host_device_scalarIT4_EES2_PKT0_PKT1_PKT2_S6_PT3_21rocsparse_index_base_b.num_named_barrier, 0
	.set _ZL33csrmvn_symm_large_adaptive_kernelIllddddEvbT_PKS0_N9rocsparse24const_host_device_scalarIT4_EES2_PKT0_PKT1_PKT2_S6_PT3_21rocsparse_index_base_b.private_seg_size, 0
	.set _ZL33csrmvn_symm_large_adaptive_kernelIllddddEvbT_PKS0_N9rocsparse24const_host_device_scalarIT4_EES2_PKT0_PKT1_PKT2_S6_PT3_21rocsparse_index_base_b.uses_vcc, 1
	.set _ZL33csrmvn_symm_large_adaptive_kernelIllddddEvbT_PKS0_N9rocsparse24const_host_device_scalarIT4_EES2_PKT0_PKT1_PKT2_S6_PT3_21rocsparse_index_base_b.uses_flat_scratch, 0
	.set _ZL33csrmvn_symm_large_adaptive_kernelIllddddEvbT_PKS0_N9rocsparse24const_host_device_scalarIT4_EES2_PKT0_PKT1_PKT2_S6_PT3_21rocsparse_index_base_b.has_dyn_sized_stack, 0
	.set _ZL33csrmvn_symm_large_adaptive_kernelIllddddEvbT_PKS0_N9rocsparse24const_host_device_scalarIT4_EES2_PKT0_PKT1_PKT2_S6_PT3_21rocsparse_index_base_b.has_recursion, 0
	.set _ZL33csrmvn_symm_large_adaptive_kernelIllddddEvbT_PKS0_N9rocsparse24const_host_device_scalarIT4_EES2_PKT0_PKT1_PKT2_S6_PT3_21rocsparse_index_base_b.has_indirect_call, 0
	.section	.AMDGPU.csdata,"",@progbits
; Kernel info:
; codeLenInByte = 1784
; TotalNumSgprs: 44
; NumVgprs: 21
; ScratchSize: 0
; MemoryBound: 0
; FloatMode: 240
; IeeeMode: 1
; LDSByteSize: 8192 bytes/workgroup (compile time only)
; SGPRBlocks: 8
; VGPRBlocks: 7
; NumSGPRsForWavesPerEU: 65
; NumVGPRsForWavesPerEU: 29
; Occupancy: 8
; WaveLimiterHint : 1
; COMPUTE_PGM_RSRC2:SCRATCH_EN: 0
; COMPUTE_PGM_RSRC2:USER_SGPR: 6
; COMPUTE_PGM_RSRC2:TRAP_HANDLER: 0
; COMPUTE_PGM_RSRC2:TGID_X_EN: 1
; COMPUTE_PGM_RSRC2:TGID_Y_EN: 0
; COMPUTE_PGM_RSRC2:TGID_Z_EN: 0
; COMPUTE_PGM_RSRC2:TIDIG_COMP_CNT: 0
	.section	.text._ZN9rocsparseL22csrmvn_adaptive_kernelIii21rocsparse_complex_numIfES2_S2_S2_EEvbT_PKS3_PjPKT0_NS_24const_host_device_scalarIT4_EES5_S9_PKT1_PKT2_SC_PT3_21rocsparse_index_base_b,"axG",@progbits,_ZN9rocsparseL22csrmvn_adaptive_kernelIii21rocsparse_complex_numIfES2_S2_S2_EEvbT_PKS3_PjPKT0_NS_24const_host_device_scalarIT4_EES5_S9_PKT1_PKT2_SC_PT3_21rocsparse_index_base_b,comdat
	.globl	_ZN9rocsparseL22csrmvn_adaptive_kernelIii21rocsparse_complex_numIfES2_S2_S2_EEvbT_PKS3_PjPKT0_NS_24const_host_device_scalarIT4_EES5_S9_PKT1_PKT2_SC_PT3_21rocsparse_index_base_b ; -- Begin function _ZN9rocsparseL22csrmvn_adaptive_kernelIii21rocsparse_complex_numIfES2_S2_S2_EEvbT_PKS3_PjPKT0_NS_24const_host_device_scalarIT4_EES5_S9_PKT1_PKT2_SC_PT3_21rocsparse_index_base_b
	.p2align	8
	.type	_ZN9rocsparseL22csrmvn_adaptive_kernelIii21rocsparse_complex_numIfES2_S2_S2_EEvbT_PKS3_PjPKT0_NS_24const_host_device_scalarIT4_EES5_S9_PKT1_PKT2_SC_PT3_21rocsparse_index_base_b,@function
_ZN9rocsparseL22csrmvn_adaptive_kernelIii21rocsparse_complex_numIfES2_S2_S2_EEvbT_PKS3_PjPKT0_NS_24const_host_device_scalarIT4_EES5_S9_PKT1_PKT2_SC_PT3_21rocsparse_index_base_b: ; @_ZN9rocsparseL22csrmvn_adaptive_kernelIii21rocsparse_complex_numIfES2_S2_S2_EEvbT_PKS3_PjPKT0_NS_24const_host_device_scalarIT4_EES5_S9_PKT1_PKT2_SC_PT3_21rocsparse_index_base_b
; %bb.0:
	s_load_dwordx2 s[0:1], s[4:5], 0x20
	s_load_dwordx2 s[40:41], s[4:5], 0x58
	s_add_u32 s7, s4, 32
	s_addc_u32 s8, s5, 0
	s_add_u32 s9, s4, 0x48
	s_load_dwordx2 s[2:3], s[4:5], 0x48
	s_addc_u32 s10, s5, 0
	s_waitcnt lgkmcnt(0)
	s_bitcmp1_b32 s41, 0
	s_cselect_b32 s1, s8, s1
	s_cselect_b32 s0, s7, s0
	v_mov_b32_e32 v1, s0
	v_mov_b32_e32 v2, s1
	flat_load_dwordx2 v[3:4], v[1:2]
	s_cselect_b32 s0, s10, s3
	s_cselect_b32 s1, s9, s2
	v_mov_b32_e32 v1, s1
	v_mov_b32_e32 v2, s0
	flat_load_dwordx2 v[1:2], v[1:2]
	s_waitcnt vmcnt(0) lgkmcnt(0)
	v_cmp_eq_f32_e32 vcc, 0, v3
	v_cmp_eq_f32_e64 s[0:1], 0, v4
	s_and_b64 s[8:9], vcc, s[0:1]
	s_mov_b64 s[0:1], -1
	s_and_saveexec_b64 s[2:3], s[8:9]
; %bb.1:
	v_cmp_neq_f32_e32 vcc, 1.0, v1
	v_cmp_neq_f32_e64 s[0:1], 0, v2
	s_or_b64 s[0:1], vcc, s[0:1]
	s_orn2_b64 s[0:1], s[0:1], exec
; %bb.2:
	s_or_b64 exec, exec, s[2:3]
	s_and_saveexec_b64 s[2:3], s[0:1]
	s_cbranch_execz .LBB22_116
; %bb.3:
	s_load_dwordx4 s[36:39], s[4:5], 0x0
	s_load_dwordx2 s[0:1], s[4:5], 0x18
	s_waitcnt lgkmcnt(0)
	s_bitcmp1_b32 s36, 0
	s_cselect_b64 s[42:43], -1, 0
	s_ashr_i32 s7, s6, 31
	s_lshl_b64 s[46:47], s[6:7], 2
	s_add_u32 s2, s38, s46
	s_addc_u32 s3, s39, s47
	s_load_dwordx2 s[34:35], s[2:3], 0x0
	s_load_dwordx2 s[22:23], s[4:5], 0x50
	s_load_dwordx8 s[24:31], s[4:5], 0x28
	s_waitcnt lgkmcnt(0)
	s_sub_i32 s2, s35, s34
	s_add_u32 s0, s0, s46
	s_mov_b32 s44, s34
	s_addc_u32 s1, s1, s47
	s_ashr_i32 s45, s34, 31
	s_load_dword s33, s[0:1], 0x0
	s_lshl_b64 s[0:1], s[44:45], 2
	s_add_u32 s38, s24, s0
	s_addc_u32 s39, s25, s1
	s_load_dword s36, s[38:39], 0x0
	s_cmp_lt_i32 s2, 2
	s_mov_b64 s[0:1], -1
	s_cbranch_scc0 .LBB22_72
; %bb.4:
	s_cmp_lg_u32 s2, 1
	s_cselect_b64 s[0:1], -1, 0
	s_waitcnt lgkmcnt(0)
	s_cmp_lg_u32 s33, 0
	s_cselect_b64 s[2:3], -1, 0
	s_or_b64 s[0:1], s[0:1], s[2:3]
	s_mov_b64 s[18:19], -1
	s_and_b64 vcc, exec, s[0:1]
	v_cmp_gt_u32_e64 s[0:1], 64, v0
	v_cmp_gt_u32_e64 s[2:3], 32, v0
	;; [unrolled: 1-line block ×6, first 2 shown]
	v_cmp_eq_u32_e64 s[16:17], 0, v0
	s_cbranch_vccnz .LBB22_32
; %bb.5:
	v_cmp_neq_f32_e32 vcc, 0, v1
	v_cmp_neq_f32_e64 s[20:21], 0, v2
	s_movk_i32 s7, 0x80
	s_or_b64 s[48:49], vcc, s[20:21]
	v_cmp_gt_u32_e64 s[18:19], s7, v0
	s_add_u32 s7, s28, 4
	v_subrev_u32_e32 v12, s40, v0
	v_lshlrev_b32_e32 v13, 3, v0
	s_addc_u32 s41, s29, 0
	v_mov_b32_e32 v14, 0
	s_mov_b32 s50, s34
	s_branch .LBB22_8
.LBB22_6:                               ;   in Loop: Header=BB22_8 Depth=1
	s_or_b64 exec, exec, s[52:53]
	s_lshl_b64 s[52:53], s[50:51], 3
	s_add_u32 s52, s22, s52
	s_addc_u32 s53, s23, s53
	s_waitcnt lgkmcnt(0)
	global_store_dwordx2 v14, v[5:6], s[52:53]
.LBB22_7:                               ;   in Loop: Header=BB22_8 Depth=1
	s_or_b64 exec, exec, s[20:21]
	s_add_i32 s50, s50, 1
	s_cmp_ge_i32 s50, s35
	s_cbranch_scc1 .LBB22_31
.LBB22_8:                               ; =>This Loop Header: Depth=1
                                        ;     Child Loop BB22_10 Depth 2
	s_ashr_i32 s51, s50, 31
	s_lshl_b64 s[20:21], s[50:51], 2
	s_add_u32 s20, s24, s20
	s_addc_u32 s21, s25, s21
	s_load_dwordx2 s[52:53], s[20:21], 0x0
	v_mov_b32_e32 v7, 0
	v_mov_b32_e32 v6, 0
	s_waitcnt lgkmcnt(0)
	s_sub_i32 s56, s53, s40
	v_add_u32_e32 v5, s52, v12
	v_cmp_gt_i32_e32 vcc, s56, v5
	s_and_saveexec_b64 s[52:53], vcc
	s_cbranch_execz .LBB22_12
; %bb.9:                                ;   in Loop: Header=BB22_8 Depth=1
	v_ashrrev_i32_e32 v6, 31, v5
	v_lshlrev_b64 v[8:9], 3, v[5:6]
	v_mov_b32_e32 v7, s41
	v_add_co_u32_e32 v8, vcc, s7, v8
	v_addc_co_u32_e32 v9, vcc, v7, v9, vcc
	v_lshlrev_b64 v[6:7], 2, v[5:6]
	v_mov_b32_e32 v11, s27
	v_add_co_u32_e32 v10, vcc, s26, v6
	v_addc_co_u32_e32 v11, vcc, v11, v7, vcc
	v_mov_b32_e32 v7, 0
	s_mov_b64 s[54:55], 0
	v_mov_b32_e32 v6, v7
.LBB22_10:                              ;   Parent Loop BB22_8 Depth=1
                                        ; =>  This Inner Loop Header: Depth=2
	global_load_dword v17, v[10:11], off
	global_load_dwordx2 v[15:16], v[8:9], off offset:-4
	v_mov_b32_e32 v19, s31
	v_add_u32_e32 v5, 0x100, v5
	v_cmp_le_i32_e64 s[20:21], s56, v5
	s_or_b64 s[54:55], s[20:21], s[54:55]
	s_waitcnt vmcnt(1)
	v_subrev_u32_e32 v17, s40, v17
	v_ashrrev_i32_e32 v18, 31, v17
	v_lshlrev_b64 v[17:18], 3, v[17:18]
	s_waitcnt vmcnt(0)
	v_cndmask_b32_e64 v16, v16, -v16, s[42:43]
	v_add_co_u32_e32 v17, vcc, s30, v17
	v_addc_co_u32_e32 v18, vcc, v19, v18, vcc
	global_load_dwordx2 v[17:18], v[17:18], off
	v_add_co_u32_e32 v8, vcc, 0x800, v8
	v_mul_f32_e64 v19, v16, -v4
	v_mul_f32_e32 v16, v3, v16
	v_addc_co_u32_e32 v9, vcc, 0, v9, vcc
	v_fmac_f32_e32 v19, v3, v15
	v_fmac_f32_e32 v16, v4, v15
	v_add_co_u32_e32 v10, vcc, 0x400, v10
	v_addc_co_u32_e32 v11, vcc, 0, v11, vcc
	s_waitcnt vmcnt(0)
	v_fmac_f32_e32 v6, v19, v17
	v_fmac_f32_e32 v7, v16, v17
	v_fma_f32 v6, -v16, v18, v6
	v_fmac_f32_e32 v7, v19, v18
	s_andn2_b64 exec, exec, s[54:55]
	s_cbranch_execnz .LBB22_10
; %bb.11:                               ;   in Loop: Header=BB22_8 Depth=1
	s_or_b64 exec, exec, s[54:55]
.LBB22_12:                              ;   in Loop: Header=BB22_8 Depth=1
	s_or_b64 exec, exec, s[52:53]
	ds_write_b64 v13, v[6:7]
	s_waitcnt vmcnt(0) lgkmcnt(0)
	s_barrier
	s_and_saveexec_b64 s[20:21], s[18:19]
	s_cbranch_execz .LBB22_14
; %bb.13:                               ;   in Loop: Header=BB22_8 Depth=1
	ds_read2st64_b64 v[5:8], v13 offset1:2
	s_waitcnt lgkmcnt(0)
	v_add_f32_e32 v5, v7, v5
	v_add_f32_e32 v6, v8, v6
	ds_write_b64 v13, v[5:6]
.LBB22_14:                              ;   in Loop: Header=BB22_8 Depth=1
	s_or_b64 exec, exec, s[20:21]
	s_waitcnt lgkmcnt(0)
	s_barrier
	s_and_saveexec_b64 s[20:21], s[0:1]
	s_cbranch_execz .LBB22_16
; %bb.15:                               ;   in Loop: Header=BB22_8 Depth=1
	ds_read2st64_b64 v[5:8], v13 offset1:1
	s_waitcnt lgkmcnt(0)
	v_add_f32_e32 v5, v7, v5
	v_add_f32_e32 v6, v8, v6
	ds_write_b64 v13, v[5:6]
.LBB22_16:                              ;   in Loop: Header=BB22_8 Depth=1
	s_or_b64 exec, exec, s[20:21]
	s_waitcnt lgkmcnt(0)
	s_barrier
	s_and_saveexec_b64 s[20:21], s[2:3]
	s_cbranch_execz .LBB22_18
; %bb.17:                               ;   in Loop: Header=BB22_8 Depth=1
	ds_read2_b64 v[5:8], v13 offset1:32
	s_waitcnt lgkmcnt(0)
	v_add_f32_e32 v5, v7, v5
	v_add_f32_e32 v6, v8, v6
	ds_write_b64 v13, v[5:6]
.LBB22_18:                              ;   in Loop: Header=BB22_8 Depth=1
	s_or_b64 exec, exec, s[20:21]
	s_waitcnt lgkmcnt(0)
	s_barrier
	s_and_saveexec_b64 s[20:21], s[8:9]
	s_cbranch_execz .LBB22_20
; %bb.19:                               ;   in Loop: Header=BB22_8 Depth=1
	ds_read2_b64 v[5:8], v13 offset1:16
	s_waitcnt lgkmcnt(0)
	v_add_f32_e32 v5, v7, v5
	v_add_f32_e32 v6, v8, v6
	ds_write_b64 v13, v[5:6]
.LBB22_20:                              ;   in Loop: Header=BB22_8 Depth=1
	;; [unrolled: 12-line block ×6, first 2 shown]
	s_or_b64 exec, exec, s[20:21]
	s_waitcnt lgkmcnt(0)
	s_barrier
	s_and_saveexec_b64 s[20:21], s[16:17]
	s_cbranch_execz .LBB22_7
; %bb.29:                               ;   in Loop: Header=BB22_8 Depth=1
	ds_read_b64 v[5:6], v14
	s_and_saveexec_b64 s[52:53], s[48:49]
	s_cbranch_execz .LBB22_6
; %bb.30:                               ;   in Loop: Header=BB22_8 Depth=1
	s_lshl_b64 s[54:55], s[50:51], 3
	s_add_u32 s54, s22, s54
	s_addc_u32 s55, s23, s55
	global_load_dwordx2 v[7:8], v14, s[54:55]
	s_waitcnt vmcnt(0) lgkmcnt(0)
	v_fma_f32 v5, v1, v7, v5
	v_fmac_f32_e32 v6, v2, v7
	v_fma_f32 v5, -v2, v8, v5
	v_fmac_f32_e32 v6, v1, v8
	s_branch .LBB22_6
.LBB22_31:
	s_mov_b64 s[18:19], 0
.LBB22_32:
	s_and_b64 vcc, exec, s[18:19]
	s_cbranch_vccz .LBB22_71
; %bb.33:
	s_load_dwordx2 s[4:5], s[4:5], 0x10
	s_sub_i32 s6, s6, s33
	v_mov_b32_e32 v5, 0
	v_or_b32_e32 v6, s33, v0
	v_cmp_eq_u32_e32 vcc, 0, v6
	s_waitcnt lgkmcnt(0)
	s_add_u32 s2, s4, s46
	s_addc_u32 s3, s5, s47
	global_load_dword v13, v5, s[2:3]
	v_mov_b32_e32 v6, 0
	s_and_saveexec_b64 s[0:1], vcc
	s_cbranch_execz .LBB22_37
; %bb.34:
	s_lshl_b64 s[10:11], s[44:45], 3
	s_add_u32 s10, s22, s10
	s_addc_u32 s11, s23, s11
	v_mov_b32_e32 v10, 0
	global_load_dwordx2 v[7:8], v10, s[10:11]
	s_mov_b64 s[8:9], exec
	v_mbcnt_lo_u32_b32 v5, s8, 0
	v_add_f32_e32 v9, -1.0, v1
	v_mbcnt_hi_u32_b32 v11, s9, v5
	v_cmp_eq_u32_e32 vcc, 0, v11
	s_waitcnt vmcnt(0) expcnt(0) lgkmcnt(0)
	v_mul_f32_e64 v5, v8, -v2
	v_mul_f32_e32 v6, v9, v8
	s_and_saveexec_b64 s[10:11], vcc
	s_cbranch_execz .LBB22_36
; %bb.35:
	s_ashr_i32 s7, s6, 31
	s_lshl_b64 s[12:13], s[6:7], 2
	s_add_u32 s12, s4, s12
	s_addc_u32 s13, s5, s13
	s_bcnt1_i32_b64 s7, s[8:9]
	s_and_b32 s7, s7, 1
	v_mov_b32_e32 v8, s7
	global_atomic_xor v10, v8, s[12:13]
.LBB22_36:
	s_or_b64 exec, exec, s[10:11]
	v_fmac_f32_e32 v5, v9, v7
	v_fmac_f32_e32 v6, v2, v7
.LBB22_37:
	s_or_b64 exec, exec, s[0:1]
	s_load_dword s1, s[38:39], 0x4
	s_mul_i32 s0, s33, 0xc00
	s_sub_i32 s7, s36, s40
	s_add_i32 s0, s7, s0
	v_add_u32_e32 v7, s0, v0
	s_waitcnt lgkmcnt(0)
	s_sub_i32 s1, s1, s40
	v_cmp_gt_i32_e32 vcc, s1, v7
	s_and_saveexec_b64 s[8:9], vcc
	s_cbranch_execz .LBB22_41
; %bb.38:
	v_ashrrev_i32_e32 v8, 31, v7
	v_lshlrev_b64 v[9:10], 3, v[7:8]
	v_mov_b32_e32 v11, s29
	v_add_co_u32_e32 v9, vcc, s28, v9
	v_addc_co_u32_e32 v10, vcc, v11, v10, vcc
	v_add_co_u32_e32 v9, vcc, 4, v9
	v_lshlrev_b64 v[11:12], 2, v[7:8]
	v_addc_co_u32_e32 v10, vcc, 0, v10, vcc
	s_addk_i32 s0, 0xc00
	v_mov_b32_e32 v8, s27
	v_add_co_u32_e32 v11, vcc, s26, v11
	s_min_i32 s7, s0, s1
	v_addc_co_u32_e32 v12, vcc, v8, v12, vcc
	s_mov_b64 s[10:11], 0
	v_mov_b32_e32 v8, s31
.LBB22_39:                              ; =>This Inner Loop Header: Depth=1
	global_load_dword v16, v[11:12], off
	global_load_dwordx2 v[14:15], v[9:10], off offset:-4
	v_add_u32_e32 v7, 0x100, v7
	v_cmp_le_i32_e64 s[0:1], s7, v7
	s_or_b64 s[10:11], s[0:1], s[10:11]
	s_waitcnt vmcnt(1)
	v_subrev_u32_e32 v16, s40, v16
	v_ashrrev_i32_e32 v17, 31, v16
	v_lshlrev_b64 v[16:17], 3, v[16:17]
	s_waitcnt vmcnt(0)
	v_cndmask_b32_e64 v15, v15, -v15, s[42:43]
	v_add_co_u32_e32 v16, vcc, s30, v16
	v_addc_co_u32_e32 v17, vcc, v8, v17, vcc
	global_load_dwordx2 v[16:17], v[16:17], off
	v_add_co_u32_e32 v9, vcc, 0x800, v9
	v_mul_f32_e64 v18, v15, -v4
	v_mul_f32_e32 v15, v3, v15
	v_addc_co_u32_e32 v10, vcc, 0, v10, vcc
	v_fmac_f32_e32 v18, v3, v14
	v_fmac_f32_e32 v15, v4, v14
	v_add_co_u32_e32 v11, vcc, 0x400, v11
	v_addc_co_u32_e32 v12, vcc, 0, v12, vcc
	s_waitcnt vmcnt(0)
	v_fmac_f32_e32 v5, v18, v16
	v_fmac_f32_e32 v6, v15, v16
	v_fma_f32 v5, -v15, v17, v5
	v_fmac_f32_e32 v6, v18, v17
	s_andn2_b64 exec, exec, s[10:11]
	s_cbranch_execnz .LBB22_39
; %bb.40:
	s_or_b64 exec, exec, s[10:11]
.LBB22_41:
	s_or_b64 exec, exec, s[8:9]
	s_movk_i32 s0, 0x80
	v_lshlrev_b32_e32 v7, 3, v0
	v_cmp_gt_u32_e32 vcc, s0, v0
	ds_write_b64 v7, v[5:6]
	s_waitcnt vmcnt(0) lgkmcnt(0)
	s_barrier
	s_and_saveexec_b64 s[0:1], vcc
	s_cbranch_execz .LBB22_43
; %bb.42:
	ds_read2st64_b64 v[8:11], v7 offset1:2
	s_waitcnt lgkmcnt(0)
	v_add_f32_e32 v5, v10, v8
	v_add_f32_e32 v6, v11, v9
	ds_write_b64 v7, v[5:6]
.LBB22_43:
	s_or_b64 exec, exec, s[0:1]
	v_cmp_gt_u32_e32 vcc, 64, v0
	s_waitcnt lgkmcnt(0)
	s_barrier
	s_and_saveexec_b64 s[0:1], vcc
	s_cbranch_execz .LBB22_45
; %bb.44:
	ds_read2st64_b64 v[8:11], v7 offset1:1
	s_waitcnt lgkmcnt(0)
	v_add_f32_e32 v5, v10, v8
	v_add_f32_e32 v6, v11, v9
	ds_write_b64 v7, v[5:6]
.LBB22_45:
	s_or_b64 exec, exec, s[0:1]
	v_cmp_gt_u32_e32 vcc, 32, v0
	s_waitcnt lgkmcnt(0)
	s_barrier
	s_and_saveexec_b64 s[0:1], vcc
	s_cbranch_execz .LBB22_47
; %bb.46:
	ds_read2_b64 v[8:11], v7 offset1:32
	s_waitcnt lgkmcnt(0)
	v_add_f32_e32 v5, v10, v8
	v_add_f32_e32 v6, v11, v9
	ds_write_b64 v7, v[5:6]
.LBB22_47:
	s_or_b64 exec, exec, s[0:1]
	v_cmp_gt_u32_e32 vcc, 16, v0
	s_waitcnt lgkmcnt(0)
	s_barrier
	s_and_saveexec_b64 s[0:1], vcc
	s_cbranch_execz .LBB22_49
; %bb.48:
	ds_read2_b64 v[8:11], v7 offset1:16
	s_waitcnt lgkmcnt(0)
	v_add_f32_e32 v5, v10, v8
	v_add_f32_e32 v6, v11, v9
	ds_write_b64 v7, v[5:6]
.LBB22_49:
	;; [unrolled: 13-line block ×5, first 2 shown]
	s_or_b64 exec, exec, s[0:1]
	v_cmp_eq_u32_e32 vcc, 0, v0
	s_waitcnt lgkmcnt(0)
	s_barrier
	s_and_saveexec_b64 s[0:1], vcc
	s_cbranch_execz .LBB22_57
; %bb.56:
	v_mov_b32_e32 v9, 0
	ds_read2_b64 v[5:8], v9 offset1:1
	s_waitcnt lgkmcnt(0)
	v_add_f32_e32 v5, v7, v5
	v_add_f32_e32 v6, v8, v6
	ds_write_b64 v9, v[5:6]
.LBB22_57:
	s_or_b64 exec, exec, s[0:1]
	s_waitcnt lgkmcnt(0)
	s_barrier
	s_and_saveexec_b64 s[0:1], vcc
	s_cbranch_execz .LBB22_70
; %bb.58:
	s_cmp_eq_u32 s33, 0
	s_cbranch_scc1 .LBB22_64
; %bb.59:
	s_ashr_i32 s7, s6, 31
	s_lshl_b64 s[6:7], s[6:7], 2
	s_add_u32 s4, s4, s6
	s_addc_u32 s5, s5, s7
	v_mov_b32_e32 v5, 0
	s_branch .LBB22_61
.LBB22_60:                              ;   in Loop: Header=BB22_61 Depth=1
	s_or_b64 exec, exec, s[6:7]
	s_waitcnt vmcnt(0)
	v_readfirstlane_b32 s6, v6
	v_cmp_eq_u32_e32 vcc, s6, v13
	s_cbranch_vccz .LBB22_63
.LBB22_61:                              ; =>This Inner Loop Header: Depth=1
	v_mbcnt_lo_u32_b32 v6, exec_lo, 0
	v_mbcnt_hi_u32_b32 v6, exec_hi, v6
	v_cmp_eq_u32_e32 vcc, 0, v6
                                        ; implicit-def: $vgpr6
	s_and_saveexec_b64 s[6:7], vcc
	s_cbranch_execz .LBB22_60
; %bb.62:                               ;   in Loop: Header=BB22_61 Depth=1
	global_load_dword v6, v5, s[4:5] glc
	s_branch .LBB22_60
.LBB22_63:
	v_mov_b32_e32 v5, 0
	global_load_ushort v6, v5, s[2:3]
	s_waitcnt vmcnt(0)
	v_xor_b32_e32 v6, 1, v6
	global_store_short v5, v6, s[2:3]
.LBB22_64:
	v_mov_b32_e32 v9, 0
	ds_read_b64 v[5:6], v9
	s_mov_b64 s[6:7], exec
	s_lshl_b64 s[2:3], s[44:45], 3
	v_mbcnt_lo_u32_b32 v7, s6, 0
	s_add_u32 s2, s22, s2
	v_mbcnt_hi_u32_b32 v7, s7, v7
	s_addc_u32 s3, s23, s3
	v_cmp_eq_u32_e32 vcc, 0, v7
	s_and_saveexec_b64 s[4:5], vcc
	s_cbranch_execz .LBB22_67
; %bb.65:
	global_load_dword v8, v9, s[2:3]
	s_bcnt1_i32_b64 s6, s[6:7]
	v_cvt_f32_ubyte0_e32 v7, s6
	s_waitcnt lgkmcnt(0)
	v_mul_f32_e32 v5, v5, v7
	s_mov_b64 s[6:7], 0
.LBB22_66:                              ; =>This Inner Loop Header: Depth=1
	s_waitcnt vmcnt(0)
	v_add_f32_e32 v7, v8, v5
	global_atomic_cmpswap v7, v9, v[7:8], s[2:3] glc
	s_waitcnt vmcnt(0)
	v_cmp_eq_u32_e32 vcc, v7, v8
	s_or_b64 s[6:7], vcc, s[6:7]
	v_mov_b32_e32 v8, v7
	s_andn2_b64 exec, exec, s[6:7]
	s_cbranch_execnz .LBB22_66
.LBB22_67:
	s_or_b64 exec, exec, s[4:5]
	s_mov_b64 s[4:5], exec
	s_waitcnt lgkmcnt(0)
	v_mbcnt_lo_u32_b32 v5, s4, 0
	v_mbcnt_hi_u32_b32 v5, s5, v5
	v_cmp_eq_u32_e32 vcc, 0, v5
	s_and_b64 s[6:7], exec, vcc
	s_mov_b64 exec, s[6:7]
	s_cbranch_execz .LBB22_70
; %bb.68:
	v_mov_b32_e32 v5, 0
	global_load_dword v7, v5, s[2:3] offset:4
	s_bcnt1_i32_b64 s4, s[4:5]
	v_cvt_f32_ubyte0_e32 v8, s4
	v_mul_f32_e32 v8, v6, v8
	s_mov_b64 s[4:5], 0
.LBB22_69:                              ; =>This Inner Loop Header: Depth=1
	s_waitcnt vmcnt(0)
	v_add_f32_e32 v6, v7, v8
	global_atomic_cmpswap v6, v5, v[6:7], s[2:3] offset:4 glc
	s_waitcnt vmcnt(0)
	v_cmp_eq_u32_e32 vcc, v6, v7
	s_or_b64 s[4:5], vcc, s[4:5]
	v_mov_b32_e32 v7, v6
	s_andn2_b64 exec, exec, s[4:5]
	s_cbranch_execnz .LBB22_69
.LBB22_70:
	s_or_b64 exec, exec, s[0:1]
.LBB22_71:
	s_mov_b64 s[0:1], 0
.LBB22_72:
	s_andn2_b64 vcc, exec, s[0:1]
	s_cbranch_vccnz .LBB22_116
; %bb.73:
	v_subrev_u32_e32 v5, s40, v0
	s_waitcnt lgkmcnt(0)
	v_add_u32_e32 v5, s36, v5
	v_add_u32_e32 v6, 0x300, v5
	v_cmp_le_i32_e32 vcc, s37, v6
	s_and_saveexec_b64 s[0:1], vcc
	s_xor_b64 s[0:1], exec, s[0:1]
	s_cbranch_execz .LBB22_78
; %bb.74:
	s_ashr_i32 s3, s35, 31
	s_mov_b32 s2, s35
	s_lshl_b64 s[2:3], s[2:3], 2
	s_add_u32 s2, s24, s2
	s_addc_u32 s3, s25, s3
	s_load_dword s2, s[2:3], 0x0
	s_waitcnt lgkmcnt(0)
	s_sub_i32 s6, s2, s40
	v_cmp_gt_i32_e32 vcc, s6, v5
	s_and_saveexec_b64 s[2:3], vcc
	s_cbranch_execz .LBB22_77
; %bb.75:
	v_lshlrev_b32_e32 v7, 3, v0
	s_mov_b64 s[4:5], 0
	v_mov_b32_e32 v8, s29
	v_mov_b32_e32 v9, s27
	;; [unrolled: 1-line block ×3, first 2 shown]
.LBB22_76:                              ; =>This Inner Loop Header: Depth=1
	v_ashrrev_i32_e32 v6, 31, v5
	v_lshlrev_b64 v[11:12], 2, v[5:6]
	v_add_co_u32_e32 v11, vcc, s26, v11
	v_addc_co_u32_e32 v12, vcc, v9, v12, vcc
	global_load_dword v13, v[11:12], off
	v_lshlrev_b64 v[11:12], 3, v[5:6]
	v_add_u32_e32 v5, 0x100, v5
	v_add_co_u32_e32 v11, vcc, s28, v11
	v_addc_co_u32_e32 v12, vcc, v8, v12, vcc
	global_load_dwordx2 v[11:12], v[11:12], off
	s_waitcnt vmcnt(1)
	v_subrev_u32_e32 v13, s40, v13
	v_ashrrev_i32_e32 v14, 31, v13
	v_lshlrev_b64 v[13:14], 3, v[13:14]
	v_add_co_u32_e32 v13, vcc, s30, v13
	v_addc_co_u32_e32 v14, vcc, v10, v14, vcc
	global_load_dwordx2 v[13:14], v[13:14], off
	s_waitcnt vmcnt(1)
	v_cndmask_b32_e64 v6, v12, -v12, s[42:43]
	v_mul_f32_e64 v15, v6, -v4
	v_mul_f32_e32 v6, v3, v6
	v_fmac_f32_e32 v15, v3, v11
	v_fmac_f32_e32 v6, v4, v11
	v_cmp_le_i32_e32 vcc, s6, v5
	s_or_b64 s[4:5], vcc, s[4:5]
	s_waitcnt vmcnt(0)
	v_mul_f32_e64 v11, v14, -v6
	v_mul_f32_e32 v12, v14, v15
	v_fmac_f32_e32 v11, v15, v13
	v_fmac_f32_e32 v12, v6, v13
	ds_write_b64 v7, v[11:12]
	v_add_u32_e32 v7, 0x800, v7
	s_andn2_b64 exec, exec, s[4:5]
	s_cbranch_execnz .LBB22_76
.LBB22_77:
	s_or_b64 exec, exec, s[2:3]
                                        ; implicit-def: $vgpr5
                                        ; implicit-def: $vgpr3_vgpr4
.LBB22_78:
	s_or_saveexec_b64 s[0:1], s[0:1]
	v_lshlrev_b32_e32 v9, 3, v0
	s_xor_b64 exec, exec, s[0:1]
	s_cbranch_execz .LBB22_80
; %bb.79:
	v_ashrrev_i32_e32 v6, 31, v5
	v_lshlrev_b64 v[7:8], 2, v[5:6]
	v_mov_b32_e32 v10, s27
	v_add_co_u32_e32 v7, vcc, s26, v7
	v_addc_co_u32_e32 v8, vcc, v10, v8, vcc
	global_load_dword v16, v[7:8], off
	global_load_dword v17, v[7:8], off offset:1024
	global_load_dword v18, v[7:8], off offset:2048
	;; [unrolled: 1-line block ×3, first 2 shown]
	v_lshlrev_b64 v[5:6], 3, v[5:6]
	v_mov_b32_e32 v7, s29
	v_add_co_u32_e32 v5, vcc, s28, v5
	s_movk_i32 s2, 0x1000
	v_addc_co_u32_e32 v6, vcc, v7, v6, vcc
	global_load_dwordx2 v[7:8], v[5:6], off
	global_load_dwordx2 v[10:11], v[5:6], off offset:2048
	v_add_co_u32_e32 v5, vcc, s2, v5
	v_addc_co_u32_e32 v6, vcc, 0, v6, vcc
	global_load_dwordx2 v[12:13], v[5:6], off
	global_load_dwordx2 v[14:15], v[5:6], off offset:2048
	v_mov_b32_e32 v22, s31
	v_mov_b32_e32 v23, s31
	;; [unrolled: 1-line block ×4, first 2 shown]
	s_waitcnt vmcnt(7)
	v_subrev_u32_e32 v5, s40, v16
	v_ashrrev_i32_e32 v6, 31, v5
	s_waitcnt vmcnt(6)
	v_subrev_u32_e32 v16, s40, v17
	v_lshlrev_b64 v[5:6], 3, v[5:6]
	v_ashrrev_i32_e32 v17, 31, v16
	s_waitcnt vmcnt(5)
	v_subrev_u32_e32 v18, s40, v18
	v_lshlrev_b64 v[16:17], 3, v[16:17]
	v_add_co_u32_e32 v5, vcc, s30, v5
	s_waitcnt vmcnt(4)
	v_subrev_u32_e32 v20, s40, v19
	v_ashrrev_i32_e32 v19, 31, v18
	v_addc_co_u32_e32 v6, vcc, v22, v6, vcc
	v_lshlrev_b64 v[18:19], 3, v[18:19]
	v_add_co_u32_e32 v16, vcc, s30, v16
	v_ashrrev_i32_e32 v21, 31, v20
	v_addc_co_u32_e32 v17, vcc, v23, v17, vcc
	v_lshlrev_b64 v[20:21], 3, v[20:21]
	v_add_co_u32_e32 v18, vcc, s30, v18
	v_addc_co_u32_e32 v19, vcc, v24, v19, vcc
	global_load_dwordx2 v[22:23], v[5:6], off
	global_load_dwordx2 v[24:25], v[16:17], off
	;; [unrolled: 1-line block ×3, first 2 shown]
	v_add_co_u32_e32 v5, vcc, s30, v20
	v_addc_co_u32_e32 v6, vcc, v28, v21, vcc
	global_load_dwordx2 v[5:6], v[5:6], off
	s_waitcnt vmcnt(7)
	v_cndmask_b32_e64 v8, v8, -v8, s[42:43]
	s_waitcnt vmcnt(6)
	v_cndmask_b32_e64 v11, v11, -v11, s[42:43]
	v_mul_f32_e64 v16, v8, -v4
	v_mul_f32_e32 v17, v3, v8
	v_mul_f32_e64 v18, v11, -v4
	v_mul_f32_e32 v19, v3, v11
	s_waitcnt vmcnt(5)
	v_cndmask_b32_e64 v8, v13, -v13, s[42:43]
	s_waitcnt vmcnt(4)
	v_cndmask_b32_e64 v11, v15, -v15, s[42:43]
	v_fmac_f32_e32 v16, v3, v7
	v_fmac_f32_e32 v17, v4, v7
	;; [unrolled: 1-line block ×4, first 2 shown]
	v_mul_f32_e64 v15, v8, -v4
	v_mul_f32_e32 v20, v3, v8
	v_mul_f32_e64 v21, v11, -v4
	v_mul_f32_e32 v28, v3, v11
	v_fmac_f32_e32 v15, v3, v12
	v_fmac_f32_e32 v20, v4, v12
	;; [unrolled: 1-line block ×4, first 2 shown]
	s_waitcnt vmcnt(3)
	v_mul_f32_e64 v3, v23, -v17
	v_mul_f32_e32 v4, v23, v16
	s_waitcnt vmcnt(2)
	v_mul_f32_e64 v7, v25, -v19
	v_mul_f32_e32 v8, v25, v18
	;; [unrolled: 3-line block ×3, first 2 shown]
	v_fmac_f32_e32 v3, v16, v22
	s_waitcnt vmcnt(0)
	v_mul_f32_e64 v12, v6, -v28
	v_mul_f32_e32 v13, v6, v21
	v_fmac_f32_e32 v4, v17, v22
	v_fmac_f32_e32 v7, v18, v24
	;; [unrolled: 1-line block ×7, first 2 shown]
	ds_write2st64_b64 v9, v[3:4], v[7:8] offset1:4
	ds_write2st64_b64 v9, v[10:11], v[12:13] offset0:8 offset1:12
.LBB22_80:
	s_or_b64 exec, exec, s[0:1]
	s_cmp_lt_i32 s33, 2
	s_mov_b64 s[0:1], -1
	s_waitcnt vmcnt(0) lgkmcnt(0)
	s_barrier
	s_cbranch_scc0 .LBB22_91
; %bb.81:
	v_add_u32_e32 v3, s34, v0
	v_cmp_gt_i32_e32 vcc, s35, v3
	s_and_saveexec_b64 s[2:3], vcc
	s_cbranch_execz .LBB22_90
; %bb.82:
	v_cmp_neq_f32_e32 vcc, 0, v1
	v_cmp_neq_f32_e64 s[0:1], 0, v2
	s_lshl_b32 s4, s36, 3
	s_or_b64 s[0:1], vcc, s[0:1]
	s_sub_i32 s10, 0, s4
	s_mov_b64 s[4:5], 0
	v_mov_b32_e32 v10, s25
	v_mov_b32_e32 v11, s23
	s_branch .LBB22_84
.LBB22_83:                              ;   in Loop: Header=BB22_84 Depth=1
	s_or_b64 exec, exec, s[6:7]
	v_add_co_u32_e32 v7, vcc, s22, v7
	v_addc_co_u32_e32 v8, vcc, v11, v8, vcc
	v_add_u32_e32 v3, 0x100, v3
	v_cmp_le_i32_e32 vcc, s35, v3
	s_or_b64 s[4:5], vcc, s[4:5]
	global_store_dwordx2 v[7:8], v[5:6], off
	s_andn2_b64 exec, exec, s[4:5]
	s_cbranch_execz .LBB22_90
.LBB22_84:                              ; =>This Loop Header: Depth=1
                                        ;     Child Loop BB22_86 Depth 2
	v_ashrrev_i32_e32 v4, 31, v3
	v_lshlrev_b64 v[5:6], 2, v[3:4]
	v_add_co_u32_e32 v5, vcc, s24, v5
	v_addc_co_u32_e32 v6, vcc, v10, v6, vcc
	global_load_dwordx2 v[7:8], v[5:6], off
	v_mov_b32_e32 v6, 0
	v_mov_b32_e32 v5, 0
	s_waitcnt vmcnt(0)
	v_cmp_lt_i32_e32 vcc, v7, v8
	s_and_saveexec_b64 s[6:7], vcc
	s_cbranch_execz .LBB22_88
; %bb.85:                               ;   in Loop: Header=BB22_84 Depth=1
	v_mov_b32_e32 v6, 0
	v_subrev_u32_e32 v8, s36, v8
	v_subrev_u32_e32 v12, s36, v7
	v_lshl_add_u32 v7, v7, 3, s10
	s_mov_b64 s[8:9], 0
	v_mov_b32_e32 v5, v6
.LBB22_86:                              ;   Parent Loop BB22_84 Depth=1
                                        ; =>  This Inner Loop Header: Depth=2
	ds_read_b64 v[13:14], v7
	v_add_u32_e32 v12, 1, v12
	v_cmp_ge_i32_e32 vcc, v12, v8
	v_add_u32_e32 v7, 8, v7
	s_or_b64 s[8:9], vcc, s[8:9]
	s_waitcnt lgkmcnt(0)
	v_add_f32_e32 v5, v5, v13
	v_add_f32_e32 v6, v6, v14
	s_andn2_b64 exec, exec, s[8:9]
	s_cbranch_execnz .LBB22_86
; %bb.87:                               ;   in Loop: Header=BB22_84 Depth=1
	s_or_b64 exec, exec, s[8:9]
.LBB22_88:                              ;   in Loop: Header=BB22_84 Depth=1
	s_or_b64 exec, exec, s[6:7]
	v_lshlrev_b64 v[7:8], 3, v[3:4]
	s_and_saveexec_b64 s[6:7], s[0:1]
	s_cbranch_execz .LBB22_83
; %bb.89:                               ;   in Loop: Header=BB22_84 Depth=1
	v_mov_b32_e32 v4, s23
	v_add_co_u32_e32 v12, vcc, s22, v7
	v_addc_co_u32_e32 v13, vcc, v4, v8, vcc
	global_load_dwordx2 v[12:13], v[12:13], off
	s_waitcnt vmcnt(0)
	v_fmac_f32_e32 v5, v1, v12
	v_fmac_f32_e32 v6, v2, v12
	v_fma_f32 v5, -v2, v13, v5
	v_fmac_f32_e32 v6, v1, v13
	s_branch .LBB22_83
.LBB22_90:
	s_or_b64 exec, exec, s[2:3]
	s_mov_b64 s[0:1], 0
.LBB22_91:
	s_andn2_b64 vcc, exec, s[0:1]
	s_cbranch_vccnz .LBB22_116
; %bb.92:
	s_flbit_i32_b32 s0, s33
	s_xor_b32 s0, s0, 31
	v_lshrrev_b32_e32 v6, s0, v0
	v_add_u32_e32 v3, s34, v6
	s_add_i32 s0, s33, -1
	v_mov_b32_e32 v4, 0
	v_and_b32_e32 v0, s0, v0
	v_cmp_le_i32_e32 vcc, s35, v3
	v_cmp_gt_i32_e64 s[0:1], s35, v3
	v_mov_b32_e32 v5, v4
	s_and_saveexec_b64 s[2:3], s[0:1]
	s_cbranch_execz .LBB22_98
; %bb.93:
	v_lshlrev_b32_e32 v4, 2, v6
	global_load_dwordx2 v[7:8], v4, s[38:39]
	v_subrev_u32_e32 v4, s36, v0
	v_mov_b32_e32 v5, 0
	s_waitcnt vmcnt(0)
	v_subrev_u32_e32 v6, s36, v8
	v_add_u32_e32 v7, v7, v4
	v_cmp_lt_i32_e64 s[0:1], v7, v6
	v_mov_b32_e32 v4, 0
	s_and_saveexec_b64 s[4:5], s[0:1]
	s_cbranch_execz .LBB22_97
; %bb.94:
	v_mov_b32_e32 v5, 0
	v_lshlrev_b32_e32 v8, 3, v7
	s_lshl_b32 s8, s33, 3
	s_mov_b64 s[6:7], 0
	v_mov_b32_e32 v4, v5
.LBB22_95:                              ; =>This Inner Loop Header: Depth=1
	ds_read_b64 v[10:11], v8
	v_add_u32_e32 v7, s33, v7
	v_cmp_ge_i32_e64 s[0:1], v7, v6
	v_add_u32_e32 v8, s8, v8
	s_or_b64 s[6:7], s[0:1], s[6:7]
	s_waitcnt lgkmcnt(0)
	v_add_f32_e32 v4, v4, v10
	v_add_f32_e32 v5, v5, v11
	s_andn2_b64 exec, exec, s[6:7]
	s_cbranch_execnz .LBB22_95
; %bb.96:
	s_or_b64 exec, exec, s[6:7]
.LBB22_97:
	s_or_b64 exec, exec, s[4:5]
.LBB22_98:
	s_or_b64 exec, exec, s[2:3]
	s_cmpk_lt_u32 s33, 0x81
	s_waitcnt vmcnt(0)
	s_barrier
	ds_write_b64 v9, v[4:5]
	s_waitcnt lgkmcnt(0)
	s_barrier
	s_cbranch_scc1 .LBB22_100
; %bb.99:
	ds_read_b64 v[6:7], v9 offset:1024
	s_waitcnt lgkmcnt(0)
	s_barrier
	v_add_f32_e32 v4, v4, v6
	v_add_f32_e32 v5, v5, v7
	ds_write_b64 v9, v[4:5]
.LBB22_100:
	s_cmpk_lt_u32 s33, 0x41
	s_waitcnt lgkmcnt(0)
	s_barrier
	s_cbranch_scc1 .LBB22_102
; %bb.101:
	ds_read_b64 v[6:7], v9 offset:512
	s_waitcnt lgkmcnt(0)
	s_barrier
	v_add_f32_e32 v4, v4, v6
	v_add_f32_e32 v5, v5, v7
	ds_write_b64 v9, v[4:5]
.LBB22_102:
	s_cmp_lt_u32 s33, 33
	s_waitcnt lgkmcnt(0)
	s_barrier
	s_cbranch_scc1 .LBB22_104
; %bb.103:
	ds_read_b64 v[6:7], v9 offset:256
	s_waitcnt lgkmcnt(0)
	s_barrier
	v_add_f32_e32 v4, v4, v6
	v_add_f32_e32 v5, v5, v7
	ds_write_b64 v9, v[4:5]
.LBB22_104:
	s_cmp_lt_u32 s33, 17
	s_waitcnt lgkmcnt(0)
	s_barrier
	s_cbranch_scc1 .LBB22_106
; %bb.105:
	ds_read_b64 v[6:7], v9 offset:128
	s_waitcnt lgkmcnt(0)
	s_barrier
	v_add_f32_e32 v4, v4, v6
	v_add_f32_e32 v5, v5, v7
	ds_write_b64 v9, v[4:5]
.LBB22_106:
	s_cmp_lt_u32 s33, 9
	s_waitcnt lgkmcnt(0)
	s_barrier
	s_cbranch_scc1 .LBB22_108
; %bb.107:
	ds_read_b64 v[6:7], v9 offset:64
	s_waitcnt lgkmcnt(0)
	s_barrier
	v_add_f32_e32 v4, v4, v6
	v_add_f32_e32 v5, v5, v7
	ds_write_b64 v9, v[4:5]
.LBB22_108:
	s_cmp_lt_u32 s33, 5
	s_waitcnt lgkmcnt(0)
	s_barrier
	s_cbranch_scc1 .LBB22_110
; %bb.109:
	ds_read_b64 v[6:7], v9 offset:32
	s_waitcnt lgkmcnt(0)
	s_barrier
	v_add_f32_e32 v4, v4, v6
	v_add_f32_e32 v5, v5, v7
	ds_write_b64 v9, v[4:5]
.LBB22_110:
	s_cmp_eq_u32 s33, 2
	s_waitcnt lgkmcnt(0)
	s_barrier
	s_cbranch_scc1 .LBB22_112
; %bb.111:
	ds_read_b64 v[6:7], v9 offset:16
	s_waitcnt lgkmcnt(0)
	s_barrier
	v_add_f32_e32 v4, v4, v6
	v_add_f32_e32 v5, v5, v7
	ds_write_b64 v9, v[4:5]
.LBB22_112:
	s_waitcnt lgkmcnt(0)
	s_barrier
	ds_read_b64 v[6:7], v9 offset:8
	v_cmp_eq_u32_e64 s[0:1], 0, v0
	s_xor_b64 s[2:3], vcc, -1
	s_and_b64 s[0:1], s[0:1], s[2:3]
	s_waitcnt lgkmcnt(0)
	v_add_f32_e32 v6, v4, v6
	v_add_f32_e32 v7, v5, v7
	s_barrier
	ds_write_b64 v9, v[6:7]
	s_and_b64 exec, exec, s[0:1]
	s_cbranch_execz .LBB22_116
; %bb.113:
	v_ashrrev_i32_e32 v4, 31, v3
	v_cmp_neq_f32_e32 vcc, 0, v1
	v_cmp_neq_f32_e64 s[0:1], 0, v2
	v_lshlrev_b64 v[3:4], 3, v[3:4]
	s_or_b64 s[2:3], vcc, s[0:1]
	s_and_saveexec_b64 s[0:1], s[2:3]
	s_cbranch_execz .LBB22_115
; %bb.114:
	v_mov_b32_e32 v0, s23
	v_add_co_u32_e32 v8, vcc, s22, v3
	v_addc_co_u32_e32 v9, vcc, v0, v4, vcc
	global_load_dwordx2 v[8:9], v[8:9], off
	s_waitcnt vmcnt(0)
	v_fmac_f32_e32 v6, v1, v8
	v_fmac_f32_e32 v7, v2, v8
	v_fma_f32 v6, -v2, v9, v6
	v_fmac_f32_e32 v7, v1, v9
.LBB22_115:
	s_or_b64 exec, exec, s[0:1]
	v_mov_b32_e32 v1, s23
	v_add_co_u32_e32 v0, vcc, s22, v3
	v_addc_co_u32_e32 v1, vcc, v1, v4, vcc
	global_store_dwordx2 v[0:1], v[6:7], off
.LBB22_116:
	s_endpgm
	.section	.rodata,"a",@progbits
	.p2align	6, 0x0
	.amdhsa_kernel _ZN9rocsparseL22csrmvn_adaptive_kernelIii21rocsparse_complex_numIfES2_S2_S2_EEvbT_PKS3_PjPKT0_NS_24const_host_device_scalarIT4_EES5_S9_PKT1_PKT2_SC_PT3_21rocsparse_index_base_b
		.amdhsa_group_segment_fixed_size 8192
		.amdhsa_private_segment_fixed_size 0
		.amdhsa_kernarg_size 96
		.amdhsa_user_sgpr_count 6
		.amdhsa_user_sgpr_private_segment_buffer 1
		.amdhsa_user_sgpr_dispatch_ptr 0
		.amdhsa_user_sgpr_queue_ptr 0
		.amdhsa_user_sgpr_kernarg_segment_ptr 1
		.amdhsa_user_sgpr_dispatch_id 0
		.amdhsa_user_sgpr_flat_scratch_init 0
		.amdhsa_user_sgpr_private_segment_size 0
		.amdhsa_uses_dynamic_stack 0
		.amdhsa_system_sgpr_private_segment_wavefront_offset 0
		.amdhsa_system_sgpr_workgroup_id_x 1
		.amdhsa_system_sgpr_workgroup_id_y 0
		.amdhsa_system_sgpr_workgroup_id_z 0
		.amdhsa_system_sgpr_workgroup_info 0
		.amdhsa_system_vgpr_workitem_id 0
		.amdhsa_next_free_vgpr 29
		.amdhsa_next_free_sgpr 61
		.amdhsa_reserve_vcc 1
		.amdhsa_reserve_flat_scratch 0
		.amdhsa_float_round_mode_32 0
		.amdhsa_float_round_mode_16_64 0
		.amdhsa_float_denorm_mode_32 3
		.amdhsa_float_denorm_mode_16_64 3
		.amdhsa_dx10_clamp 1
		.amdhsa_ieee_mode 1
		.amdhsa_fp16_overflow 0
		.amdhsa_exception_fp_ieee_invalid_op 0
		.amdhsa_exception_fp_denorm_src 0
		.amdhsa_exception_fp_ieee_div_zero 0
		.amdhsa_exception_fp_ieee_overflow 0
		.amdhsa_exception_fp_ieee_underflow 0
		.amdhsa_exception_fp_ieee_inexact 0
		.amdhsa_exception_int_div_zero 0
	.end_amdhsa_kernel
	.section	.text._ZN9rocsparseL22csrmvn_adaptive_kernelIii21rocsparse_complex_numIfES2_S2_S2_EEvbT_PKS3_PjPKT0_NS_24const_host_device_scalarIT4_EES5_S9_PKT1_PKT2_SC_PT3_21rocsparse_index_base_b,"axG",@progbits,_ZN9rocsparseL22csrmvn_adaptive_kernelIii21rocsparse_complex_numIfES2_S2_S2_EEvbT_PKS3_PjPKT0_NS_24const_host_device_scalarIT4_EES5_S9_PKT1_PKT2_SC_PT3_21rocsparse_index_base_b,comdat
.Lfunc_end22:
	.size	_ZN9rocsparseL22csrmvn_adaptive_kernelIii21rocsparse_complex_numIfES2_S2_S2_EEvbT_PKS3_PjPKT0_NS_24const_host_device_scalarIT4_EES5_S9_PKT1_PKT2_SC_PT3_21rocsparse_index_base_b, .Lfunc_end22-_ZN9rocsparseL22csrmvn_adaptive_kernelIii21rocsparse_complex_numIfES2_S2_S2_EEvbT_PKS3_PjPKT0_NS_24const_host_device_scalarIT4_EES5_S9_PKT1_PKT2_SC_PT3_21rocsparse_index_base_b
                                        ; -- End function
	.set _ZN9rocsparseL22csrmvn_adaptive_kernelIii21rocsparse_complex_numIfES2_S2_S2_EEvbT_PKS3_PjPKT0_NS_24const_host_device_scalarIT4_EES5_S9_PKT1_PKT2_SC_PT3_21rocsparse_index_base_b.num_vgpr, 29
	.set _ZN9rocsparseL22csrmvn_adaptive_kernelIii21rocsparse_complex_numIfES2_S2_S2_EEvbT_PKS3_PjPKT0_NS_24const_host_device_scalarIT4_EES5_S9_PKT1_PKT2_SC_PT3_21rocsparse_index_base_b.num_agpr, 0
	.set _ZN9rocsparseL22csrmvn_adaptive_kernelIii21rocsparse_complex_numIfES2_S2_S2_EEvbT_PKS3_PjPKT0_NS_24const_host_device_scalarIT4_EES5_S9_PKT1_PKT2_SC_PT3_21rocsparse_index_base_b.numbered_sgpr, 57
	.set _ZN9rocsparseL22csrmvn_adaptive_kernelIii21rocsparse_complex_numIfES2_S2_S2_EEvbT_PKS3_PjPKT0_NS_24const_host_device_scalarIT4_EES5_S9_PKT1_PKT2_SC_PT3_21rocsparse_index_base_b.num_named_barrier, 0
	.set _ZN9rocsparseL22csrmvn_adaptive_kernelIii21rocsparse_complex_numIfES2_S2_S2_EEvbT_PKS3_PjPKT0_NS_24const_host_device_scalarIT4_EES5_S9_PKT1_PKT2_SC_PT3_21rocsparse_index_base_b.private_seg_size, 0
	.set _ZN9rocsparseL22csrmvn_adaptive_kernelIii21rocsparse_complex_numIfES2_S2_S2_EEvbT_PKS3_PjPKT0_NS_24const_host_device_scalarIT4_EES5_S9_PKT1_PKT2_SC_PT3_21rocsparse_index_base_b.uses_vcc, 1
	.set _ZN9rocsparseL22csrmvn_adaptive_kernelIii21rocsparse_complex_numIfES2_S2_S2_EEvbT_PKS3_PjPKT0_NS_24const_host_device_scalarIT4_EES5_S9_PKT1_PKT2_SC_PT3_21rocsparse_index_base_b.uses_flat_scratch, 0
	.set _ZN9rocsparseL22csrmvn_adaptive_kernelIii21rocsparse_complex_numIfES2_S2_S2_EEvbT_PKS3_PjPKT0_NS_24const_host_device_scalarIT4_EES5_S9_PKT1_PKT2_SC_PT3_21rocsparse_index_base_b.has_dyn_sized_stack, 0
	.set _ZN9rocsparseL22csrmvn_adaptive_kernelIii21rocsparse_complex_numIfES2_S2_S2_EEvbT_PKS3_PjPKT0_NS_24const_host_device_scalarIT4_EES5_S9_PKT1_PKT2_SC_PT3_21rocsparse_index_base_b.has_recursion, 0
	.set _ZN9rocsparseL22csrmvn_adaptive_kernelIii21rocsparse_complex_numIfES2_S2_S2_EEvbT_PKS3_PjPKT0_NS_24const_host_device_scalarIT4_EES5_S9_PKT1_PKT2_SC_PT3_21rocsparse_index_base_b.has_indirect_call, 0
	.section	.AMDGPU.csdata,"",@progbits
; Kernel info:
; codeLenInByte = 4420
; TotalNumSgprs: 61
; NumVgprs: 29
; ScratchSize: 0
; MemoryBound: 0
; FloatMode: 240
; IeeeMode: 1
; LDSByteSize: 8192 bytes/workgroup (compile time only)
; SGPRBlocks: 8
; VGPRBlocks: 7
; NumSGPRsForWavesPerEU: 65
; NumVGPRsForWavesPerEU: 29
; Occupancy: 8
; WaveLimiterHint : 1
; COMPUTE_PGM_RSRC2:SCRATCH_EN: 0
; COMPUTE_PGM_RSRC2:USER_SGPR: 6
; COMPUTE_PGM_RSRC2:TRAP_HANDLER: 0
; COMPUTE_PGM_RSRC2:TGID_X_EN: 1
; COMPUTE_PGM_RSRC2:TGID_Y_EN: 0
; COMPUTE_PGM_RSRC2:TGID_Z_EN: 0
; COMPUTE_PGM_RSRC2:TIDIG_COMP_CNT: 0
	.section	.text._ZN9rocsparseL22partial_scale_y_kernelIi21rocsparse_complex_numIfES2_EEvT_S3_S3_NS_24const_host_device_scalarIT1_EEPT0_b,"axG",@progbits,_ZN9rocsparseL22partial_scale_y_kernelIi21rocsparse_complex_numIfES2_EEvT_S3_S3_NS_24const_host_device_scalarIT1_EEPT0_b,comdat
	.globl	_ZN9rocsparseL22partial_scale_y_kernelIi21rocsparse_complex_numIfES2_EEvT_S3_S3_NS_24const_host_device_scalarIT1_EEPT0_b ; -- Begin function _ZN9rocsparseL22partial_scale_y_kernelIi21rocsparse_complex_numIfES2_EEvT_S3_S3_NS_24const_host_device_scalarIT1_EEPT0_b
	.p2align	8
	.type	_ZN9rocsparseL22partial_scale_y_kernelIi21rocsparse_complex_numIfES2_EEvT_S3_S3_NS_24const_host_device_scalarIT1_EEPT0_b,@function
_ZN9rocsparseL22partial_scale_y_kernelIi21rocsparse_complex_numIfES2_EEvT_S3_S3_NS_24const_host_device_scalarIT1_EEPT0_b: ; @_ZN9rocsparseL22partial_scale_y_kernelIi21rocsparse_complex_numIfES2_EEvT_S3_S3_NS_24const_host_device_scalarIT1_EEPT0_b
; %bb.0:
	s_load_dword s2, s[4:5], 0x20
	s_load_dwordx2 s[0:1], s[4:5], 0x10
	s_add_u32 s3, s4, 16
	s_addc_u32 s7, s5, 0
	s_waitcnt lgkmcnt(0)
	s_bitcmp1_b32 s2, 0
	s_cselect_b32 s1, s7, s1
	s_cselect_b32 s0, s3, s0
	v_mov_b32_e32 v1, s0
	v_mov_b32_e32 v2, s1
	flat_load_dwordx2 v[1:2], v[1:2]
	s_waitcnt vmcnt(0) lgkmcnt(0)
	v_cmp_neq_f32_e32 vcc, 1.0, v1
	v_cmp_neq_f32_e64 s[0:1], 0, v2
	s_or_b64 s[0:1], vcc, s[0:1]
	s_and_saveexec_b64 s[2:3], s[0:1]
	s_cbranch_execz .LBB23_13
; %bb.1:
	s_load_dwordx4 s[8:11], s[4:5], 0x0
	v_lshl_or_b32 v3, s6, 8, v0
	s_waitcnt lgkmcnt(0)
	s_add_i32 s0, s9, s8
	s_sub_i32 s0, s0, s10
	v_cmp_gt_i32_e32 vcc, s0, v3
	s_and_b64 exec, exec, vcc
	s_cbranch_execz .LBB23_13
; %bb.2:
	s_load_dwordx2 s[4:5], s[4:5], 0x18
	v_cmp_neq_f32_e64 s[0:1], 0, v1
	v_cmp_neq_f32_e64 s[2:3], 0, v2
	v_cmp_le_i32_e32 vcc, s9, v3
	s_or_b64 s[0:1], s[0:1], s[2:3]
	s_and_saveexec_b64 s[2:3], vcc
	s_xor_b64 s[2:3], exec, s[2:3]
	s_cbranch_execz .LBB23_8
; %bb.3:
	v_subrev_u32_e32 v0, s9, v3
	v_add_u32_e32 v3, s10, v0
	v_ashrrev_i32_e32 v4, 31, v3
	v_lshlrev_b64 v[3:4], 3, v[3:4]
	s_waitcnt lgkmcnt(0)
	v_mov_b32_e32 v0, s5
	v_add_co_u32_e32 v3, vcc, s4, v3
	v_addc_co_u32_e32 v4, vcc, v0, v4, vcc
	s_and_saveexec_b64 s[6:7], s[0:1]
	s_xor_b64 s[6:7], exec, s[6:7]
	s_cbranch_execz .LBB23_5
; %bb.4:
	global_load_dwordx2 v[5:6], v[3:4], off
	s_waitcnt vmcnt(0)
	v_mul_f32_e64 v7, v2, -v6
	v_mul_f32_e32 v8, v2, v5
	v_fmac_f32_e32 v7, v5, v1
	v_fmac_f32_e32 v8, v6, v1
	global_store_dwordx2 v[3:4], v[7:8], off
                                        ; implicit-def: $vgpr3_vgpr4
.LBB23_5:
	s_andn2_saveexec_b64 s[6:7], s[6:7]
	s_cbranch_execz .LBB23_7
; %bb.6:
	v_mov_b32_e32 v0, 0
	v_mov_b32_e32 v1, v0
	global_store_dwordx2 v[3:4], v[0:1], off
.LBB23_7:
	s_or_b64 exec, exec, s[6:7]
                                        ; implicit-def: $vgpr3
                                        ; implicit-def: $vgpr1_vgpr2
.LBB23_8:
	s_andn2_saveexec_b64 s[2:3], s[2:3]
	s_cbranch_execz .LBB23_13
; %bb.9:
	v_ashrrev_i32_e32 v4, 31, v3
	v_lshlrev_b64 v[3:4], 3, v[3:4]
	s_waitcnt lgkmcnt(0)
	v_mov_b32_e32 v0, s5
	v_add_co_u32_e32 v3, vcc, s4, v3
	v_addc_co_u32_e32 v4, vcc, v0, v4, vcc
	s_and_saveexec_b64 s[2:3], s[0:1]
	s_xor_b64 s[0:1], exec, s[2:3]
	s_cbranch_execz .LBB23_11
; %bb.10:
	global_load_dwordx2 v[5:6], v[3:4], off
	s_waitcnt vmcnt(0)
	v_mul_f32_e64 v7, v2, -v6
	v_mul_f32_e32 v8, v2, v5
	v_fmac_f32_e32 v7, v5, v1
	v_fmac_f32_e32 v8, v6, v1
	global_store_dwordx2 v[3:4], v[7:8], off
                                        ; implicit-def: $vgpr3_vgpr4
.LBB23_11:
	s_andn2_saveexec_b64 s[0:1], s[0:1]
	s_cbranch_execz .LBB23_13
; %bb.12:
	v_mov_b32_e32 v0, 0
	v_mov_b32_e32 v1, v0
	global_store_dwordx2 v[3:4], v[0:1], off
.LBB23_13:
	s_endpgm
	.section	.rodata,"a",@progbits
	.p2align	6, 0x0
	.amdhsa_kernel _ZN9rocsparseL22partial_scale_y_kernelIi21rocsparse_complex_numIfES2_EEvT_S3_S3_NS_24const_host_device_scalarIT1_EEPT0_b
		.amdhsa_group_segment_fixed_size 0
		.amdhsa_private_segment_fixed_size 0
		.amdhsa_kernarg_size 36
		.amdhsa_user_sgpr_count 6
		.amdhsa_user_sgpr_private_segment_buffer 1
		.amdhsa_user_sgpr_dispatch_ptr 0
		.amdhsa_user_sgpr_queue_ptr 0
		.amdhsa_user_sgpr_kernarg_segment_ptr 1
		.amdhsa_user_sgpr_dispatch_id 0
		.amdhsa_user_sgpr_flat_scratch_init 0
		.amdhsa_user_sgpr_private_segment_size 0
		.amdhsa_uses_dynamic_stack 0
		.amdhsa_system_sgpr_private_segment_wavefront_offset 0
		.amdhsa_system_sgpr_workgroup_id_x 1
		.amdhsa_system_sgpr_workgroup_id_y 0
		.amdhsa_system_sgpr_workgroup_id_z 0
		.amdhsa_system_sgpr_workgroup_info 0
		.amdhsa_system_vgpr_workitem_id 0
		.amdhsa_next_free_vgpr 9
		.amdhsa_next_free_sgpr 12
		.amdhsa_reserve_vcc 1
		.amdhsa_reserve_flat_scratch 0
		.amdhsa_float_round_mode_32 0
		.amdhsa_float_round_mode_16_64 0
		.amdhsa_float_denorm_mode_32 3
		.amdhsa_float_denorm_mode_16_64 3
		.amdhsa_dx10_clamp 1
		.amdhsa_ieee_mode 1
		.amdhsa_fp16_overflow 0
		.amdhsa_exception_fp_ieee_invalid_op 0
		.amdhsa_exception_fp_denorm_src 0
		.amdhsa_exception_fp_ieee_div_zero 0
		.amdhsa_exception_fp_ieee_overflow 0
		.amdhsa_exception_fp_ieee_underflow 0
		.amdhsa_exception_fp_ieee_inexact 0
		.amdhsa_exception_int_div_zero 0
	.end_amdhsa_kernel
	.section	.text._ZN9rocsparseL22partial_scale_y_kernelIi21rocsparse_complex_numIfES2_EEvT_S3_S3_NS_24const_host_device_scalarIT1_EEPT0_b,"axG",@progbits,_ZN9rocsparseL22partial_scale_y_kernelIi21rocsparse_complex_numIfES2_EEvT_S3_S3_NS_24const_host_device_scalarIT1_EEPT0_b,comdat
.Lfunc_end23:
	.size	_ZN9rocsparseL22partial_scale_y_kernelIi21rocsparse_complex_numIfES2_EEvT_S3_S3_NS_24const_host_device_scalarIT1_EEPT0_b, .Lfunc_end23-_ZN9rocsparseL22partial_scale_y_kernelIi21rocsparse_complex_numIfES2_EEvT_S3_S3_NS_24const_host_device_scalarIT1_EEPT0_b
                                        ; -- End function
	.set _ZN9rocsparseL22partial_scale_y_kernelIi21rocsparse_complex_numIfES2_EEvT_S3_S3_NS_24const_host_device_scalarIT1_EEPT0_b.num_vgpr, 9
	.set _ZN9rocsparseL22partial_scale_y_kernelIi21rocsparse_complex_numIfES2_EEvT_S3_S3_NS_24const_host_device_scalarIT1_EEPT0_b.num_agpr, 0
	.set _ZN9rocsparseL22partial_scale_y_kernelIi21rocsparse_complex_numIfES2_EEvT_S3_S3_NS_24const_host_device_scalarIT1_EEPT0_b.numbered_sgpr, 12
	.set _ZN9rocsparseL22partial_scale_y_kernelIi21rocsparse_complex_numIfES2_EEvT_S3_S3_NS_24const_host_device_scalarIT1_EEPT0_b.num_named_barrier, 0
	.set _ZN9rocsparseL22partial_scale_y_kernelIi21rocsparse_complex_numIfES2_EEvT_S3_S3_NS_24const_host_device_scalarIT1_EEPT0_b.private_seg_size, 0
	.set _ZN9rocsparseL22partial_scale_y_kernelIi21rocsparse_complex_numIfES2_EEvT_S3_S3_NS_24const_host_device_scalarIT1_EEPT0_b.uses_vcc, 1
	.set _ZN9rocsparseL22partial_scale_y_kernelIi21rocsparse_complex_numIfES2_EEvT_S3_S3_NS_24const_host_device_scalarIT1_EEPT0_b.uses_flat_scratch, 0
	.set _ZN9rocsparseL22partial_scale_y_kernelIi21rocsparse_complex_numIfES2_EEvT_S3_S3_NS_24const_host_device_scalarIT1_EEPT0_b.has_dyn_sized_stack, 0
	.set _ZN9rocsparseL22partial_scale_y_kernelIi21rocsparse_complex_numIfES2_EEvT_S3_S3_NS_24const_host_device_scalarIT1_EEPT0_b.has_recursion, 0
	.set _ZN9rocsparseL22partial_scale_y_kernelIi21rocsparse_complex_numIfES2_EEvT_S3_S3_NS_24const_host_device_scalarIT1_EEPT0_b.has_indirect_call, 0
	.section	.AMDGPU.csdata,"",@progbits
; Kernel info:
; codeLenInByte = 400
; TotalNumSgprs: 16
; NumVgprs: 9
; ScratchSize: 0
; MemoryBound: 0
; FloatMode: 240
; IeeeMode: 1
; LDSByteSize: 0 bytes/workgroup (compile time only)
; SGPRBlocks: 1
; VGPRBlocks: 2
; NumSGPRsForWavesPerEU: 16
; NumVGPRsForWavesPerEU: 9
; Occupancy: 10
; WaveLimiterHint : 0
; COMPUTE_PGM_RSRC2:SCRATCH_EN: 0
; COMPUTE_PGM_RSRC2:USER_SGPR: 6
; COMPUTE_PGM_RSRC2:TRAP_HANDLER: 0
; COMPUTE_PGM_RSRC2:TGID_X_EN: 1
; COMPUTE_PGM_RSRC2:TGID_Y_EN: 0
; COMPUTE_PGM_RSRC2:TGID_Z_EN: 0
; COMPUTE_PGM_RSRC2:TIDIG_COMP_CNT: 0
	.section	.text._ZN9rocsparseL27csrmvn_symm_adaptive_kernelIii21rocsparse_complex_numIfES2_S2_S2_EEvbT_S3_PKS3_NS_24const_host_device_scalarIT4_EES5_PKT0_PKT1_PKT2_S8_PT3_21rocsparse_index_base_b,"axG",@progbits,_ZN9rocsparseL27csrmvn_symm_adaptive_kernelIii21rocsparse_complex_numIfES2_S2_S2_EEvbT_S3_PKS3_NS_24const_host_device_scalarIT4_EES5_PKT0_PKT1_PKT2_S8_PT3_21rocsparse_index_base_b,comdat
	.globl	_ZN9rocsparseL27csrmvn_symm_adaptive_kernelIii21rocsparse_complex_numIfES2_S2_S2_EEvbT_S3_PKS3_NS_24const_host_device_scalarIT4_EES5_PKT0_PKT1_PKT2_S8_PT3_21rocsparse_index_base_b ; -- Begin function _ZN9rocsparseL27csrmvn_symm_adaptive_kernelIii21rocsparse_complex_numIfES2_S2_S2_EEvbT_S3_PKS3_NS_24const_host_device_scalarIT4_EES5_PKT0_PKT1_PKT2_S8_PT3_21rocsparse_index_base_b
	.p2align	8
	.type	_ZN9rocsparseL27csrmvn_symm_adaptive_kernelIii21rocsparse_complex_numIfES2_S2_S2_EEvbT_S3_PKS3_NS_24const_host_device_scalarIT4_EES5_PKT0_PKT1_PKT2_S8_PT3_21rocsparse_index_base_b,@function
_ZN9rocsparseL27csrmvn_symm_adaptive_kernelIii21rocsparse_complex_numIfES2_S2_S2_EEvbT_S3_PKS3_NS_24const_host_device_scalarIT4_EES5_PKT0_PKT1_PKT2_S8_PT3_21rocsparse_index_base_b: ; @_ZN9rocsparseL27csrmvn_symm_adaptive_kernelIii21rocsparse_complex_numIfES2_S2_S2_EEvbT_S3_PKS3_NS_24const_host_device_scalarIT4_EES5_PKT0_PKT1_PKT2_S8_PT3_21rocsparse_index_base_b
; %bb.0:
	s_load_dwordx2 s[28:29], s[4:5], 0x50
	s_load_dwordx2 s[0:1], s[4:5], 0x18
	s_add_u32 s7, s4, 24
	s_addc_u32 s10, s5, 0
	s_waitcnt lgkmcnt(0)
	s_bitcmp1_b32 s29, 0
	s_cselect_b64 s[8:9], -1, 0
	s_and_b64 s[2:3], s[8:9], exec
	s_cselect_b32 s1, s10, s1
	s_cselect_b32 s0, s7, s0
	v_mov_b32_e32 v1, s0
	v_mov_b32_e32 v2, s1
	flat_load_dwordx2 v[3:4], v[1:2]
	s_waitcnt vmcnt(0) lgkmcnt(0)
	v_cmp_eq_f32_e32 vcc, 0, v3
	v_cmp_eq_f32_e64 s[0:1], 0, v4
	s_and_b64 s[10:11], vcc, s[0:1]
	s_mov_b64 s[0:1], -1
	s_and_saveexec_b64 s[2:3], s[10:11]
	s_cbranch_execz .LBB24_2
; %bb.1:
	s_load_dwordx2 s[0:1], s[4:5], 0x40
	s_add_u32 s7, s4, 64
	s_addc_u32 s10, s5, 0
	s_and_b64 s[8:9], s[8:9], exec
	s_waitcnt lgkmcnt(0)
	s_cselect_b32 s1, s10, s1
	s_cselect_b32 s0, s7, s0
	v_mov_b32_e32 v1, s0
	v_mov_b32_e32 v2, s1
	flat_load_dwordx2 v[1:2], v[1:2]
	s_waitcnt vmcnt(0) lgkmcnt(0)
	v_cmp_neq_f32_e32 vcc, 1.0, v1
	v_cmp_neq_f32_e64 s[0:1], 0, v2
	s_or_b64 s[0:1], vcc, s[0:1]
	s_orn2_b64 s[0:1], s[0:1], exec
.LBB24_2:
	s_or_b64 exec, exec, s[2:3]
	s_and_saveexec_b64 s[2:3], s[0:1]
	s_cbranch_execz .LBB24_171
; %bb.3:
	s_load_dwordx4 s[20:23], s[4:5], 0x0
	s_load_dwordx2 s[0:1], s[4:5], 0x10
	s_mov_b32 s2, 0
	s_mov_b32 s3, s2
	v_mov_b32_e32 v1, s2
	s_waitcnt lgkmcnt(0)
	s_bitcmp1_b32 s20, 0
	s_cselect_b64 s[30:31], -1, 0
	s_ashr_i32 s7, s6, 31
	v_mov_b32_e32 v2, s3
	s_lshl_b64 s[2:3], s[6:7], 2
	s_add_u32 s0, s0, s2
	v_lshlrev_b32_e32 v11, 3, v0
	s_addc_u32 s1, s1, s3
	ds_write2st64_b64 v11, v[1:2], v[1:2] offset1:4
	ds_write2st64_b64 v11, v[1:2], v[1:2] offset0:8 offset1:12
	s_waitcnt lgkmcnt(0)
	s_barrier
	s_load_dwordx2 s[26:27], s[0:1], 0x0
	s_load_dwordx8 s[12:19], s[4:5], 0x20
	s_load_dwordx2 s[24:25], s[4:5], 0x48
	s_mov_b64 s[0:1], -1
	v_subrev_u32_e32 v12, s28, v0
	s_waitcnt lgkmcnt(0)
	s_sub_i32 s23, s27, s26
	s_cmp_gt_i32 s23, 2
	s_cbranch_scc1 .LBB24_45
; %bb.4:
	s_cmp_le_i32 s27, s26
	s_cbranch_scc1 .LBB24_32
; %bb.5:
	s_add_u32 s20, s16, 4
	v_cmp_gt_u32_e64 s[0:1], 64, v0
	v_cmp_gt_u32_e64 s[2:3], 16, v0
	;; [unrolled: 1-line block ×3, first 2 shown]
	v_cmp_eq_u32_e64 s[8:9], 0, v0
	s_addc_u32 s29, s17, 0
	v_mov_b32_e32 v13, 0
	s_mov_b32 s34, s26
	s_branch .LBB24_7
.LBB24_6:                               ;   in Loop: Header=BB24_7 Depth=1
	s_or_b64 exec, exec, s[10:11]
	s_add_i32 s34, s34, 1
	s_cmp_ge_i32 s34, s27
	s_cbranch_scc1 .LBB24_32
.LBB24_7:                               ; =>This Loop Header: Depth=1
                                        ;     Child Loop BB24_9 Depth 2
                                        ;     Child Loop BB24_21 Depth 2
	;; [unrolled: 1-line block ×5, first 2 shown]
	s_ashr_i32 s35, s34, 31
	s_lshl_b64 s[10:11], s[34:35], 2
	s_add_u32 s10, s12, s10
	s_addc_u32 s11, s13, s11
	s_load_dwordx2 s[36:37], s[10:11], 0x0
	v_mov_b32_e32 v6, 0
	v_mov_b32_e32 v5, 0
	s_waitcnt lgkmcnt(0)
	s_sub_i32 s33, s37, s28
	v_add_u32_e32 v1, s36, v12
	v_cmp_gt_i32_e32 vcc, s33, v1
	s_and_saveexec_b64 s[36:37], vcc
	s_cbranch_execz .LBB24_11
; %bb.8:                                ;   in Loop: Header=BB24_7 Depth=1
	v_ashrrev_i32_e32 v2, 31, v1
	v_lshlrev_b64 v[5:6], 2, v[1:2]
	v_mov_b32_e32 v8, s15
	v_add_co_u32_e32 v7, vcc, s14, v5
	v_addc_co_u32_e32 v8, vcc, v8, v6, vcc
	v_lshlrev_b64 v[5:6], 3, v[1:2]
	v_mov_b32_e32 v2, s29
	v_add_co_u32_e32 v9, vcc, s20, v5
	v_addc_co_u32_e32 v10, vcc, v2, v6, vcc
	v_mov_b32_e32 v6, 0
	s_mov_b64 s[38:39], 0
	v_mov_b32_e32 v5, v6
.LBB24_9:                               ;   Parent Loop BB24_7 Depth=1
                                        ; =>  This Inner Loop Header: Depth=2
	global_load_dword v2, v[7:8], off
	global_load_dwordx2 v[14:15], v[9:10], off offset:-4
	v_mov_b32_e32 v18, s19
	v_add_u32_e32 v1, 0x100, v1
	v_cmp_le_i32_e64 s[10:11], s33, v1
	s_or_b64 s[38:39], s[10:11], s[38:39]
	s_waitcnt vmcnt(1)
	v_subrev_u32_e32 v16, s28, v2
	v_ashrrev_i32_e32 v17, 31, v16
	v_lshlrev_b64 v[16:17], 3, v[16:17]
	s_waitcnt vmcnt(0)
	v_cndmask_b32_e64 v2, v15, -v15, s[30:31]
	v_add_co_u32_e32 v16, vcc, s18, v16
	v_addc_co_u32_e32 v17, vcc, v18, v17, vcc
	global_load_dwordx2 v[16:17], v[16:17], off
	v_add_co_u32_e32 v7, vcc, 0x400, v7
	v_addc_co_u32_e32 v8, vcc, 0, v8, vcc
	v_add_co_u32_e32 v9, vcc, 0x800, v9
	v_addc_co_u32_e32 v10, vcc, 0, v10, vcc
	s_waitcnt vmcnt(0)
	v_fmac_f32_e32 v5, v14, v16
	v_fmac_f32_e32 v6, v2, v16
	v_fma_f32 v5, -v2, v17, v5
	v_fmac_f32_e32 v6, v14, v17
	s_andn2_b64 exec, exec, s[38:39]
	s_cbranch_execnz .LBB24_9
; %bb.10:                               ;   in Loop: Header=BB24_7 Depth=1
	s_or_b64 exec, exec, s[38:39]
.LBB24_11:                              ;   in Loop: Header=BB24_7 Depth=1
	s_or_b64 exec, exec, s[36:37]
	ds_write_b64 v11, v[5:6]
	s_waitcnt lgkmcnt(0)
	s_barrier
	ds_read2st64_b64 v[5:8], v11 offset1:4
	ds_read2st64_b64 v[14:17], v11 offset0:8 offset1:12
	s_waitcnt lgkmcnt(0)
	v_add_f32_e32 v1, v14, v7
	v_add_f32_e32 v2, v15, v8
	;; [unrolled: 1-line block ×6, first 2 shown]
	ds_write_b64 v11, v[1:2]
	s_waitcnt lgkmcnt(0)
	s_barrier
	s_and_saveexec_b64 s[10:11], s[0:1]
	s_cbranch_execz .LBB24_13
; %bb.12:                               ;   in Loop: Header=BB24_7 Depth=1
	ds_read2st64_b64 v[5:8], v11 offset1:1
	ds_read2st64_b64 v[14:17], v11 offset0:2 offset1:3
	s_waitcnt lgkmcnt(0)
	v_add_f32_e32 v1, v14, v7
	v_add_f32_e32 v2, v15, v8
	;; [unrolled: 1-line block ×6, first 2 shown]
	ds_write_b64 v11, v[1:2]
.LBB24_13:                              ;   in Loop: Header=BB24_7 Depth=1
	s_or_b64 exec, exec, s[10:11]
	s_waitcnt lgkmcnt(0)
	s_barrier
	s_and_saveexec_b64 s[10:11], s[2:3]
	s_cbranch_execz .LBB24_15
; %bb.14:                               ;   in Loop: Header=BB24_7 Depth=1
	ds_read2_b64 v[5:8], v11 offset1:16
	ds_read2_b64 v[14:17], v11 offset0:32 offset1:48
	s_waitcnt lgkmcnt(0)
	v_add_f32_e32 v1, v14, v7
	v_add_f32_e32 v2, v15, v8
	;; [unrolled: 1-line block ×6, first 2 shown]
	ds_write_b64 v11, v[1:2]
.LBB24_15:                              ;   in Loop: Header=BB24_7 Depth=1
	s_or_b64 exec, exec, s[10:11]
	s_waitcnt lgkmcnt(0)
	s_barrier
	s_and_saveexec_b64 s[10:11], s[6:7]
	s_cbranch_execz .LBB24_17
; %bb.16:                               ;   in Loop: Header=BB24_7 Depth=1
	ds_read2_b64 v[5:8], v11 offset1:4
	ds_read2_b64 v[14:17], v11 offset0:8 offset1:12
	s_waitcnt lgkmcnt(0)
	v_add_f32_e32 v1, v14, v7
	v_add_f32_e32 v2, v15, v8
	;; [unrolled: 1-line block ×6, first 2 shown]
	ds_write_b64 v11, v[1:2]
.LBB24_17:                              ;   in Loop: Header=BB24_7 Depth=1
	s_or_b64 exec, exec, s[10:11]
	s_waitcnt lgkmcnt(0)
	s_barrier
	s_and_saveexec_b64 s[10:11], s[8:9]
	s_cbranch_execz .LBB24_19
; %bb.18:                               ;   in Loop: Header=BB24_7 Depth=1
	ds_read_b128 v[5:8], v13 offset:16
	ds_read_b64 v[1:2], v13 offset:8
	ds_read_b64 v[9:10], v11
	s_waitcnt lgkmcnt(1)
	v_add_f32_e32 v1, v5, v1
	v_add_f32_e32 v2, v6, v2
	;; [unrolled: 1-line block ×4, first 2 shown]
	s_waitcnt lgkmcnt(0)
	v_add_f32_e32 v1, v1, v9
	v_add_f32_e32 v2, v2, v10
	ds_write_b64 v11, v[1:2]
.LBB24_19:                              ;   in Loop: Header=BB24_7 Depth=1
	s_or_b64 exec, exec, s[10:11]
	s_waitcnt lgkmcnt(0)
	s_barrier
	s_and_saveexec_b64 s[10:11], s[8:9]
	s_cbranch_execz .LBB24_6
; %bb.20:                               ;   in Loop: Header=BB24_7 Depth=1
	ds_read_b64 v[1:2], v13
	s_mov_b64 s[36:37], exec
	v_bfrev_b32_e32 v7, 1
	s_waitcnt lgkmcnt(0)
	v_mul_f32_e64 v5, v2, -v4
	v_fmac_f32_e32 v5, v3, v1
.LBB24_21:                              ;   Parent Loop BB24_7 Depth=1
                                        ; =>  This Inner Loop Header: Depth=2
	s_ff1_i32_b64 s33, s[36:37]
	s_lshl_b64 s[38:39], 1, s33
	v_readlane_b32 s40, v5, s33
	s_andn2_b64 s[36:37], s[36:37], s[38:39]
	s_cmp_lg_u64 s[36:37], 0
	v_add_f32_e32 v7, s40, v7
	s_cbranch_scc1 .LBB24_21
; %bb.22:                               ;   in Loop: Header=BB24_7 Depth=1
	s_lshl_b64 s[36:37], s[34:35], 3
	v_mbcnt_lo_u32_b32 v5, exec_lo, 0
	s_add_u32 s36, s24, s36
	v_mbcnt_hi_u32_b32 v5, exec_hi, v5
	s_addc_u32 s37, s25, s37
	v_cmp_eq_u32_e32 vcc, 0, v5
	s_and_saveexec_b64 s[38:39], vcc
	s_xor_b64 s[38:39], exec, s[38:39]
	s_cbranch_execz .LBB24_26
; %bb.23:                               ;   in Loop: Header=BB24_7 Depth=1
	global_load_dword v6, v13, s[36:37]
	s_mov_b64 s[40:41], 0
.LBB24_24:                              ;   Parent Loop BB24_7 Depth=1
                                        ; =>  This Inner Loop Header: Depth=2
	s_waitcnt vmcnt(0)
	v_add_f32_e32 v5, v6, v7
	global_atomic_cmpswap v5, v13, v[5:6], s[36:37] glc
	s_waitcnt vmcnt(0)
	v_cmp_eq_u32_e32 vcc, v5, v6
	s_or_b64 s[40:41], vcc, s[40:41]
	v_mov_b32_e32 v6, v5
	s_andn2_b64 exec, exec, s[40:41]
	s_cbranch_execnz .LBB24_24
; %bb.25:                               ;   in Loop: Header=BB24_7 Depth=1
	s_or_b64 exec, exec, s[40:41]
.LBB24_26:                              ;   in Loop: Header=BB24_7 Depth=1
	s_or_b64 exec, exec, s[38:39]
	v_mul_f32_e32 v2, v3, v2
	s_mov_b64 s[38:39], exec
	v_fmac_f32_e32 v2, v4, v1
	v_bfrev_b32_e32 v5, 1
.LBB24_27:                              ;   Parent Loop BB24_7 Depth=1
                                        ; =>  This Inner Loop Header: Depth=2
	s_ff1_i32_b64 s33, s[38:39]
	s_lshl_b64 s[40:41], 1, s33
	v_readlane_b32 s35, v2, s33
	s_andn2_b64 s[38:39], s[38:39], s[40:41]
	s_cmp_lg_u64 s[38:39], 0
	v_add_f32_e32 v5, s35, v5
	s_cbranch_scc1 .LBB24_27
; %bb.28:                               ;   in Loop: Header=BB24_7 Depth=1
	v_mbcnt_lo_u32_b32 v1, exec_lo, 0
	v_mbcnt_hi_u32_b32 v1, exec_hi, v1
	v_cmp_eq_u32_e32 vcc, 0, v1
	s_and_saveexec_b64 s[38:39], vcc
	s_xor_b64 s[38:39], exec, s[38:39]
	s_cbranch_execz .LBB24_6
; %bb.29:                               ;   in Loop: Header=BB24_7 Depth=1
	global_load_dword v2, v13, s[36:37] offset:4
	s_mov_b64 s[38:39], 0
.LBB24_30:                              ;   Parent Loop BB24_7 Depth=1
                                        ; =>  This Inner Loop Header: Depth=2
	s_waitcnt vmcnt(0)
	v_add_f32_e32 v1, v2, v5
	global_atomic_cmpswap v1, v13, v[1:2], s[36:37] offset:4 glc
	s_waitcnt vmcnt(0)
	v_cmp_eq_u32_e32 vcc, v1, v2
	s_or_b64 s[38:39], vcc, s[38:39]
	v_mov_b32_e32 v2, v1
	s_andn2_b64 exec, exec, s[38:39]
	s_cbranch_execnz .LBB24_30
; %bb.31:                               ;   in Loop: Header=BB24_7 Depth=1
	s_or_b64 exec, exec, s[38:39]
	s_branch .LBB24_6
.LBB24_32:
	s_ashr_i32 s1, s26, 31
	s_mov_b32 s0, s26
	s_lshl_b64 s[0:1], s[0:1], 2
	s_add_u32 s0, s12, s0
	s_addc_u32 s1, s13, s1
	s_ashr_i32 s3, s27, 31
	s_mov_b32 s2, s27
	s_lshl_b64 s[2:3], s[2:3], 2
	s_add_u32 s2, s12, s2
	s_addc_u32 s3, s13, s3
	s_load_dword s6, s[2:3], 0x0
	s_load_dword s7, s[0:1], 0x0
	s_waitcnt lgkmcnt(0)
	s_sub_i32 s20, s6, s28
	v_add_u32_e32 v1, s7, v12
	v_cmp_gt_i32_e32 vcc, s20, v1
	s_and_saveexec_b64 s[6:7], vcc
	s_cbranch_execz .LBB24_44
; %bb.33:
	s_add_i32 s29, s27, -1
	s_cmp_lt_i32 s26, s29
	s_cselect_b64 s[0:1], -1, 0
	s_add_i32 s2, s27, -2
	s_cmp_lg_u32 s26, s2
	s_cselect_b64 s[2:3], -1, 0
	s_and_b64 s[0:1], s[0:1], s[2:3]
	v_cndmask_b32_e64 v2, 0, 1, s[0:1]
	s_mov_b64 s[8:9], 0
	v_cmp_ne_u32_e64 s[0:1], 1, v2
	v_mov_b32_e32 v13, s13
	v_mov_b32_e32 v14, s15
	s_branch .LBB24_35
.LBB24_34:                              ;   in Loop: Header=BB24_35 Depth=1
	s_or_b64 exec, exec, s[2:3]
	v_add_u32_e32 v1, 0x100, v1
	v_cmp_le_i32_e32 vcc, s20, v1
	s_or_b64 s[8:9], vcc, s[8:9]
	s_andn2_b64 exec, exec, s[8:9]
	s_cbranch_execz .LBB24_44
.LBB24_35:                              ; =>This Loop Header: Depth=1
                                        ;     Child Loop BB24_37 Depth 2
                                        ;     Child Loop BB24_41 Depth 2
	;; [unrolled: 1-line block ×3, first 2 shown]
	s_and_b64 vcc, exec, s[0:1]
	v_mov_b32_e32 v7, s26
	v_mov_b32_e32 v5, s29
	s_cbranch_vccnz .LBB24_39
; %bb.36:                               ;   in Loop: Header=BB24_35 Depth=1
	s_mov_b64 s[10:11], 0
	v_mov_b32_e32 v7, s26
	v_mov_b32_e32 v5, s29
.LBB24_37:                              ;   Parent Loop BB24_35 Depth=1
                                        ; =>  This Inner Loop Header: Depth=2
	v_add_u32_e32 v2, v5, v7
	v_lshrrev_b32_e32 v8, 31, v2
	v_add_u32_e32 v2, v2, v8
	v_ashrrev_i32_e32 v8, 1, v2
	v_ashrrev_i32_e32 v9, 31, v8
	v_lshlrev_b64 v[9:10], 2, v[8:9]
	v_mov_b32_e32 v6, s13
	v_add_co_u32_e32 v9, vcc, s12, v9
	v_addc_co_u32_e32 v10, vcc, v6, v10, vcc
	global_load_dword v2, v[9:10], off
	s_waitcnt vmcnt(0)
	v_subrev_u32_e32 v2, s28, v2
	v_cmp_lt_i32_e32 vcc, v1, v2
	v_cndmask_b32_e32 v5, v5, v8, vcc
	v_cndmask_b32_e32 v7, v8, v7, vcc
	v_add_u32_e32 v2, -1, v5
	v_cmp_ge_i32_e32 vcc, v7, v5
	v_cmp_eq_u32_e64 s[2:3], v7, v2
	s_or_b64 s[2:3], vcc, s[2:3]
	s_and_b64 s[2:3], exec, s[2:3]
	s_or_b64 s[10:11], s[2:3], s[10:11]
	s_andn2_b64 exec, exec, s[10:11]
	s_cbranch_execnz .LBB24_37
; %bb.38:                               ;   in Loop: Header=BB24_35 Depth=1
	s_or_b64 exec, exec, s[10:11]
.LBB24_39:                              ;   in Loop: Header=BB24_35 Depth=1
	v_ashrrev_i32_e32 v6, 31, v5
	v_lshlrev_b64 v[8:9], 2, v[5:6]
	v_ashrrev_i32_e32 v2, 31, v1
	v_add_co_u32_e32 v8, vcc, s12, v8
	v_addc_co_u32_e32 v9, vcc, v13, v9, vcc
	global_load_dword v6, v[8:9], off
	v_lshlrev_b64 v[8:9], 2, v[1:2]
	v_add_co_u32_e32 v8, vcc, s14, v8
	v_addc_co_u32_e32 v9, vcc, v14, v9, vcc
	global_load_dword v8, v[8:9], off
	s_waitcnt vmcnt(1)
	v_subrev_u32_e32 v6, s28, v6
	v_cmp_lt_i32_e32 vcc, v1, v6
	v_cndmask_b32_e32 v5, v5, v7, vcc
	s_waitcnt vmcnt(0)
	v_subrev_u32_e32 v6, s28, v8
	v_cmp_ne_u32_e32 vcc, v6, v5
	s_and_saveexec_b64 s[2:3], vcc
	s_cbranch_execz .LBB24_34
; %bb.40:                               ;   in Loop: Header=BB24_35 Depth=1
	v_ashrrev_i32_e32 v7, 31, v6
	v_lshlrev_b64 v[9:10], 3, v[6:7]
	v_lshlrev_b64 v[6:7], 3, v[1:2]
	v_mov_b32_e32 v2, s17
	v_add_co_u32_e32 v6, vcc, s16, v6
	v_addc_co_u32_e32 v7, vcc, v2, v7, vcc
	global_load_dwordx2 v[16:17], v[6:7], off
	v_ashrrev_i32_e32 v6, 31, v5
	v_lshlrev_b64 v[5:6], 3, v[5:6]
	v_mov_b32_e32 v2, s19
	v_add_co_u32_e32 v5, vcc, s18, v5
	v_addc_co_u32_e32 v6, vcc, v2, v6, vcc
	v_mov_b32_e32 v15, s25
	global_load_dwordx2 v[7:8], v[5:6], off
	v_add_co_u32_e32 v5, vcc, s24, v9
	v_addc_co_u32_e32 v6, vcc, v15, v10, vcc
	global_load_dword v10, v[5:6], off
	s_mov_b64 s[10:11], 0
	s_waitcnt vmcnt(2)
	v_cndmask_b32_e64 v9, v17, -v17, s[30:31]
	v_mul_f32_e32 v15, v3, v9
	v_mul_f32_e64 v2, v9, -v4
	v_fmac_f32_e32 v15, v4, v16
	v_fmac_f32_e32 v2, v3, v16
	s_waitcnt vmcnt(1)
	v_mul_f32_e64 v16, v8, -v15
	v_fmac_f32_e32 v16, v2, v7
.LBB24_41:                              ;   Parent Loop BB24_35 Depth=1
                                        ; =>  This Inner Loop Header: Depth=2
	s_waitcnt vmcnt(0)
	v_add_f32_e32 v9, v10, v16
	global_atomic_cmpswap v9, v[5:6], v[9:10], off glc
	s_waitcnt vmcnt(0)
	v_cmp_eq_u32_e32 vcc, v9, v10
	s_or_b64 s[10:11], vcc, s[10:11]
	v_mov_b32_e32 v10, v9
	s_andn2_b64 exec, exec, s[10:11]
	s_cbranch_execnz .LBB24_41
; %bb.42:                               ;   in Loop: Header=BB24_35 Depth=1
	s_or_b64 exec, exec, s[10:11]
	global_load_dword v9, v[5:6], off offset:4
	v_mul_f32_e32 v2, v8, v2
	v_fmac_f32_e32 v2, v15, v7
	s_mov_b64 s[10:11], 0
.LBB24_43:                              ;   Parent Loop BB24_35 Depth=1
                                        ; =>  This Inner Loop Header: Depth=2
	s_waitcnt vmcnt(0)
	v_add_f32_e32 v8, v9, v2
	global_atomic_cmpswap v7, v[5:6], v[8:9], off offset:4 glc
	s_waitcnt vmcnt(0)
	v_cmp_eq_u32_e32 vcc, v7, v9
	s_or_b64 s[10:11], vcc, s[10:11]
	v_mov_b32_e32 v9, v7
	s_andn2_b64 exec, exec, s[10:11]
	s_cbranch_execnz .LBB24_43
	s_branch .LBB24_34
.LBB24_44:
	s_or_b64 exec, exec, s[6:7]
	s_mov_b64 s[0:1], 0
.LBB24_45:
	s_and_b64 vcc, exec, s[0:1]
	s_cbranch_vccz .LBB24_171
; %bb.46:
	v_cvt_f32_u32_e32 v1, s23
	s_ashr_i32 s1, s26, 31
	s_mov_b32 s0, s26
	s_sub_i32 s2, 0, s23
	v_rcp_iflag_f32_e32 v1, v1
	s_lshl_b64 s[0:1], s[0:1], 2
	s_add_u32 s6, s12, s0
	s_addc_u32 s7, s13, s1
	s_load_dword s29, s[6:7], 0x0
	v_mul_f32_e32 v1, 0x4f7ffffe, v1
	v_cvt_u32_f32_e32 v2, v1
	s_load_dword s10, s[4:5], 0x64
	s_waitcnt lgkmcnt(0)
	v_add_u32_e32 v1, s29, v12
	v_readfirstlane_b32 s11, v2
	s_mul_i32 s2, s2, s11
	v_add_u32_e32 v9, 0x300, v1
	s_mul_hi_u32 s20, s11, s2
	v_cmp_le_i32_e32 vcc, s21, v9
	s_and_saveexec_b64 s[0:1], vcc
	s_xor_b64 s[2:3], exec, s[0:1]
	s_cbranch_execz .LBB24_51
; %bb.47:
	s_ashr_i32 s1, s27, 31
	s_mov_b32 s0, s27
	s_lshl_b64 s[0:1], s[0:1], 2
	s_add_u32 s0, s12, s0
	s_addc_u32 s1, s13, s1
	s_load_dword s0, s[0:1], 0x0
	s_waitcnt lgkmcnt(0)
	s_sub_i32 s21, s0, s29
	v_cmp_gt_i32_e64 s[0:1], s21, v0
	s_and_saveexec_b64 s[4:5], s[0:1]
	s_cbranch_execz .LBB24_50
; %bb.48:
	s_sub_i32 s33, s29, s28
	s_mov_b64 s[8:9], 0
	v_mov_b32_e32 v2, s17
	v_mov_b32_e32 v5, v11
	;; [unrolled: 1-line block ×3, first 2 shown]
.LBB24_49:                              ; =>This Inner Loop Header: Depth=1
	v_add_u32_e32 v7, s33, v6
	v_ashrrev_i32_e32 v8, 31, v7
	v_lshlrev_b64 v[7:8], 3, v[7:8]
	v_add_u32_e32 v6, 0x100, v6
	v_add_co_u32_e64 v7, s[0:1], s16, v7
	v_addc_co_u32_e64 v8, s[0:1], v2, v8, s[0:1]
	global_load_dwordx2 v[7:8], v[7:8], off
	v_cmp_le_i32_e64 s[0:1], s21, v6
	s_or_b64 s[8:9], s[0:1], s[8:9]
	s_waitcnt vmcnt(0)
	v_cndmask_b32_e64 v8, v8, -v8, s[30:31]
	v_mul_f32_e64 v12, v8, -v4
	v_mul_f32_e32 v13, v3, v8
	v_fmac_f32_e32 v12, v3, v7
	v_fmac_f32_e32 v13, v4, v7
	ds_write_b64 v5, v[12:13]
	v_add_u32_e32 v5, 0x800, v5
	s_andn2_b64 exec, exec, s[8:9]
	s_cbranch_execnz .LBB24_49
.LBB24_50:
	s_or_b64 exec, exec, s[4:5]
                                        ; implicit-def: $vgpr3_vgpr4
.LBB24_51:
	s_or_saveexec_b64 s[2:3], s[2:3]
	s_and_b32 s33, s10, 0xffff
	s_add_i32 s11, s11, s20
	v_ashrrev_i32_e32 v2, 31, v1
	s_xor_b64 exec, exec, s[2:3]
	s_cbranch_execz .LBB24_53
; %bb.52:
	v_lshlrev_b64 v[5:6], 3, v[1:2]
	v_mov_b32_e32 v7, s17
	v_add_co_u32_e64 v5, s[0:1], s16, v5
	v_addc_co_u32_e64 v6, s[0:1], v7, v6, s[0:1]
	s_movk_i32 s0, 0x1000
	global_load_dwordx2 v[7:8], v[5:6], off
	global_load_dwordx2 v[12:13], v[5:6], off offset:2048
	v_add_co_u32_e64 v5, s[0:1], s0, v5
	v_addc_co_u32_e64 v6, s[0:1], 0, v6, s[0:1]
	global_load_dwordx2 v[14:15], v[5:6], off
	global_load_dwordx2 v[16:17], v[5:6], off offset:2048
	s_waitcnt vmcnt(3)
	v_cndmask_b32_e64 v6, v8, -v8, s[30:31]
	s_waitcnt vmcnt(2)
	v_cndmask_b32_e64 v8, v13, -v13, s[30:31]
	v_mul_f32_e64 v5, v6, -v4
	v_mul_f32_e32 v6, v3, v6
	v_mul_f32_e64 v18, v8, -v4
	v_mul_f32_e32 v19, v3, v8
	s_waitcnt vmcnt(1)
	v_cndmask_b32_e64 v8, v15, -v15, s[30:31]
	s_waitcnt vmcnt(0)
	v_cndmask_b32_e64 v10, v17, -v17, s[30:31]
	v_fmac_f32_e32 v5, v3, v7
	v_fmac_f32_e32 v6, v4, v7
	;; [unrolled: 1-line block ×4, first 2 shown]
	v_mul_f32_e64 v7, v8, -v4
	v_mul_f32_e32 v8, v3, v8
	v_mul_f32_e64 v12, v10, -v4
	v_mul_f32_e32 v13, v3, v10
	v_fmac_f32_e32 v7, v3, v14
	v_fmac_f32_e32 v8, v4, v14
	;; [unrolled: 1-line block ×4, first 2 shown]
	ds_write2st64_b64 v11, v[5:6], v[18:19] offset1:4
	ds_write2st64_b64 v11, v[7:8], v[12:13] offset0:8 offset1:12
.LBB24_53:
	s_or_b64 exec, exec, s[2:3]
	s_mul_hi_u32 s30, s33, s11
	v_cmp_gt_i32_e64 s[0:1], s22, v0
	s_and_saveexec_b64 s[2:3], s[0:1]
	s_cbranch_execz .LBB24_56
; %bb.54:
	v_mov_b32_e32 v3, 0x2000
	v_lshl_add_u32 v3, v0, 3, v3
	s_mov_b64 s[4:5], 0
	v_mov_b32_e32 v4, 0
	v_mov_b32_e32 v5, v0
.LBB24_55:                              ; =>This Inner Loop Header: Depth=1
	v_add_u32_e32 v5, 0x100, v5
	v_cmp_le_i32_e64 s[0:1], s22, v5
	ds_write2_b32 v3, v4, v4 offset1:1
	s_or_b64 s[4:5], s[0:1], s[4:5]
	v_add_u32_e32 v3, 0x800, v3
	s_andn2_b64 exec, exec, s[4:5]
	s_cbranch_execnz .LBB24_55
.LBB24_56:
	s_or_b64 exec, exec, s[2:3]
	s_sub_i32 s0, s27, s22
	s_cmp_ge_i32 s27, s22
	s_cselect_b32 s31, s0, 0
	s_waitcnt lgkmcnt(0)
	s_barrier
	s_and_saveexec_b64 s[0:1], vcc
	s_xor_b64 s[4:5], exec, s[0:1]
	s_cbranch_execz .LBB24_77
; %bb.57:
	s_ashr_i32 s1, s27, 31
	s_mov_b32 s0, s27
	s_lshl_b64 s[0:1], s[0:1], 2
	s_add_u32 s0, s12, s0
	s_addc_u32 s1, s13, s1
	s_load_dword s0, s[0:1], 0x0
	s_waitcnt lgkmcnt(0)
	s_sub_i32 s34, s0, s29
	v_cmp_gt_i32_e32 vcc, s34, v0
	s_and_saveexec_b64 s[8:9], vcc
	s_cbranch_execz .LBB24_76
; %bb.58:
	s_add_i32 s35, s27, -1
	s_add_i32 s1, s27, -2
	s_cmp_lg_u32 s26, s1
	s_cselect_b64 s[2:3], -1, 0
	v_cndmask_b32_e64 v2, 0, 1, s[2:3]
	s_sub_i32 s36, s0, s28
	s_mov_b32 s37, 0
	s_mov_b64 s[10:11], 0
	v_cmp_ne_u32_e64 s[0:1], 1, v2
	v_mov_b32_e32 v10, s13
	v_mov_b32_e32 v12, s15
	v_mov_b32_e32 v13, s19
	v_mov_b32_e32 v14, 0x2000
	s_branch .LBB24_61
.LBB24_59:                              ;   in Loop: Header=BB24_61 Depth=1
	s_or_b64 exec, exec, s[2:3]
	v_xor_b32_e32 v6, 0x80000000, v5
.LBB24_60:                              ;   in Loop: Header=BB24_61 Depth=1
	s_or_b64 exec, exec, s[16:17]
	v_ashrrev_i32_e32 v3, 31, v2
	v_lshlrev_b64 v[2:3], 3, v[2:3]
	s_addk_i32 s37, 0x100
	v_add_co_u32_e32 v2, vcc, s18, v2
	v_addc_co_u32_e32 v3, vcc, v13, v3, vcc
	global_load_dwordx2 v[2:3], v[2:3], off
	v_add_u32_e32 v7, s37, v0
	v_cmp_le_i32_e32 vcc, s34, v7
	s_or_b64 s[10:11], vcc, s[10:11]
	s_waitcnt vmcnt(0)
	v_mul_f32_e32 v6, v3, v6
	v_mul_f32_e32 v7, v3, v4
	v_fmac_f32_e32 v6, v4, v2
	v_fmac_f32_e32 v7, v5, v2
	ds_write_b64 v15, v[6:7]
	s_andn2_b64 exec, exec, s[10:11]
	s_cbranch_execz .LBB24_76
.LBB24_61:                              ; =>This Loop Header: Depth=1
                                        ;     Child Loop BB24_63 Depth 2
                                        ;     Child Loop BB24_70 Depth 2
	;; [unrolled: 1-line block ×3, first 2 shown]
	v_add_u32_e32 v3, s37, v1
	s_and_b64 vcc, exec, s[0:1]
	v_mov_b32_e32 v7, s26
	v_mov_b32_e32 v5, s35
	s_cbranch_vccnz .LBB24_65
; %bb.62:                               ;   in Loop: Header=BB24_61 Depth=1
	s_mov_b64 s[16:17], 0
	v_mov_b32_e32 v7, s26
	v_mov_b32_e32 v5, s35
.LBB24_63:                              ;   Parent Loop BB24_61 Depth=1
                                        ; =>  This Inner Loop Header: Depth=2
	v_add_u32_e32 v2, v5, v7
	v_lshrrev_b32_e32 v6, 31, v2
	v_add_u32_e32 v2, v2, v6
	v_ashrrev_i32_e32 v8, 1, v2
	v_ashrrev_i32_e32 v9, 31, v8
	v_lshlrev_b64 v[15:16], 2, v[8:9]
	v_mov_b32_e32 v4, s13
	v_add_co_u32_e32 v15, vcc, s12, v15
	v_addc_co_u32_e32 v16, vcc, v4, v16, vcc
	global_load_dword v2, v[15:16], off
	s_waitcnt vmcnt(0)
	v_subrev_u32_e32 v2, s28, v2
	v_cmp_lt_i32_e32 vcc, v3, v2
	v_cndmask_b32_e32 v5, v5, v8, vcc
	v_cndmask_b32_e32 v7, v8, v7, vcc
	v_add_u32_e32 v2, -1, v5
	v_cmp_ge_i32_e32 vcc, v7, v5
	v_cmp_eq_u32_e64 s[2:3], v7, v2
	s_or_b64 s[2:3], vcc, s[2:3]
	s_and_b64 s[2:3], exec, s[2:3]
	s_or_b64 s[16:17], s[2:3], s[16:17]
	s_andn2_b64 exec, exec, s[16:17]
	s_cbranch_execnz .LBB24_63
; %bb.64:                               ;   in Loop: Header=BB24_61 Depth=1
	s_or_b64 exec, exec, s[16:17]
.LBB24_65:                              ;   in Loop: Header=BB24_61 Depth=1
	v_ashrrev_i32_e32 v6, 31, v5
	v_lshlrev_b64 v[8:9], 2, v[5:6]
	v_ashrrev_i32_e32 v4, 31, v3
	v_add_co_u32_e32 v8, vcc, s12, v8
	v_addc_co_u32_e32 v9, vcc, v10, v9, vcc
	global_load_dword v2, v[8:9], off
	v_lshlrev_b64 v[8:9], 2, v[3:4]
	v_lshl_add_u32 v15, s37, 3, v11
	v_add_co_u32_e32 v8, vcc, s14, v8
	v_addc_co_u32_e32 v9, vcc, v12, v9, vcc
	global_load_dword v4, v[8:9], off
	v_cmp_le_i32_e32 vcc, s36, v3
	s_waitcnt vmcnt(1)
	v_subrev_u32_e32 v6, s28, v2
	v_cmp_lt_i32_e64 s[2:3], v3, v6
	v_cndmask_b32_e64 v3, v5, v7, s[2:3]
                                        ; implicit-def: $vgpr6
	s_waitcnt vmcnt(0)
	v_subrev_u32_e32 v2, s28, v4
	v_cmp_eq_u32_e64 s[2:3], v2, v3
	s_or_b64 s[2:3], s[2:3], vcc
                                        ; implicit-def: $vgpr4
	s_and_saveexec_b64 s[16:17], s[2:3]
	s_xor_b64 s[2:3], exec, s[16:17]
	s_cbranch_execz .LBB24_67
; %bb.66:                               ;   in Loop: Header=BB24_61 Depth=1
	ds_read_b64 v[4:5], v15
                                        ; implicit-def: $vgpr3
	s_waitcnt lgkmcnt(0)
	v_xor_b32_e32 v6, 0x80000000, v5
.LBB24_67:                              ;   in Loop: Header=BB24_61 Depth=1
	s_andn2_saveexec_b64 s[16:17], s[2:3]
	s_cbranch_execz .LBB24_60
; %bb.68:                               ;   in Loop: Header=BB24_61 Depth=1
	v_ashrrev_i32_e32 v4, 31, v3
	v_lshlrev_b64 v[3:4], 3, v[3:4]
	v_mov_b32_e32 v5, s19
	v_add_co_u32_e32 v3, vcc, s18, v3
	v_addc_co_u32_e32 v4, vcc, v5, v4, vcc
	global_load_dwordx2 v[6:7], v[3:4], off
	ds_read_b64 v[4:5], v15
	v_cmp_gt_i32_e32 vcc, s31, v2
	v_cmp_le_i32_e64 s[2:3], s27, v2
	s_or_b64 s[2:3], vcc, s[2:3]
	s_waitcnt vmcnt(0) lgkmcnt(0)
	v_mul_f32_e64 v17, v7, -v5
	v_mul_f32_e32 v16, v7, v4
	v_fmac_f32_e32 v17, v4, v6
	v_fmac_f32_e32 v16, v5, v6
	s_and_saveexec_b64 s[20:21], s[2:3]
	s_xor_b64 s[2:3], exec, s[20:21]
	s_cbranch_execz .LBB24_74
; %bb.69:                               ;   in Loop: Header=BB24_61 Depth=1
	v_ashrrev_i32_e32 v3, 31, v2
	v_lshlrev_b64 v[6:7], 3, v[2:3]
	v_mov_b32_e32 v3, s25
	v_add_co_u32_e32 v6, vcc, s24, v6
	v_addc_co_u32_e32 v7, vcc, v3, v7, vcc
	global_load_dword v9, v[6:7], off
	s_mov_b64 s[20:21], 0
.LBB24_70:                              ;   Parent Loop BB24_61 Depth=1
                                        ; =>  This Inner Loop Header: Depth=2
	s_waitcnt vmcnt(0)
	v_add_f32_e32 v8, v9, v17
	global_atomic_cmpswap v3, v[6:7], v[8:9], off glc
	s_waitcnt vmcnt(0)
	v_cmp_eq_u32_e32 vcc, v3, v9
	s_or_b64 s[20:21], vcc, s[20:21]
	v_mov_b32_e32 v9, v3
	s_andn2_b64 exec, exec, s[20:21]
	s_cbranch_execnz .LBB24_70
; %bb.71:                               ;   in Loop: Header=BB24_61 Depth=1
	s_or_b64 exec, exec, s[20:21]
	global_load_dword v9, v[6:7], off offset:4
	s_mov_b64 s[20:21], 0
.LBB24_72:                              ;   Parent Loop BB24_61 Depth=1
                                        ; =>  This Inner Loop Header: Depth=2
	s_waitcnt vmcnt(0)
	v_add_f32_e32 v8, v9, v16
	global_atomic_cmpswap v3, v[6:7], v[8:9], off offset:4 glc
	s_waitcnt vmcnt(0)
	v_cmp_eq_u32_e32 vcc, v3, v9
	s_or_b64 s[20:21], vcc, s[20:21]
	v_mov_b32_e32 v9, v3
	s_andn2_b64 exec, exec, s[20:21]
	s_cbranch_execnz .LBB24_72
; %bb.73:                               ;   in Loop: Header=BB24_61 Depth=1
	s_or_b64 exec, exec, s[20:21]
                                        ; implicit-def: $vgpr17
                                        ; implicit-def: $vgpr16
.LBB24_74:                              ;   in Loop: Header=BB24_61 Depth=1
	s_andn2_saveexec_b64 s[2:3], s[2:3]
	s_cbranch_execz .LBB24_59
; %bb.75:                               ;   in Loop: Header=BB24_61 Depth=1
	v_subrev_u32_e32 v3, s31, v2
	v_lshl_add_u32 v3, v3, 3, v14
	ds_add_f32 v3, v17
	ds_add_f32 v3, v16 offset:4
	s_branch .LBB24_59
.LBB24_76:
	s_or_b64 exec, exec, s[8:9]
                                        ; implicit-def: $vgpr9
                                        ; implicit-def: $vgpr1
.LBB24_77:
	s_andn2_saveexec_b64 s[4:5], s[4:5]
	s_cbranch_execz .LBB24_135
; %bb.78:
	s_add_i32 s16, s27, -1
	s_add_i32 s0, s27, -2
	s_cmp_lg_u32 s26, s0
	s_cselect_b64 s[2:3], -1, 0
	s_cmp_eq_u32 s26, s0
	v_mov_b32_e32 v6, s26
	v_mov_b32_e32 v4, s16
	s_cbranch_scc1 .LBB24_82
; %bb.79:
	s_mov_b64 s[8:9], 0
	v_mov_b32_e32 v6, s26
	v_mov_b32_e32 v4, s16
	v_mov_b32_e32 v3, s13
.LBB24_80:                              ; =>This Inner Loop Header: Depth=1
	v_add_u32_e32 v5, v4, v6
	v_lshrrev_b32_e32 v7, 31, v5
	v_add_u32_e32 v5, v5, v7
	v_ashrrev_i32_e32 v7, 1, v5
	v_ashrrev_i32_e32 v8, 31, v7
	v_lshlrev_b64 v[12:13], 2, v[7:8]
	v_add_co_u32_e32 v12, vcc, s12, v12
	v_addc_co_u32_e32 v13, vcc, v3, v13, vcc
	global_load_dword v5, v[12:13], off
	s_waitcnt vmcnt(0)
	v_subrev_u32_e32 v5, s28, v5
	v_cmp_lt_i32_e32 vcc, v1, v5
	v_cndmask_b32_e32 v4, v4, v7, vcc
	v_cndmask_b32_e32 v6, v7, v6, vcc
	v_add_u32_e32 v5, -1, v4
	v_cmp_ge_i32_e32 vcc, v6, v4
	v_cmp_eq_u32_e64 s[0:1], v6, v5
	s_or_b64 s[0:1], vcc, s[0:1]
	s_and_b64 s[0:1], exec, s[0:1]
	s_or_b64 s[8:9], s[0:1], s[8:9]
	s_andn2_b64 exec, exec, s[8:9]
	s_cbranch_execnz .LBB24_80
; %bb.81:
	s_or_b64 exec, exec, s[8:9]
.LBB24_82:
	v_ashrrev_i32_e32 v5, 31, v4
	v_lshlrev_b64 v[7:8], 2, v[4:5]
	v_mov_b32_e32 v3, s13
	v_add_co_u32_e32 v7, vcc, s12, v7
	v_addc_co_u32_e32 v8, vcc, v3, v8, vcc
	v_lshlrev_b64 v[2:3], 2, v[1:2]
	global_load_dword v5, v[7:8], off
	v_mov_b32_e32 v7, s15
	v_add_co_u32_e32 v2, vcc, s14, v2
	v_addc_co_u32_e32 v3, vcc, v7, v3, vcc
	global_load_dword v7, v[2:3], off
	s_ashr_i32 s1, s27, 31
	s_mov_b32 s0, s27
	s_lshl_b64 s[0:1], s[0:1], 2
	s_add_u32 s8, s12, s0
	s_addc_u32 s9, s13, s1
	s_waitcnt vmcnt(1)
	v_subrev_u32_e32 v5, s28, v5
	v_cmp_lt_i32_e32 vcc, v1, v5
	v_cndmask_b32_e32 v5, v4, v6, vcc
	s_waitcnt vmcnt(0)
	v_subrev_u32_e32 v4, s28, v7
	v_cmp_ne_u32_e32 vcc, v4, v5
	s_and_saveexec_b64 s[10:11], vcc
	s_cbranch_execz .LBB24_92
; %bb.83:
	s_load_dword s0, s[8:9], 0x0
	s_waitcnt lgkmcnt(0)
	s_sub_i32 s0, s0, s28
	v_cmp_gt_i32_e32 vcc, s0, v1
	s_and_b64 exec, exec, vcc
	s_cbranch_execz .LBB24_92
; %bb.84:
	v_ashrrev_i32_e32 v6, 31, v5
	v_lshlrev_b64 v[5:6], 3, v[5:6]
	v_mov_b32_e32 v7, s19
	v_add_co_u32_e32 v5, vcc, s18, v5
	v_addc_co_u32_e32 v6, vcc, v7, v6, vcc
	global_load_dwordx2 v[5:6], v[5:6], off
	ds_read_b64 v[7:8], v11
	v_cmp_gt_i32_e32 vcc, s31, v4
	v_cmp_le_i32_e64 s[0:1], s27, v4
	s_or_b64 s[0:1], vcc, s[0:1]
	s_waitcnt vmcnt(0) lgkmcnt(0)
	v_mul_f32_e64 v12, v6, -v8
	v_mul_f32_e32 v10, v6, v7
	v_fmac_f32_e32 v12, v7, v5
	v_fmac_f32_e32 v10, v8, v5
	s_and_saveexec_b64 s[14:15], s[0:1]
	s_xor_b64 s[0:1], exec, s[14:15]
	s_cbranch_execz .LBB24_90
; %bb.85:
	v_ashrrev_i32_e32 v5, 31, v4
	v_lshlrev_b64 v[5:6], 3, v[4:5]
	v_mov_b32_e32 v7, s25
	v_add_co_u32_e32 v5, vcc, s24, v5
	v_addc_co_u32_e32 v6, vcc, v7, v6, vcc
	global_load_dword v8, v[5:6], off
	s_mov_b64 s[14:15], 0
.LBB24_86:                              ; =>This Inner Loop Header: Depth=1
	s_waitcnt vmcnt(0)
	v_add_f32_e32 v7, v8, v12
	global_atomic_cmpswap v7, v[5:6], v[7:8], off glc
	s_waitcnt vmcnt(0)
	v_cmp_eq_u32_e32 vcc, v7, v8
	s_or_b64 s[14:15], vcc, s[14:15]
	v_mov_b32_e32 v8, v7
	s_andn2_b64 exec, exec, s[14:15]
	s_cbranch_execnz .LBB24_86
; %bb.87:
	s_or_b64 exec, exec, s[14:15]
	global_load_dword v8, v[5:6], off offset:4
	s_mov_b64 s[14:15], 0
.LBB24_88:                              ; =>This Inner Loop Header: Depth=1
	s_waitcnt vmcnt(0)
	v_add_f32_e32 v7, v8, v10
	global_atomic_cmpswap v7, v[5:6], v[7:8], off offset:4 glc
	s_waitcnt vmcnt(0)
	v_cmp_eq_u32_e32 vcc, v7, v8
	s_or_b64 s[14:15], vcc, s[14:15]
	v_mov_b32_e32 v8, v7
	s_andn2_b64 exec, exec, s[14:15]
	s_cbranch_execnz .LBB24_88
; %bb.89:
	s_or_b64 exec, exec, s[14:15]
                                        ; implicit-def: $vgpr12
                                        ; implicit-def: $vgpr10
.LBB24_90:
	s_andn2_saveexec_b64 s[0:1], s[0:1]
	s_cbranch_execz .LBB24_92
; %bb.91:
	v_subrev_u32_e32 v5, s31, v4
	v_mov_b32_e32 v6, 0x2000
	v_lshl_add_u32 v5, v5, 3, v6
	ds_add_f32 v5, v12
	ds_add_f32 v5, v10 offset:4
.LBB24_92:
	s_or_b64 exec, exec, s[10:11]
	v_ashrrev_i32_e32 v5, 31, v4
	v_lshlrev_b64 v[4:5], 3, v[4:5]
	v_mov_b32_e32 v6, s19
	v_add_co_u32_e32 v4, vcc, s18, v4
	v_addc_co_u32_e32 v5, vcc, v6, v5, vcc
	global_load_dwordx2 v[4:5], v[4:5], off
	ds_read_b64 v[12:13], v11
	v_cndmask_b32_e64 v8, 0, 1, s[2:3]
	v_add_u32_e32 v6, 0x100, v1
	v_mov_b32_e32 v7, s26
	v_cmp_ne_u32_e64 s[0:1], 1, v8
	s_andn2_b64 vcc, exec, s[2:3]
	s_waitcnt vmcnt(0) lgkmcnt(0)
	v_mul_f32_e64 v14, v5, -v13
	v_mul_f32_e32 v15, v5, v12
	v_fmac_f32_e32 v14, v12, v4
	v_fmac_f32_e32 v15, v13, v4
	v_mov_b32_e32 v4, s16
	ds_write_b64 v11, v[14:15]
	s_cbranch_vccnz .LBB24_96
; %bb.93:
	s_mov_b64 s[10:11], 0
	v_mov_b32_e32 v7, s26
	v_mov_b32_e32 v4, s16
	;; [unrolled: 1-line block ×3, first 2 shown]
.LBB24_94:                              ; =>This Inner Loop Header: Depth=1
	v_add_u32_e32 v8, v4, v7
	v_lshrrev_b32_e32 v10, 31, v8
	v_add_u32_e32 v8, v8, v10
	v_ashrrev_i32_e32 v12, 1, v8
	v_ashrrev_i32_e32 v13, 31, v12
	v_lshlrev_b64 v[13:14], 2, v[12:13]
	v_add_co_u32_e32 v13, vcc, s12, v13
	v_addc_co_u32_e32 v14, vcc, v5, v14, vcc
	global_load_dword v8, v[13:14], off
	s_waitcnt vmcnt(0)
	v_subrev_u32_e32 v8, s28, v8
	v_cmp_lt_i32_e32 vcc, v6, v8
	v_cndmask_b32_e32 v4, v4, v12, vcc
	v_cndmask_b32_e32 v7, v12, v7, vcc
	v_add_u32_e32 v8, -1, v4
	v_cmp_ge_i32_e32 vcc, v7, v4
	v_cmp_eq_u32_e64 s[2:3], v7, v8
	s_or_b64 s[2:3], vcc, s[2:3]
	s_and_b64 s[2:3], exec, s[2:3]
	s_or_b64 s[10:11], s[2:3], s[10:11]
	s_andn2_b64 exec, exec, s[10:11]
	s_cbranch_execnz .LBB24_94
; %bb.95:
	s_or_b64 exec, exec, s[10:11]
.LBB24_96:
	v_ashrrev_i32_e32 v5, 31, v4
	v_lshlrev_b64 v[12:13], 2, v[4:5]
	v_mov_b32_e32 v5, s13
	v_add_co_u32_e32 v12, vcc, s12, v12
	v_addc_co_u32_e32 v13, vcc, v5, v13, vcc
	global_load_dword v5, v[12:13], off
	global_load_dword v8, v[2:3], off offset:1024
	s_waitcnt vmcnt(1)
	v_subrev_u32_e32 v5, s28, v5
	v_cmp_lt_i32_e32 vcc, v6, v5
	v_cndmask_b32_e32 v5, v4, v7, vcc
	s_waitcnt vmcnt(0)
	v_subrev_u32_e32 v4, s28, v8
	v_cmp_ne_u32_e32 vcc, v4, v5
	s_and_saveexec_b64 s[10:11], vcc
	s_cbranch_execz .LBB24_106
; %bb.97:
	s_load_dword s2, s[8:9], 0x0
	s_waitcnt lgkmcnt(0)
	s_sub_i32 s2, s2, s28
	v_cmp_gt_i32_e32 vcc, s2, v6
	s_and_b64 exec, exec, vcc
	s_cbranch_execz .LBB24_106
; %bb.98:
	v_ashrrev_i32_e32 v6, 31, v5
	v_lshlrev_b64 v[5:6], 3, v[5:6]
	v_mov_b32_e32 v7, s19
	v_add_co_u32_e32 v5, vcc, s18, v5
	v_addc_co_u32_e32 v6, vcc, v7, v6, vcc
	global_load_dwordx2 v[5:6], v[5:6], off
	ds_read_b64 v[7:8], v11 offset:2048
	v_cmp_gt_i32_e32 vcc, s31, v4
	v_cmp_le_i32_e64 s[2:3], s27, v4
	s_or_b64 s[2:3], vcc, s[2:3]
	s_waitcnt vmcnt(0) lgkmcnt(0)
	v_mul_f32_e64 v12, v6, -v8
	v_mul_f32_e32 v10, v6, v7
	v_fmac_f32_e32 v12, v7, v5
	v_fmac_f32_e32 v10, v8, v5
	s_and_saveexec_b64 s[14:15], s[2:3]
	s_xor_b64 s[2:3], exec, s[14:15]
	s_cbranch_execz .LBB24_104
; %bb.99:
	v_ashrrev_i32_e32 v5, 31, v4
	v_lshlrev_b64 v[5:6], 3, v[4:5]
	v_mov_b32_e32 v7, s25
	v_add_co_u32_e32 v5, vcc, s24, v5
	v_addc_co_u32_e32 v6, vcc, v7, v6, vcc
	global_load_dword v8, v[5:6], off
	s_mov_b64 s[14:15], 0
.LBB24_100:                             ; =>This Inner Loop Header: Depth=1
	s_waitcnt vmcnt(0)
	v_add_f32_e32 v7, v8, v12
	global_atomic_cmpswap v7, v[5:6], v[7:8], off glc
	s_waitcnt vmcnt(0)
	v_cmp_eq_u32_e32 vcc, v7, v8
	s_or_b64 s[14:15], vcc, s[14:15]
	v_mov_b32_e32 v8, v7
	s_andn2_b64 exec, exec, s[14:15]
	s_cbranch_execnz .LBB24_100
; %bb.101:
	s_or_b64 exec, exec, s[14:15]
	global_load_dword v8, v[5:6], off offset:4
	s_mov_b64 s[14:15], 0
.LBB24_102:                             ; =>This Inner Loop Header: Depth=1
	s_waitcnt vmcnt(0)
	v_add_f32_e32 v7, v8, v10
	global_atomic_cmpswap v7, v[5:6], v[7:8], off offset:4 glc
	s_waitcnt vmcnt(0)
	v_cmp_eq_u32_e32 vcc, v7, v8
	s_or_b64 s[14:15], vcc, s[14:15]
	v_mov_b32_e32 v8, v7
	s_andn2_b64 exec, exec, s[14:15]
	s_cbranch_execnz .LBB24_102
; %bb.103:
	s_or_b64 exec, exec, s[14:15]
                                        ; implicit-def: $vgpr12
                                        ; implicit-def: $vgpr10
.LBB24_104:
	s_andn2_saveexec_b64 s[2:3], s[2:3]
	s_cbranch_execz .LBB24_106
; %bb.105:
	v_subrev_u32_e32 v5, s31, v4
	v_mov_b32_e32 v6, 0x2000
	v_lshl_add_u32 v5, v5, 3, v6
	ds_add_f32 v5, v12
	ds_add_f32 v5, v10 offset:4
.LBB24_106:
	s_or_b64 exec, exec, s[10:11]
	v_ashrrev_i32_e32 v5, 31, v4
	v_lshlrev_b64 v[4:5], 3, v[4:5]
	v_mov_b32_e32 v6, s19
	v_add_co_u32_e32 v4, vcc, s18, v4
	v_addc_co_u32_e32 v5, vcc, v6, v5, vcc
	global_load_dwordx2 v[4:5], v[4:5], off
	ds_read_b64 v[7:8], v11 offset:2048
	v_add_u32_e32 v1, 0x200, v1
	s_and_b64 vcc, exec, s[0:1]
	v_mov_b32_e32 v6, s26
	s_waitcnt vmcnt(0) lgkmcnt(0)
	v_mul_f32_e64 v12, v5, -v8
	v_mul_f32_e32 v13, v5, v7
	v_fmac_f32_e32 v12, v7, v4
	v_fmac_f32_e32 v13, v8, v4
	v_mov_b32_e32 v4, s16
	ds_write_b64 v11, v[12:13] offset:2048
	s_cbranch_vccnz .LBB24_110
; %bb.107:
	s_mov_b64 s[10:11], 0
	v_mov_b32_e32 v6, s26
	v_mov_b32_e32 v4, s16
	;; [unrolled: 1-line block ×3, first 2 shown]
.LBB24_108:                             ; =>This Inner Loop Header: Depth=1
	v_add_u32_e32 v7, v4, v6
	v_lshrrev_b32_e32 v8, 31, v7
	v_add_u32_e32 v7, v7, v8
	v_ashrrev_i32_e32 v7, 1, v7
	v_ashrrev_i32_e32 v8, 31, v7
	v_lshlrev_b64 v[12:13], 2, v[7:8]
	v_add_co_u32_e32 v12, vcc, s12, v12
	v_addc_co_u32_e32 v13, vcc, v5, v13, vcc
	global_load_dword v8, v[12:13], off
	s_waitcnt vmcnt(0)
	v_subrev_u32_e32 v8, s28, v8
	v_cmp_lt_i32_e32 vcc, v1, v8
	v_cndmask_b32_e32 v4, v4, v7, vcc
	v_cndmask_b32_e32 v6, v7, v6, vcc
	v_add_u32_e32 v7, -1, v4
	v_cmp_ge_i32_e32 vcc, v6, v4
	v_cmp_eq_u32_e64 s[2:3], v6, v7
	s_or_b64 s[2:3], vcc, s[2:3]
	s_and_b64 s[2:3], exec, s[2:3]
	s_or_b64 s[10:11], s[2:3], s[10:11]
	s_andn2_b64 exec, exec, s[10:11]
	s_cbranch_execnz .LBB24_108
; %bb.109:
	s_or_b64 exec, exec, s[10:11]
.LBB24_110:
	v_ashrrev_i32_e32 v5, 31, v4
	v_lshlrev_b64 v[7:8], 2, v[4:5]
	v_mov_b32_e32 v5, s13
	v_add_co_u32_e32 v7, vcc, s12, v7
	v_addc_co_u32_e32 v8, vcc, v5, v8, vcc
	global_load_dword v5, v[7:8], off
	global_load_dword v10, v[2:3], off offset:2048
	s_waitcnt vmcnt(1)
	v_subrev_u32_e32 v5, s28, v5
	v_cmp_lt_i32_e32 vcc, v1, v5
	v_cndmask_b32_e32 v5, v4, v6, vcc
	s_waitcnt vmcnt(0)
	v_subrev_u32_e32 v4, s28, v10
	v_cmp_ne_u32_e32 vcc, v4, v5
	s_and_saveexec_b64 s[10:11], vcc
	s_cbranch_execz .LBB24_120
; %bb.111:
	s_load_dword s2, s[8:9], 0x0
	s_waitcnt lgkmcnt(0)
	s_sub_i32 s2, s2, s28
	v_cmp_gt_i32_e32 vcc, s2, v1
	s_and_b64 exec, exec, vcc
	s_cbranch_execz .LBB24_120
; %bb.112:
	v_ashrrev_i32_e32 v6, 31, v5
	v_lshlrev_b64 v[5:6], 3, v[5:6]
	v_mov_b32_e32 v1, s19
	v_add_co_u32_e32 v5, vcc, s18, v5
	v_addc_co_u32_e32 v6, vcc, v1, v6, vcc
	global_load_dwordx2 v[5:6], v[5:6], off
	ds_read_b64 v[7:8], v11 offset:4096
	v_cmp_gt_i32_e32 vcc, s31, v4
	v_cmp_le_i32_e64 s[2:3], s27, v4
	s_or_b64 s[2:3], vcc, s[2:3]
	s_waitcnt vmcnt(0) lgkmcnt(0)
	v_mul_f32_e64 v10, v6, -v8
	v_mul_f32_e32 v1, v6, v7
	v_fmac_f32_e32 v10, v7, v5
	v_fmac_f32_e32 v1, v8, v5
	s_and_saveexec_b64 s[14:15], s[2:3]
	s_xor_b64 s[2:3], exec, s[14:15]
	s_cbranch_execz .LBB24_118
; %bb.113:
	v_ashrrev_i32_e32 v5, 31, v4
	v_lshlrev_b64 v[5:6], 3, v[4:5]
	v_mov_b32_e32 v7, s25
	v_add_co_u32_e32 v5, vcc, s24, v5
	v_addc_co_u32_e32 v6, vcc, v7, v6, vcc
	global_load_dword v8, v[5:6], off
	s_mov_b64 s[14:15], 0
.LBB24_114:                             ; =>This Inner Loop Header: Depth=1
	s_waitcnt vmcnt(0)
	v_add_f32_e32 v7, v8, v10
	global_atomic_cmpswap v7, v[5:6], v[7:8], off glc
	s_waitcnt vmcnt(0)
	v_cmp_eq_u32_e32 vcc, v7, v8
	s_or_b64 s[14:15], vcc, s[14:15]
	v_mov_b32_e32 v8, v7
	s_andn2_b64 exec, exec, s[14:15]
	s_cbranch_execnz .LBB24_114
; %bb.115:
	s_or_b64 exec, exec, s[14:15]
	global_load_dword v8, v[5:6], off offset:4
	s_mov_b64 s[14:15], 0
.LBB24_116:                             ; =>This Inner Loop Header: Depth=1
	s_waitcnt vmcnt(0)
	v_add_f32_e32 v7, v8, v1
	global_atomic_cmpswap v7, v[5:6], v[7:8], off offset:4 glc
	s_waitcnt vmcnt(0)
	v_cmp_eq_u32_e32 vcc, v7, v8
	s_or_b64 s[14:15], vcc, s[14:15]
	v_mov_b32_e32 v8, v7
	s_andn2_b64 exec, exec, s[14:15]
	s_cbranch_execnz .LBB24_116
; %bb.117:
	s_or_b64 exec, exec, s[14:15]
                                        ; implicit-def: $vgpr10
                                        ; implicit-def: $vgpr1
.LBB24_118:
	s_andn2_saveexec_b64 s[2:3], s[2:3]
	s_cbranch_execz .LBB24_120
; %bb.119:
	v_subrev_u32_e32 v5, s31, v4
	v_mov_b32_e32 v6, 0x2000
	v_lshl_add_u32 v5, v5, 3, v6
	ds_add_f32 v5, v10
	ds_add_f32 v5, v1 offset:4
.LBB24_120:
	s_or_b64 exec, exec, s[10:11]
	v_ashrrev_i32_e32 v5, 31, v4
	v_lshlrev_b64 v[4:5], 3, v[4:5]
	v_mov_b32_e32 v1, s19
	v_add_co_u32_e32 v4, vcc, s18, v4
	v_addc_co_u32_e32 v5, vcc, v1, v5, vcc
	global_load_dwordx2 v[4:5], v[4:5], off
	ds_read_b64 v[6:7], v11 offset:4096
	s_and_b64 vcc, exec, s[0:1]
	v_mov_b32_e32 v1, s26
	s_waitcnt vmcnt(0) lgkmcnt(0)
	v_mul_f32_e64 v12, v5, -v7
	v_mul_f32_e32 v13, v5, v6
	v_fmac_f32_e32 v12, v6, v4
	v_fmac_f32_e32 v13, v7, v4
	v_mov_b32_e32 v4, s16
	ds_write_b64 v11, v[12:13] offset:4096
	s_cbranch_vccnz .LBB24_124
; %bb.121:
	s_mov_b64 s[2:3], 0
	v_mov_b32_e32 v1, s26
	v_mov_b32_e32 v4, s16
	;; [unrolled: 1-line block ×3, first 2 shown]
.LBB24_122:                             ; =>This Inner Loop Header: Depth=1
	v_add_u32_e32 v6, v4, v1
	v_lshrrev_b32_e32 v7, 31, v6
	v_add_u32_e32 v6, v6, v7
	v_ashrrev_i32_e32 v6, 1, v6
	v_ashrrev_i32_e32 v7, 31, v6
	v_lshlrev_b64 v[7:8], 2, v[6:7]
	v_add_co_u32_e32 v7, vcc, s12, v7
	v_addc_co_u32_e32 v8, vcc, v5, v8, vcc
	global_load_dword v7, v[7:8], off
	s_waitcnt vmcnt(0)
	v_subrev_u32_e32 v7, s28, v7
	v_cmp_lt_i32_e32 vcc, v9, v7
	v_cndmask_b32_e32 v4, v4, v6, vcc
	v_cndmask_b32_e32 v1, v6, v1, vcc
	v_add_u32_e32 v6, -1, v4
	v_cmp_ge_i32_e32 vcc, v1, v4
	v_cmp_eq_u32_e64 s[0:1], v1, v6
	s_or_b64 s[0:1], vcc, s[0:1]
	s_and_b64 s[0:1], exec, s[0:1]
	s_or_b64 s[2:3], s[0:1], s[2:3]
	s_andn2_b64 exec, exec, s[2:3]
	s_cbranch_execnz .LBB24_122
; %bb.123:
	s_or_b64 exec, exec, s[2:3]
.LBB24_124:
	v_ashrrev_i32_e32 v5, 31, v4
	v_lshlrev_b64 v[5:6], 2, v[4:5]
	v_mov_b32_e32 v7, s13
	v_add_co_u32_e32 v5, vcc, s12, v5
	v_addc_co_u32_e32 v6, vcc, v7, v6, vcc
	global_load_dword v7, v[5:6], off
	global_load_dword v8, v[2:3], off offset:3072
	s_waitcnt vmcnt(1)
	v_subrev_u32_e32 v2, s28, v7
	v_cmp_lt_i32_e32 vcc, v9, v2
	v_cndmask_b32_e32 v2, v4, v1, vcc
	s_waitcnt vmcnt(0)
	v_subrev_u32_e32 v1, s28, v8
	v_cmp_ne_u32_e32 vcc, v1, v2
	s_and_saveexec_b64 s[2:3], vcc
	s_cbranch_execz .LBB24_134
; %bb.125:
	s_load_dword s0, s[8:9], 0x0
	s_waitcnt lgkmcnt(0)
	s_sub_i32 s0, s0, s28
	v_cmp_gt_i32_e32 vcc, s0, v9
	s_and_b64 exec, exec, vcc
	s_cbranch_execz .LBB24_134
; %bb.126:
	v_ashrrev_i32_e32 v3, 31, v2
	v_lshlrev_b64 v[2:3], 3, v[2:3]
	v_mov_b32_e32 v4, s19
	v_add_co_u32_e32 v2, vcc, s18, v2
	v_addc_co_u32_e32 v3, vcc, v4, v3, vcc
	global_load_dwordx2 v[2:3], v[2:3], off
	ds_read_b64 v[4:5], v11 offset:6144
	v_cmp_gt_i32_e32 vcc, s31, v1
	v_cmp_le_i32_e64 s[0:1], s27, v1
	s_or_b64 s[0:1], vcc, s[0:1]
	s_waitcnt vmcnt(0) lgkmcnt(0)
	v_mul_f32_e64 v7, v3, -v5
	v_mul_f32_e32 v6, v3, v4
	v_fmac_f32_e32 v7, v4, v2
	v_fmac_f32_e32 v6, v5, v2
	s_and_saveexec_b64 s[8:9], s[0:1]
	s_xor_b64 s[0:1], exec, s[8:9]
	s_cbranch_execz .LBB24_132
; %bb.127:
	v_ashrrev_i32_e32 v2, 31, v1
	v_lshlrev_b64 v[2:3], 3, v[1:2]
	v_mov_b32_e32 v4, s25
	v_add_co_u32_e32 v2, vcc, s24, v2
	v_addc_co_u32_e32 v3, vcc, v4, v3, vcc
	global_load_dword v5, v[2:3], off
	s_mov_b64 s[8:9], 0
.LBB24_128:                             ; =>This Inner Loop Header: Depth=1
	s_waitcnt vmcnt(0)
	v_add_f32_e32 v4, v5, v7
	global_atomic_cmpswap v4, v[2:3], v[4:5], off glc
	s_waitcnt vmcnt(0)
	v_cmp_eq_u32_e32 vcc, v4, v5
	s_or_b64 s[8:9], vcc, s[8:9]
	v_mov_b32_e32 v5, v4
	s_andn2_b64 exec, exec, s[8:9]
	s_cbranch_execnz .LBB24_128
; %bb.129:
	s_or_b64 exec, exec, s[8:9]
	global_load_dword v5, v[2:3], off offset:4
	s_mov_b64 s[8:9], 0
.LBB24_130:                             ; =>This Inner Loop Header: Depth=1
	s_waitcnt vmcnt(0)
	v_add_f32_e32 v4, v5, v6
	global_atomic_cmpswap v4, v[2:3], v[4:5], off offset:4 glc
	s_waitcnt vmcnt(0)
	v_cmp_eq_u32_e32 vcc, v4, v5
	s_or_b64 s[8:9], vcc, s[8:9]
	v_mov_b32_e32 v5, v4
	s_andn2_b64 exec, exec, s[8:9]
	s_cbranch_execnz .LBB24_130
; %bb.131:
	s_or_b64 exec, exec, s[8:9]
                                        ; implicit-def: $vgpr7
                                        ; implicit-def: $vgpr6
.LBB24_132:
	s_andn2_saveexec_b64 s[0:1], s[0:1]
	s_cbranch_execz .LBB24_134
; %bb.133:
	v_subrev_u32_e32 v2, s31, v1
	v_mov_b32_e32 v3, 0x2000
	v_lshl_add_u32 v2, v2, 3, v3
	ds_add_f32 v2, v7
	ds_add_f32 v2, v6 offset:4
.LBB24_134:
	s_or_b64 exec, exec, s[2:3]
	v_ashrrev_i32_e32 v2, 31, v1
	v_lshlrev_b64 v[1:2], 3, v[1:2]
	v_mov_b32_e32 v3, s19
	v_add_co_u32_e32 v1, vcc, s18, v1
	v_addc_co_u32_e32 v2, vcc, v3, v2, vcc
	global_load_dwordx2 v[1:2], v[1:2], off
	ds_read_b64 v[3:4], v11 offset:6144
	s_waitcnt vmcnt(0) lgkmcnt(0)
	v_mul_f32_e64 v5, v2, -v4
	v_mul_f32_e32 v6, v2, v3
	v_fmac_f32_e32 v5, v3, v1
	v_fmac_f32_e32 v6, v4, v1
	ds_write_b64 v11, v[5:6] offset:6144
.LBB24_135:
	s_or_b64 exec, exec, s[4:5]
	s_min_i32 s8, s27, s22
	s_sub_i32 s10, s8, s23
	v_cmp_gt_i32_e32 vcc, s10, v0
	s_waitcnt lgkmcnt(0)
	s_barrier
	s_and_saveexec_b64 s[0:1], vcc
	s_cbranch_execz .LBB24_142
; %bb.136:
	s_mov_b64 s[2:3], 0
	v_mov_b32_e32 v7, s25
	v_mov_b32_e32 v8, 0x2000
	;; [unrolled: 1-line block ×3, first 2 shown]
.LBB24_137:                             ; =>This Loop Header: Depth=1
                                        ;     Child Loop BB24_138 Depth 2
                                        ;     Child Loop BB24_140 Depth 2
	v_add_u32_e32 v1, s31, v9
	v_ashrrev_i32_e32 v2, 31, v1
	v_lshlrev_b64 v[1:2], 3, v[1:2]
	v_lshl_add_u32 v3, v9, 3, v8
	v_add_co_u32_e32 v1, vcc, s24, v1
	v_addc_co_u32_e32 v2, vcc, v7, v2, vcc
	global_load_dword v6, v[1:2], off
	ds_read2_b32 v[3:4], v3 offset1:1
	s_mov_b64 s[4:5], 0
.LBB24_138:                             ;   Parent Loop BB24_137 Depth=1
                                        ; =>  This Inner Loop Header: Depth=2
	s_waitcnt vmcnt(0) lgkmcnt(0)
	v_add_f32_e32 v5, v6, v3
	global_atomic_cmpswap v5, v[1:2], v[5:6], off glc
	s_waitcnt vmcnt(0)
	v_cmp_eq_u32_e32 vcc, v5, v6
	s_or_b64 s[4:5], vcc, s[4:5]
	v_mov_b32_e32 v6, v5
	s_andn2_b64 exec, exec, s[4:5]
	s_cbranch_execnz .LBB24_138
; %bb.139:                              ;   in Loop: Header=BB24_137 Depth=1
	s_or_b64 exec, exec, s[4:5]
	global_load_dword v6, v[1:2], off offset:4
	s_mov_b64 s[4:5], 0
.LBB24_140:                             ;   Parent Loop BB24_137 Depth=1
                                        ; =>  This Inner Loop Header: Depth=2
	s_waitcnt vmcnt(0)
	v_add_f32_e32 v5, v6, v4
	global_atomic_cmpswap v3, v[1:2], v[5:6], off offset:4 glc
	s_waitcnt vmcnt(0)
	v_cmp_eq_u32_e32 vcc, v3, v6
	s_or_b64 s[4:5], vcc, s[4:5]
	v_mov_b32_e32 v6, v3
	s_andn2_b64 exec, exec, s[4:5]
	s_cbranch_execnz .LBB24_140
; %bb.141:                              ;   in Loop: Header=BB24_137 Depth=1
	s_or_b64 exec, exec, s[4:5]
	v_add_u32_e32 v9, 0x100, v9
	v_cmp_le_i32_e32 vcc, s10, v9
	s_or_b64 s[2:3], vcc, s[2:3]
	s_andn2_b64 exec, exec, s[2:3]
	s_cbranch_execnz .LBB24_137
.LBB24_142:
	s_or_b64 exec, exec, s[0:1]
	s_mul_i32 s0, s30, s23
	s_sub_i32 s0, s33, s0
	s_add_i32 s1, s30, 1
	s_sub_i32 s2, s0, s23
	s_cmp_ge_u32 s0, s23
	s_cselect_b32 s1, s1, s30
	s_cselect_b32 s0, s2, s0
	s_add_i32 s2, s1, 1
	s_cmp_ge_u32 s0, s23
	s_cselect_b32 s0, s2, s1
	s_add_i32 s0, s0, -1
	s_ashr_i32 s1, s0, 1
	s_or_b32 s0, s1, s0
	s_ashr_i32 s1, s0, 2
	s_or_b32 s0, s1, s0
	;; [unrolled: 2-line block ×5, first 2 shown]
	s_add_i32 s0, s0, 1
	s_ashr_i32 s11, s0, 1
	v_add_u32_e32 v1, s26, v0
	s_cmp_gt_i32 s11, 1
	s_mov_b64 s[0:1], -1
	s_barrier
	s_cbranch_scc1 .LBB24_155
; %bb.143:
	v_cmp_gt_i32_e32 vcc, s27, v1
	s_and_saveexec_b64 s[0:1], vcc
	s_cbranch_execz .LBB24_154
; %bb.144:
	s_sub_i32 s2, s8, s27
	s_lshl_b32 s2, s2, 3
	s_add_i32 s14, s2, 0x2000
	s_lshl_b32 s2, s29, 3
	s_sub_i32 s15, 0, s2
	s_mov_b64 s[2:3], 0
	v_mov_b32_e32 v9, s13
	v_mov_b32_e32 v10, s25
	;; [unrolled: 1-line block ×3, first 2 shown]
.LBB24_145:                             ; =>This Loop Header: Depth=1
                                        ;     Child Loop BB24_147 Depth 2
                                        ;     Child Loop BB24_150 Depth 2
                                        ;     Child Loop BB24_152 Depth 2
	v_ashrrev_i32_e32 v3, 31, v2
	v_lshlrev_b64 v[4:5], 2, v[2:3]
	v_mov_b32_e32 v12, 0
	v_add_co_u32_e32 v4, vcc, s12, v4
	v_addc_co_u32_e32 v5, vcc, v9, v5, vcc
	global_load_dwordx2 v[4:5], v[4:5], off
	v_mov_b32_e32 v7, 0
	s_waitcnt vmcnt(0)
	v_cmp_lt_i32_e32 vcc, v4, v5
	s_and_saveexec_b64 s[4:5], vcc
	s_cbranch_execz .LBB24_149
; %bb.146:                              ;   in Loop: Header=BB24_145 Depth=1
	v_subrev_u32_e32 v5, s29, v5
	v_subrev_u32_e32 v6, s29, v4
	v_lshl_add_u32 v4, v4, 3, s15
	v_mov_b32_e32 v12, 0
	s_mov_b64 s[8:9], 0
	v_mov_b32_e32 v7, 0
.LBB24_147:                             ;   Parent Loop BB24_145 Depth=1
                                        ; =>  This Inner Loop Header: Depth=2
	ds_read_b64 v[13:14], v4
	v_add_u32_e32 v6, 1, v6
	v_cmp_ge_i32_e32 vcc, v6, v5
	v_add_u32_e32 v4, 8, v4
	s_or_b64 s[8:9], vcc, s[8:9]
	s_waitcnt lgkmcnt(0)
	v_add_f32_e32 v7, v7, v13
	v_add_f32_e32 v12, v12, v14
	s_andn2_b64 exec, exec, s[8:9]
	s_cbranch_execnz .LBB24_147
; %bb.148:                              ;   in Loop: Header=BB24_145 Depth=1
	s_or_b64 exec, exec, s[8:9]
.LBB24_149:                             ;   in Loop: Header=BB24_145 Depth=1
	s_or_b64 exec, exec, s[4:5]
	v_lshlrev_b64 v[3:4], 3, v[2:3]
	v_lshl_add_u32 v5, v2, 3, s14
	v_add_co_u32_e32 v3, vcc, s24, v3
	v_addc_co_u32_e32 v4, vcc, v10, v4, vcc
	global_load_dword v8, v[3:4], off
	ds_read2_b32 v[5:6], v5 offset1:1
	s_mov_b64 s[4:5], 0
	s_waitcnt lgkmcnt(0)
	v_add_f32_e32 v5, v7, v5
.LBB24_150:                             ;   Parent Loop BB24_145 Depth=1
                                        ; =>  This Inner Loop Header: Depth=2
	s_waitcnt vmcnt(0)
	v_add_f32_e32 v7, v8, v5
	global_atomic_cmpswap v7, v[3:4], v[7:8], off glc
	s_waitcnt vmcnt(0)
	v_cmp_eq_u32_e32 vcc, v7, v8
	s_or_b64 s[4:5], vcc, s[4:5]
	v_mov_b32_e32 v8, v7
	s_andn2_b64 exec, exec, s[4:5]
	s_cbranch_execnz .LBB24_150
; %bb.151:                              ;   in Loop: Header=BB24_145 Depth=1
	s_or_b64 exec, exec, s[4:5]
	global_load_dword v7, v[3:4], off offset:4
	v_add_f32_e32 v5, v12, v6
	s_mov_b64 s[4:5], 0
.LBB24_152:                             ;   Parent Loop BB24_145 Depth=1
                                        ; =>  This Inner Loop Header: Depth=2
	s_waitcnt vmcnt(0)
	v_add_f32_e32 v6, v7, v5
	global_atomic_cmpswap v6, v[3:4], v[6:7], off offset:4 glc
	s_waitcnt vmcnt(0)
	v_cmp_eq_u32_e32 vcc, v6, v7
	s_or_b64 s[4:5], vcc, s[4:5]
	v_mov_b32_e32 v7, v6
	s_andn2_b64 exec, exec, s[4:5]
	s_cbranch_execnz .LBB24_152
; %bb.153:                              ;   in Loop: Header=BB24_145 Depth=1
	s_or_b64 exec, exec, s[4:5]
	v_add_u32_e32 v2, s33, v2
	v_cmp_le_i32_e32 vcc, s27, v2
	s_or_b64 s[2:3], vcc, s[2:3]
	s_andn2_b64 exec, exec, s[2:3]
	s_cbranch_execnz .LBB24_145
.LBB24_154:
	s_or_b64 exec, exec, s[0:1]
	s_mov_b64 s[0:1], 0
.LBB24_155:
	s_andn2_b64 vcc, exec, s[0:1]
	s_cbranch_vccnz .LBB24_171
; %bb.156:
	v_cvt_f32_u32_e32 v2, s11
	s_sub_i32 s0, 0, s11
	v_rcp_iflag_f32_e32 v2, v2
	v_mul_f32_e32 v2, 0x4f7ffffe, v2
	v_cvt_u32_f32_e32 v2, v2
	v_mul_lo_u32 v3, s0, v2
	v_mul_hi_u32 v3, v2, v3
	v_add_u32_e32 v2, v2, v3
	v_mul_hi_u32 v2, v0, v2
	v_mul_lo_u32 v3, v2, s11
	v_add_u32_e32 v4, 1, v2
	v_sub_u32_e32 v3, v0, v3
	v_cmp_le_u32_e32 vcc, s11, v3
	v_cndmask_b32_e32 v2, v2, v4, vcc
	v_subrev_u32_e32 v4, s11, v3
	v_cndmask_b32_e32 v3, v3, v4, vcc
	v_add_u32_e32 v4, 1, v2
	v_cmp_le_u32_e32 vcc, s11, v3
	v_cndmask_b32_e32 v2, v2, v4, vcc
	v_lshlrev_b32_e32 v3, 2, v2
	global_load_dwordx2 v[4:5], v3, s[6:7]
	v_cmp_gt_i32_e32 vcc, s23, v2
	v_mov_b32_e32 v3, 0
	v_mov_b32_e32 v2, 0
	s_and_saveexec_b64 s[0:1], vcc
	s_cbranch_execz .LBB24_164
; %bb.157:
	s_abs_i32 s4, s11
	v_cvt_f32_u32_e32 v2, s4
	s_sub_i32 s2, 0, s4
	s_waitcnt vmcnt(0)
	v_subrev_u32_e32 v4, s29, v4
	v_subrev_u32_e32 v6, s29, v5
	v_rcp_iflag_f32_e32 v2, v2
	v_sub_u32_e32 v5, v6, v4
	v_sub_u32_e32 v7, 0, v5
	v_max_i32_e32 v10, v5, v7
	v_mul_f32_e32 v2, 0x4f7ffffe, v2
	v_cvt_u32_f32_e32 v2, v2
	s_ashr_i32 s5, s11, 31
	s_add_i32 s6, s11, -1
	v_mul_lo_u32 v3, s2, v2
	v_mul_hi_u32 v3, v2, v3
	v_add_u32_e32 v2, v2, v3
	v_mad_u64_u32 v[8:9], s[2:3], v10, v2, 0
	v_ashrrev_i32_e32 v2, 31, v5
	v_xor_b32_e32 v2, s5, v2
	v_mul_lo_u32 v5, v9, s4
	v_add_u32_e32 v12, 1, v9
	v_and_b32_e32 v8, s6, v0
	v_mov_b32_e32 v3, 0
	v_sub_u32_e32 v5, v10, v5
	v_cmp_le_u32_e32 vcc, s4, v5
	v_subrev_u32_e32 v10, s4, v5
	v_cndmask_b32_e32 v9, v9, v12, vcc
	v_cndmask_b32_e32 v5, v5, v10, vcc
	v_add_u32_e32 v10, 1, v9
	v_cmp_le_u32_e32 vcc, s4, v5
	v_cndmask_b32_e32 v5, v9, v10, vcc
	v_xor_b32_e32 v5, v5, v2
	v_sub_u32_e32 v5, v5, v2
	v_lshlrev_b32_e32 v7, 3, v8
	v_cmp_lt_i32_e32 vcc, 0, v5
	v_mov_b32_e32 v2, 0
	s_and_saveexec_b64 s[2:3], vcc
	s_cbranch_execz .LBB24_161
; %bb.158:
	v_mov_b32_e32 v3, 0
	v_lshl_add_u32 v9, v4, 3, v7
	s_lshl_b32 s6, s11, 3
	s_mov_b64 s[4:5], 0
	v_mov_b32_e32 v10, v5
	v_mov_b32_e32 v2, v3
.LBB24_159:                             ; =>This Inner Loop Header: Depth=1
	ds_read_b64 v[12:13], v9
	v_add_u32_e32 v10, -1, v10
	v_cmp_eq_u32_e32 vcc, 0, v10
	v_add_u32_e32 v9, s6, v9
	s_or_b64 s[4:5], vcc, s[4:5]
	s_waitcnt lgkmcnt(0)
	v_add_f32_e32 v2, v2, v12
	v_add_f32_e32 v3, v3, v13
	s_andn2_b64 exec, exec, s[4:5]
	s_cbranch_execnz .LBB24_159
; %bb.160:
	s_or_b64 exec, exec, s[4:5]
.LBB24_161:
	s_or_b64 exec, exec, s[2:3]
	v_mad_u64_u32 v[4:5], s[2:3], v5, s11, v[4:5]
	v_sub_u32_e32 v5, v6, v4
	v_cmp_lt_i32_e32 vcc, v8, v5
	s_and_saveexec_b64 s[2:3], vcc
	s_cbranch_execz .LBB24_163
; %bb.162:
	v_lshl_add_u32 v4, v4, 3, v7
	ds_read_b64 v[4:5], v4
	s_waitcnt lgkmcnt(0)
	v_add_f32_e32 v2, v2, v4
	v_add_f32_e32 v3, v3, v5
.LBB24_163:
	s_or_b64 exec, exec, s[2:3]
.LBB24_164:
	s_or_b64 exec, exec, s[0:1]
	v_cmp_gt_i32_e32 vcc, s23, v0
	s_waitcnt vmcnt(0)
	s_barrier
	ds_write_b64 v11, v[2:3]
	s_waitcnt lgkmcnt(0)
	s_barrier
	s_and_b64 exec, exec, vcc
	s_cbranch_execz .LBB24_171
; %bb.165:
	v_mul_lo_u32 v2, s11, v0
	v_mov_b32_e32 v7, 0
	v_mov_b32_e32 v5, 0
	v_lshlrev_b32_e32 v2, 3, v2
.LBB24_166:                             ; =>This Inner Loop Header: Depth=1
	ds_read_b64 v[3:4], v2
	s_add_i32 s11, s11, -1
	v_add_u32_e32 v2, 8, v2
	s_cmp_eq_u32 s11, 0
	s_waitcnt lgkmcnt(0)
	v_add_f32_e32 v5, v5, v3
	v_add_f32_e32 v7, v7, v4
	s_cbranch_scc0 .LBB24_166
; %bb.167:
	v_ashrrev_i32_e32 v2, 31, v1
	v_lshlrev_b64 v[1:2], 3, v[1:2]
	v_mov_b32_e32 v3, s25
	v_add_co_u32_e32 v1, vcc, s24, v1
	v_addc_co_u32_e32 v2, vcc, v3, v2, vcc
	global_load_dword v6, v[1:2], off
	s_lshl_b32 s0, s10, 3
	s_addk_i32 s0, 0x2000
	v_lshl_add_u32 v0, v0, 3, s0
	ds_read2_b32 v[3:4], v0 offset1:1
	s_mov_b64 s[0:1], 0
	s_waitcnt lgkmcnt(0)
	v_add_f32_e32 v0, v5, v3
.LBB24_168:                             ; =>This Inner Loop Header: Depth=1
	s_waitcnt vmcnt(0)
	v_add_f32_e32 v5, v6, v0
	global_atomic_cmpswap v3, v[1:2], v[5:6], off glc
	s_waitcnt vmcnt(0)
	v_cmp_eq_u32_e32 vcc, v3, v6
	s_or_b64 s[0:1], vcc, s[0:1]
	v_mov_b32_e32 v6, v3
	s_andn2_b64 exec, exec, s[0:1]
	s_cbranch_execnz .LBB24_168
; %bb.169:
	s_or_b64 exec, exec, s[0:1]
	global_load_dword v5, v[1:2], off offset:4
	v_add_f32_e32 v0, v7, v4
	s_mov_b64 s[0:1], 0
.LBB24_170:                             ; =>This Inner Loop Header: Depth=1
	s_waitcnt vmcnt(0)
	v_add_f32_e32 v4, v5, v0
	global_atomic_cmpswap v3, v[1:2], v[4:5], off offset:4 glc
	s_waitcnt vmcnt(0)
	v_cmp_eq_u32_e32 vcc, v3, v5
	s_or_b64 s[0:1], vcc, s[0:1]
	v_mov_b32_e32 v5, v3
	s_andn2_b64 exec, exec, s[0:1]
	s_cbranch_execnz .LBB24_170
.LBB24_171:
	s_endpgm
	.section	.rodata,"a",@progbits
	.p2align	6, 0x0
	.amdhsa_kernel _ZN9rocsparseL27csrmvn_symm_adaptive_kernelIii21rocsparse_complex_numIfES2_S2_S2_EEvbT_S3_PKS3_NS_24const_host_device_scalarIT4_EES5_PKT0_PKT1_PKT2_S8_PT3_21rocsparse_index_base_b
		.amdhsa_group_segment_fixed_size 8192
		.amdhsa_private_segment_fixed_size 0
		.amdhsa_kernarg_size 344
		.amdhsa_user_sgpr_count 6
		.amdhsa_user_sgpr_private_segment_buffer 1
		.amdhsa_user_sgpr_dispatch_ptr 0
		.amdhsa_user_sgpr_queue_ptr 0
		.amdhsa_user_sgpr_kernarg_segment_ptr 1
		.amdhsa_user_sgpr_dispatch_id 0
		.amdhsa_user_sgpr_flat_scratch_init 0
		.amdhsa_user_sgpr_private_segment_size 0
		.amdhsa_uses_dynamic_stack 0
		.amdhsa_system_sgpr_private_segment_wavefront_offset 0
		.amdhsa_system_sgpr_workgroup_id_x 1
		.amdhsa_system_sgpr_workgroup_id_y 0
		.amdhsa_system_sgpr_workgroup_id_z 0
		.amdhsa_system_sgpr_workgroup_info 0
		.amdhsa_system_vgpr_workitem_id 0
		.amdhsa_next_free_vgpr 29
		.amdhsa_next_free_sgpr 61
		.amdhsa_reserve_vcc 1
		.amdhsa_reserve_flat_scratch 0
		.amdhsa_float_round_mode_32 0
		.amdhsa_float_round_mode_16_64 0
		.amdhsa_float_denorm_mode_32 3
		.amdhsa_float_denorm_mode_16_64 3
		.amdhsa_dx10_clamp 1
		.amdhsa_ieee_mode 1
		.amdhsa_fp16_overflow 0
		.amdhsa_exception_fp_ieee_invalid_op 0
		.amdhsa_exception_fp_denorm_src 0
		.amdhsa_exception_fp_ieee_div_zero 0
		.amdhsa_exception_fp_ieee_overflow 0
		.amdhsa_exception_fp_ieee_underflow 0
		.amdhsa_exception_fp_ieee_inexact 0
		.amdhsa_exception_int_div_zero 0
	.end_amdhsa_kernel
	.section	.text._ZN9rocsparseL27csrmvn_symm_adaptive_kernelIii21rocsparse_complex_numIfES2_S2_S2_EEvbT_S3_PKS3_NS_24const_host_device_scalarIT4_EES5_PKT0_PKT1_PKT2_S8_PT3_21rocsparse_index_base_b,"axG",@progbits,_ZN9rocsparseL27csrmvn_symm_adaptive_kernelIii21rocsparse_complex_numIfES2_S2_S2_EEvbT_S3_PKS3_NS_24const_host_device_scalarIT4_EES5_PKT0_PKT1_PKT2_S8_PT3_21rocsparse_index_base_b,comdat
.Lfunc_end24:
	.size	_ZN9rocsparseL27csrmvn_symm_adaptive_kernelIii21rocsparse_complex_numIfES2_S2_S2_EEvbT_S3_PKS3_NS_24const_host_device_scalarIT4_EES5_PKT0_PKT1_PKT2_S8_PT3_21rocsparse_index_base_b, .Lfunc_end24-_ZN9rocsparseL27csrmvn_symm_adaptive_kernelIii21rocsparse_complex_numIfES2_S2_S2_EEvbT_S3_PKS3_NS_24const_host_device_scalarIT4_EES5_PKT0_PKT1_PKT2_S8_PT3_21rocsparse_index_base_b
                                        ; -- End function
	.set _ZN9rocsparseL27csrmvn_symm_adaptive_kernelIii21rocsparse_complex_numIfES2_S2_S2_EEvbT_S3_PKS3_NS_24const_host_device_scalarIT4_EES5_PKT0_PKT1_PKT2_S8_PT3_21rocsparse_index_base_b.num_vgpr, 20
	.set _ZN9rocsparseL27csrmvn_symm_adaptive_kernelIii21rocsparse_complex_numIfES2_S2_S2_EEvbT_S3_PKS3_NS_24const_host_device_scalarIT4_EES5_PKT0_PKT1_PKT2_S8_PT3_21rocsparse_index_base_b.num_agpr, 0
	.set _ZN9rocsparseL27csrmvn_symm_adaptive_kernelIii21rocsparse_complex_numIfES2_S2_S2_EEvbT_S3_PKS3_NS_24const_host_device_scalarIT4_EES5_PKT0_PKT1_PKT2_S8_PT3_21rocsparse_index_base_b.numbered_sgpr, 42
	.set _ZN9rocsparseL27csrmvn_symm_adaptive_kernelIii21rocsparse_complex_numIfES2_S2_S2_EEvbT_S3_PKS3_NS_24const_host_device_scalarIT4_EES5_PKT0_PKT1_PKT2_S8_PT3_21rocsparse_index_base_b.num_named_barrier, 0
	.set _ZN9rocsparseL27csrmvn_symm_adaptive_kernelIii21rocsparse_complex_numIfES2_S2_S2_EEvbT_S3_PKS3_NS_24const_host_device_scalarIT4_EES5_PKT0_PKT1_PKT2_S8_PT3_21rocsparse_index_base_b.private_seg_size, 0
	.set _ZN9rocsparseL27csrmvn_symm_adaptive_kernelIii21rocsparse_complex_numIfES2_S2_S2_EEvbT_S3_PKS3_NS_24const_host_device_scalarIT4_EES5_PKT0_PKT1_PKT2_S8_PT3_21rocsparse_index_base_b.uses_vcc, 1
	.set _ZN9rocsparseL27csrmvn_symm_adaptive_kernelIii21rocsparse_complex_numIfES2_S2_S2_EEvbT_S3_PKS3_NS_24const_host_device_scalarIT4_EES5_PKT0_PKT1_PKT2_S8_PT3_21rocsparse_index_base_b.uses_flat_scratch, 0
	.set _ZN9rocsparseL27csrmvn_symm_adaptive_kernelIii21rocsparse_complex_numIfES2_S2_S2_EEvbT_S3_PKS3_NS_24const_host_device_scalarIT4_EES5_PKT0_PKT1_PKT2_S8_PT3_21rocsparse_index_base_b.has_dyn_sized_stack, 0
	.set _ZN9rocsparseL27csrmvn_symm_adaptive_kernelIii21rocsparse_complex_numIfES2_S2_S2_EEvbT_S3_PKS3_NS_24const_host_device_scalarIT4_EES5_PKT0_PKT1_PKT2_S8_PT3_21rocsparse_index_base_b.has_recursion, 0
	.set _ZN9rocsparseL27csrmvn_symm_adaptive_kernelIii21rocsparse_complex_numIfES2_S2_S2_EEvbT_S3_PKS3_NS_24const_host_device_scalarIT4_EES5_PKT0_PKT1_PKT2_S8_PT3_21rocsparse_index_base_b.has_indirect_call, 0
	.section	.AMDGPU.csdata,"",@progbits
; Kernel info:
; codeLenInByte = 7344
; TotalNumSgprs: 46
; NumVgprs: 20
; ScratchSize: 0
; MemoryBound: 0
; FloatMode: 240
; IeeeMode: 1
; LDSByteSize: 8192 bytes/workgroup (compile time only)
; SGPRBlocks: 8
; VGPRBlocks: 7
; NumSGPRsForWavesPerEU: 65
; NumVGPRsForWavesPerEU: 29
; Occupancy: 8
; WaveLimiterHint : 1
; COMPUTE_PGM_RSRC2:SCRATCH_EN: 0
; COMPUTE_PGM_RSRC2:USER_SGPR: 6
; COMPUTE_PGM_RSRC2:TRAP_HANDLER: 0
; COMPUTE_PGM_RSRC2:TGID_X_EN: 1
; COMPUTE_PGM_RSRC2:TGID_Y_EN: 0
; COMPUTE_PGM_RSRC2:TGID_Z_EN: 0
; COMPUTE_PGM_RSRC2:TIDIG_COMP_CNT: 0
	.section	.text._ZL33csrmvn_symm_large_adaptive_kernelIii21rocsparse_complex_numIfES1_S1_S1_EvbT_PKS2_N9rocsparse24const_host_device_scalarIT4_EES4_PKT0_PKT1_PKT2_S8_PT3_21rocsparse_index_base_b,"axG",@progbits,_ZL33csrmvn_symm_large_adaptive_kernelIii21rocsparse_complex_numIfES1_S1_S1_EvbT_PKS2_N9rocsparse24const_host_device_scalarIT4_EES4_PKT0_PKT1_PKT2_S8_PT3_21rocsparse_index_base_b,comdat
	.globl	_ZL33csrmvn_symm_large_adaptive_kernelIii21rocsparse_complex_numIfES1_S1_S1_EvbT_PKS2_N9rocsparse24const_host_device_scalarIT4_EES4_PKT0_PKT1_PKT2_S8_PT3_21rocsparse_index_base_b ; -- Begin function _ZL33csrmvn_symm_large_adaptive_kernelIii21rocsparse_complex_numIfES1_S1_S1_EvbT_PKS2_N9rocsparse24const_host_device_scalarIT4_EES4_PKT0_PKT1_PKT2_S8_PT3_21rocsparse_index_base_b
	.p2align	8
	.type	_ZL33csrmvn_symm_large_adaptive_kernelIii21rocsparse_complex_numIfES1_S1_S1_EvbT_PKS2_N9rocsparse24const_host_device_scalarIT4_EES4_PKT0_PKT1_PKT2_S8_PT3_21rocsparse_index_base_b,@function
_ZL33csrmvn_symm_large_adaptive_kernelIii21rocsparse_complex_numIfES1_S1_S1_EvbT_PKS2_N9rocsparse24const_host_device_scalarIT4_EES4_PKT0_PKT1_PKT2_S8_PT3_21rocsparse_index_base_b: ; @_ZL33csrmvn_symm_large_adaptive_kernelIii21rocsparse_complex_numIfES1_S1_S1_EvbT_PKS2_N9rocsparse24const_host_device_scalarIT4_EES4_PKT0_PKT1_PKT2_S8_PT3_21rocsparse_index_base_b
; %bb.0:
	s_load_dwordx2 s[10:11], s[4:5], 0x48
	s_load_dwordx2 s[0:1], s[4:5], 0x10
	s_add_u32 s7, s4, 16
	s_addc_u32 s12, s5, 0
	s_waitcnt lgkmcnt(0)
	s_bitcmp1_b32 s11, 0
	s_cselect_b64 s[8:9], -1, 0
	s_and_b64 s[2:3], s[8:9], exec
	s_cselect_b32 s1, s12, s1
	s_cselect_b32 s0, s7, s0
	v_mov_b32_e32 v1, s0
	v_mov_b32_e32 v2, s1
	flat_load_dwordx2 v[1:2], v[1:2]
	s_waitcnt vmcnt(0) lgkmcnt(0)
	v_cmp_eq_f32_e32 vcc, 0, v1
	v_cmp_eq_f32_e64 s[0:1], 0, v2
	s_and_b64 s[12:13], vcc, s[0:1]
	s_mov_b64 s[0:1], -1
	s_and_saveexec_b64 s[2:3], s[12:13]
	s_cbranch_execz .LBB25_2
; %bb.1:
	s_load_dwordx2 s[0:1], s[4:5], 0x38
	s_add_u32 s7, s4, 56
	s_addc_u32 s11, s5, 0
	s_and_b64 s[8:9], s[8:9], exec
	s_waitcnt lgkmcnt(0)
	s_cselect_b32 s1, s11, s1
	s_cselect_b32 s0, s7, s0
	v_mov_b32_e32 v3, s0
	v_mov_b32_e32 v4, s1
	flat_load_dwordx2 v[3:4], v[3:4]
	s_waitcnt vmcnt(0) lgkmcnt(0)
	v_cmp_neq_f32_e32 vcc, 1.0, v3
	v_cmp_neq_f32_e64 s[0:1], 0, v4
	s_or_b64 s[0:1], vcc, s[0:1]
	s_orn2_b64 s[0:1], s[0:1], exec
.LBB25_2:
	s_or_b64 exec, exec, s[2:3]
	s_and_saveexec_b64 s[2:3], s[0:1]
	s_cbranch_execz .LBB25_43
; %bb.3:
	s_load_dword s7, s[4:5], 0x0
	s_load_dwordx2 s[0:1], s[4:5], 0x8
	s_mov_b32 s2, 0
	s_mov_b32 s3, s2
	v_mov_b32_e32 v4, s3
	s_waitcnt lgkmcnt(0)
	s_bitcmp1_b32 s7, 0
	s_cselect_b64 s[20:21], -1, 0
	s_ashr_i32 s7, s6, 31
	v_mov_b32_e32 v3, s2
	s_lshl_b64 s[2:3], s[6:7], 2
	s_add_u32 s0, s0, s2
	v_lshlrev_b32_e32 v10, 3, v0
	s_addc_u32 s1, s1, s3
	ds_write2st64_b64 v10, v[3:4], v[3:4] offset1:4
	ds_write2st64_b64 v10, v[3:4], v[3:4] offset0:8 offset1:12
	s_waitcnt lgkmcnt(0)
	s_barrier
	s_load_dwordx2 s[22:23], s[0:1], 0x0
	s_load_dwordx8 s[12:19], s[4:5], 0x18
	s_load_dwordx2 s[24:25], s[4:5], 0x40
	v_subrev_u32_e32 v11, s10, v0
	s_waitcnt lgkmcnt(0)
	s_cmp_ge_i32 s22, s23
	s_cbranch_scc1 .LBB25_31
; %bb.4:
	s_add_u32 s11, s16, 4
	v_cmp_gt_u32_e64 s[0:1], 64, v0
	v_cmp_gt_u32_e64 s[2:3], 16, v0
	v_cmp_gt_u32_e64 s[4:5], 4, v0
	v_cmp_eq_u32_e64 s[6:7], 0, v0
	s_addc_u32 s33, s17, 0
	v_mov_b32_e32 v0, 0
	s_mov_b32 s26, s22
	s_branch .LBB25_6
.LBB25_5:                               ;   in Loop: Header=BB25_6 Depth=1
	s_or_b64 exec, exec, s[8:9]
	s_add_i32 s26, s26, 1
	s_cmp_ge_i32 s26, s23
	s_cbranch_scc1 .LBB25_31
.LBB25_6:                               ; =>This Loop Header: Depth=1
                                        ;     Child Loop BB25_8 Depth 2
                                        ;     Child Loop BB25_20 Depth 2
	;; [unrolled: 1-line block ×5, first 2 shown]
	s_ashr_i32 s27, s26, 31
	s_lshl_b64 s[8:9], s[26:27], 2
	s_add_u32 s8, s12, s8
	s_addc_u32 s9, s13, s9
	s_load_dwordx2 s[28:29], s[8:9], 0x0
	v_mov_b32_e32 v5, 0
	v_mov_b32_e32 v4, 0
	s_waitcnt lgkmcnt(0)
	s_sub_i32 s34, s29, s10
	v_add_u32_e32 v3, s28, v11
	v_cmp_gt_i32_e32 vcc, s34, v3
	s_and_saveexec_b64 s[28:29], vcc
	s_cbranch_execz .LBB25_10
; %bb.7:                                ;   in Loop: Header=BB25_6 Depth=1
	v_ashrrev_i32_e32 v4, 31, v3
	v_lshlrev_b64 v[6:7], 2, v[3:4]
	v_mov_b32_e32 v5, s15
	v_add_co_u32_e32 v6, vcc, s14, v6
	v_addc_co_u32_e32 v7, vcc, v5, v7, vcc
	v_lshlrev_b64 v[4:5], 3, v[3:4]
	v_mov_b32_e32 v9, s33
	v_add_co_u32_e32 v8, vcc, s11, v4
	v_addc_co_u32_e32 v9, vcc, v9, v5, vcc
	v_mov_b32_e32 v5, 0
	s_mov_b64 s[30:31], 0
	v_mov_b32_e32 v4, v5
.LBB25_8:                               ;   Parent Loop BB25_6 Depth=1
                                        ; =>  This Inner Loop Header: Depth=2
	global_load_dword v14, v[6:7], off
	global_load_dwordx2 v[12:13], v[8:9], off offset:-4
	v_mov_b32_e32 v16, s19
	v_add_u32_e32 v3, 0x100, v3
	v_cmp_le_i32_e64 s[8:9], s34, v3
	s_or_b64 s[30:31], s[8:9], s[30:31]
	s_waitcnt vmcnt(1)
	v_subrev_u32_e32 v14, s10, v14
	v_ashrrev_i32_e32 v15, 31, v14
	v_lshlrev_b64 v[14:15], 3, v[14:15]
	s_waitcnt vmcnt(0)
	v_cndmask_b32_e64 v13, v13, -v13, s[20:21]
	v_add_co_u32_e32 v14, vcc, s18, v14
	v_addc_co_u32_e32 v15, vcc, v16, v15, vcc
	global_load_dwordx2 v[14:15], v[14:15], off
	v_add_co_u32_e32 v6, vcc, 0x400, v6
	v_addc_co_u32_e32 v7, vcc, 0, v7, vcc
	v_add_co_u32_e32 v8, vcc, 0x800, v8
	v_addc_co_u32_e32 v9, vcc, 0, v9, vcc
	s_waitcnt vmcnt(0)
	v_fmac_f32_e32 v4, v12, v14
	v_fmac_f32_e32 v5, v13, v14
	v_fma_f32 v4, -v13, v15, v4
	v_fmac_f32_e32 v5, v12, v15
	s_andn2_b64 exec, exec, s[30:31]
	s_cbranch_execnz .LBB25_8
; %bb.9:                                ;   in Loop: Header=BB25_6 Depth=1
	s_or_b64 exec, exec, s[30:31]
.LBB25_10:                              ;   in Loop: Header=BB25_6 Depth=1
	s_or_b64 exec, exec, s[28:29]
	ds_write_b64 v10, v[4:5]
	s_waitcnt lgkmcnt(0)
	s_barrier
	ds_read2st64_b64 v[3:6], v10 offset1:4
	ds_read2st64_b64 v[12:15], v10 offset0:8 offset1:12
	s_waitcnt lgkmcnt(0)
	v_add_f32_e32 v5, v12, v5
	v_add_f32_e32 v6, v13, v6
	;; [unrolled: 1-line block ×6, first 2 shown]
	ds_write_b64 v10, v[3:4]
	s_waitcnt lgkmcnt(0)
	s_barrier
	s_and_saveexec_b64 s[8:9], s[0:1]
	s_cbranch_execz .LBB25_12
; %bb.11:                               ;   in Loop: Header=BB25_6 Depth=1
	ds_read2st64_b64 v[3:6], v10 offset1:1
	ds_read2st64_b64 v[12:15], v10 offset0:2 offset1:3
	s_waitcnt lgkmcnt(0)
	v_add_f32_e32 v5, v12, v5
	v_add_f32_e32 v6, v13, v6
	;; [unrolled: 1-line block ×6, first 2 shown]
	ds_write_b64 v10, v[3:4]
.LBB25_12:                              ;   in Loop: Header=BB25_6 Depth=1
	s_or_b64 exec, exec, s[8:9]
	s_waitcnt lgkmcnt(0)
	s_barrier
	s_and_saveexec_b64 s[8:9], s[2:3]
	s_cbranch_execz .LBB25_14
; %bb.13:                               ;   in Loop: Header=BB25_6 Depth=1
	ds_read2_b64 v[3:6], v10 offset1:16
	ds_read2_b64 v[12:15], v10 offset0:32 offset1:48
	s_waitcnt lgkmcnt(0)
	v_add_f32_e32 v5, v12, v5
	v_add_f32_e32 v6, v13, v6
	;; [unrolled: 1-line block ×6, first 2 shown]
	ds_write_b64 v10, v[3:4]
.LBB25_14:                              ;   in Loop: Header=BB25_6 Depth=1
	s_or_b64 exec, exec, s[8:9]
	s_waitcnt lgkmcnt(0)
	s_barrier
	s_and_saveexec_b64 s[8:9], s[4:5]
	s_cbranch_execz .LBB25_16
; %bb.15:                               ;   in Loop: Header=BB25_6 Depth=1
	ds_read2_b64 v[3:6], v10 offset1:4
	ds_read2_b64 v[12:15], v10 offset0:8 offset1:12
	s_waitcnt lgkmcnt(0)
	v_add_f32_e32 v5, v12, v5
	v_add_f32_e32 v6, v13, v6
	;; [unrolled: 1-line block ×6, first 2 shown]
	ds_write_b64 v10, v[3:4]
.LBB25_16:                              ;   in Loop: Header=BB25_6 Depth=1
	s_or_b64 exec, exec, s[8:9]
	s_waitcnt lgkmcnt(0)
	s_barrier
	s_and_saveexec_b64 s[8:9], s[6:7]
	s_cbranch_execz .LBB25_18
; %bb.17:                               ;   in Loop: Header=BB25_6 Depth=1
	ds_read_b128 v[3:6], v0 offset:16
	ds_read_b64 v[7:8], v0 offset:8
	ds_read_b64 v[12:13], v10
	s_waitcnt lgkmcnt(1)
	v_add_f32_e32 v3, v3, v7
	v_add_f32_e32 v4, v4, v8
	;; [unrolled: 1-line block ×4, first 2 shown]
	s_waitcnt lgkmcnt(0)
	v_add_f32_e32 v3, v3, v12
	v_add_f32_e32 v4, v4, v13
	ds_write_b64 v10, v[3:4]
.LBB25_18:                              ;   in Loop: Header=BB25_6 Depth=1
	s_or_b64 exec, exec, s[8:9]
	s_waitcnt lgkmcnt(0)
	s_barrier
	s_and_saveexec_b64 s[8:9], s[6:7]
	s_cbranch_execz .LBB25_5
; %bb.19:                               ;   in Loop: Header=BB25_6 Depth=1
	ds_read_b64 v[3:4], v0
	s_mov_b64 s[28:29], exec
	v_bfrev_b32_e32 v7, 1
	s_waitcnt lgkmcnt(0)
	v_mul_f32_e64 v5, v4, -v2
	v_fmac_f32_e32 v5, v1, v3
.LBB25_20:                              ;   Parent Loop BB25_6 Depth=1
                                        ; =>  This Inner Loop Header: Depth=2
	s_ff1_i32_b64 s30, s[28:29]
	v_readlane_b32 s34, v5, s30
	s_lshl_b64 s[30:31], 1, s30
	s_andn2_b64 s[28:29], s[28:29], s[30:31]
	s_cmp_lg_u64 s[28:29], 0
	v_add_f32_e32 v7, s34, v7
	s_cbranch_scc1 .LBB25_20
; %bb.21:                               ;   in Loop: Header=BB25_6 Depth=1
	s_lshl_b64 s[28:29], s[26:27], 3
	v_mbcnt_lo_u32_b32 v5, exec_lo, 0
	s_add_u32 s28, s24, s28
	v_mbcnt_hi_u32_b32 v5, exec_hi, v5
	s_addc_u32 s29, s25, s29
	v_cmp_eq_u32_e32 vcc, 0, v5
	s_and_saveexec_b64 s[30:31], vcc
	s_xor_b64 s[30:31], exec, s[30:31]
	s_cbranch_execz .LBB25_25
; %bb.22:                               ;   in Loop: Header=BB25_6 Depth=1
	global_load_dword v6, v0, s[28:29]
	s_mov_b64 s[34:35], 0
.LBB25_23:                              ;   Parent Loop BB25_6 Depth=1
                                        ; =>  This Inner Loop Header: Depth=2
	s_waitcnt vmcnt(0)
	v_add_f32_e32 v5, v6, v7
	global_atomic_cmpswap v5, v0, v[5:6], s[28:29] glc
	s_waitcnt vmcnt(0)
	v_cmp_eq_u32_e32 vcc, v5, v6
	s_or_b64 s[34:35], vcc, s[34:35]
	v_mov_b32_e32 v6, v5
	s_andn2_b64 exec, exec, s[34:35]
	s_cbranch_execnz .LBB25_23
; %bb.24:                               ;   in Loop: Header=BB25_6 Depth=1
	s_or_b64 exec, exec, s[34:35]
.LBB25_25:                              ;   in Loop: Header=BB25_6 Depth=1
	s_or_b64 exec, exec, s[30:31]
	v_mul_f32_e32 v4, v1, v4
	s_mov_b64 s[30:31], exec
	v_fmac_f32_e32 v4, v2, v3
	v_bfrev_b32_e32 v5, 1
.LBB25_26:                              ;   Parent Loop BB25_6 Depth=1
                                        ; =>  This Inner Loop Header: Depth=2
	s_ff1_i32_b64 s27, s[30:31]
	s_lshl_b64 s[34:35], 1, s27
	v_readlane_b32 s36, v4, s27
	s_andn2_b64 s[30:31], s[30:31], s[34:35]
	s_cmp_lg_u64 s[30:31], 0
	v_add_f32_e32 v5, s36, v5
	s_cbranch_scc1 .LBB25_26
; %bb.27:                               ;   in Loop: Header=BB25_6 Depth=1
	v_mbcnt_lo_u32_b32 v3, exec_lo, 0
	v_mbcnt_hi_u32_b32 v3, exec_hi, v3
	v_cmp_eq_u32_e32 vcc, 0, v3
	s_and_saveexec_b64 s[30:31], vcc
	s_xor_b64 s[30:31], exec, s[30:31]
	s_cbranch_execz .LBB25_5
; %bb.28:                               ;   in Loop: Header=BB25_6 Depth=1
	global_load_dword v4, v0, s[28:29] offset:4
	s_mov_b64 s[30:31], 0
.LBB25_29:                              ;   Parent Loop BB25_6 Depth=1
                                        ; =>  This Inner Loop Header: Depth=2
	s_waitcnt vmcnt(0)
	v_add_f32_e32 v3, v4, v5
	global_atomic_cmpswap v3, v0, v[3:4], s[28:29] offset:4 glc
	s_waitcnt vmcnt(0)
	v_cmp_eq_u32_e32 vcc, v3, v4
	s_or_b64 s[30:31], vcc, s[30:31]
	v_mov_b32_e32 v4, v3
	s_andn2_b64 exec, exec, s[30:31]
	s_cbranch_execnz .LBB25_29
; %bb.30:                               ;   in Loop: Header=BB25_6 Depth=1
	s_or_b64 exec, exec, s[30:31]
	s_branch .LBB25_5
.LBB25_31:
	s_ashr_i32 s1, s22, 31
	s_mov_b32 s0, s22
	s_lshl_b64 s[0:1], s[0:1], 2
	s_add_u32 s0, s12, s0
	s_addc_u32 s1, s13, s1
	s_ashr_i32 s3, s23, 31
	s_mov_b32 s2, s23
	s_lshl_b64 s[2:3], s[2:3], 2
	s_add_u32 s2, s12, s2
	s_addc_u32 s3, s13, s3
	s_load_dword s4, s[2:3], 0x0
	s_load_dword s5, s[0:1], 0x0
	s_waitcnt lgkmcnt(0)
	s_sub_i32 s8, s4, s10
	v_add_u32_e32 v3, s5, v11
	v_cmp_gt_i32_e32 vcc, s8, v3
	s_and_b64 exec, exec, vcc
	s_cbranch_execz .LBB25_43
; %bb.32:
	s_add_i32 s9, s23, -1
	s_cmp_lt_i32 s22, s9
	s_cselect_b64 s[0:1], -1, 0
	s_add_i32 s2, s23, -2
	s_cmp_lg_u32 s22, s2
	s_cselect_b64 s[2:3], -1, 0
	s_and_b64 s[0:1], s[0:1], s[2:3]
	v_cndmask_b32_e64 v0, 0, 1, s[0:1]
	s_mov_b64 s[4:5], 0
	v_cmp_ne_u32_e64 s[0:1], 1, v0
	v_mov_b32_e32 v0, s13
	v_mov_b32_e32 v10, s15
	s_branch .LBB25_34
.LBB25_33:                              ;   in Loop: Header=BB25_34 Depth=1
	s_or_b64 exec, exec, s[2:3]
	v_add_u32_e32 v3, 0x100, v3
	v_cmp_le_i32_e32 vcc, s8, v3
	s_or_b64 s[4:5], vcc, s[4:5]
	s_andn2_b64 exec, exec, s[4:5]
	s_cbranch_execz .LBB25_43
.LBB25_34:                              ; =>This Loop Header: Depth=1
                                        ;     Child Loop BB25_36 Depth 2
                                        ;     Child Loop BB25_40 Depth 2
	;; [unrolled: 1-line block ×3, first 2 shown]
	s_and_b64 vcc, exec, s[0:1]
	v_mov_b32_e32 v7, s22
	v_mov_b32_e32 v5, s9
	s_cbranch_vccnz .LBB25_38
; %bb.35:                               ;   in Loop: Header=BB25_34 Depth=1
	s_mov_b64 s[6:7], 0
	v_mov_b32_e32 v7, s22
	v_mov_b32_e32 v5, s9
.LBB25_36:                              ;   Parent Loop BB25_34 Depth=1
                                        ; =>  This Inner Loop Header: Depth=2
	v_add_u32_e32 v4, v5, v7
	v_lshrrev_b32_e32 v8, 31, v4
	v_add_u32_e32 v4, v4, v8
	v_ashrrev_i32_e32 v8, 1, v4
	v_ashrrev_i32_e32 v9, 31, v8
	v_lshlrev_b64 v[11:12], 2, v[8:9]
	v_mov_b32_e32 v6, s13
	v_add_co_u32_e32 v11, vcc, s12, v11
	v_addc_co_u32_e32 v12, vcc, v6, v12, vcc
	global_load_dword v4, v[11:12], off
	s_waitcnt vmcnt(0)
	v_subrev_u32_e32 v4, s10, v4
	v_cmp_lt_i32_e32 vcc, v3, v4
	v_cndmask_b32_e32 v5, v5, v8, vcc
	v_cndmask_b32_e32 v7, v8, v7, vcc
	v_add_u32_e32 v4, -1, v5
	v_cmp_ge_i32_e32 vcc, v7, v5
	v_cmp_eq_u32_e64 s[2:3], v7, v4
	s_or_b64 s[2:3], vcc, s[2:3]
	s_and_b64 s[2:3], exec, s[2:3]
	s_or_b64 s[6:7], s[2:3], s[6:7]
	s_andn2_b64 exec, exec, s[6:7]
	s_cbranch_execnz .LBB25_36
; %bb.37:                               ;   in Loop: Header=BB25_34 Depth=1
	s_or_b64 exec, exec, s[6:7]
.LBB25_38:                              ;   in Loop: Header=BB25_34 Depth=1
	v_ashrrev_i32_e32 v6, 31, v5
	v_lshlrev_b64 v[8:9], 2, v[5:6]
	v_ashrrev_i32_e32 v4, 31, v3
	v_add_co_u32_e32 v8, vcc, s12, v8
	v_addc_co_u32_e32 v9, vcc, v0, v9, vcc
	global_load_dword v6, v[8:9], off
	v_lshlrev_b64 v[8:9], 2, v[3:4]
	v_add_co_u32_e32 v8, vcc, s14, v8
	v_addc_co_u32_e32 v9, vcc, v10, v9, vcc
	global_load_dword v8, v[8:9], off
	s_waitcnt vmcnt(1)
	v_subrev_u32_e32 v6, s10, v6
	v_cmp_lt_i32_e32 vcc, v3, v6
	v_cndmask_b32_e32 v5, v5, v7, vcc
	s_waitcnt vmcnt(0)
	v_subrev_u32_e32 v6, s10, v8
	v_cmp_ne_u32_e32 vcc, v6, v5
	s_and_saveexec_b64 s[2:3], vcc
	s_cbranch_execz .LBB25_33
; %bb.39:                               ;   in Loop: Header=BB25_34 Depth=1
	v_ashrrev_i32_e32 v7, 31, v6
	v_lshlrev_b64 v[8:9], 3, v[6:7]
	v_lshlrev_b64 v[6:7], 3, v[3:4]
	v_mov_b32_e32 v4, s17
	v_add_co_u32_e32 v6, vcc, s16, v6
	v_addc_co_u32_e32 v7, vcc, v4, v7, vcc
	global_load_dwordx2 v[13:14], v[6:7], off
	v_ashrrev_i32_e32 v6, 31, v5
	v_lshlrev_b64 v[4:5], 3, v[5:6]
	v_mov_b32_e32 v6, s19
	v_add_co_u32_e32 v4, vcc, s18, v4
	v_addc_co_u32_e32 v5, vcc, v6, v5, vcc
	v_mov_b32_e32 v11, s25
	global_load_dwordx2 v[6:7], v[4:5], off
	v_add_co_u32_e32 v4, vcc, s24, v8
	v_addc_co_u32_e32 v5, vcc, v11, v9, vcc
	global_load_dword v9, v[4:5], off
	s_mov_b64 s[6:7], 0
	s_waitcnt vmcnt(2)
	v_cndmask_b32_e64 v8, v14, -v14, s[20:21]
	v_mul_f32_e32 v12, v1, v8
	v_mul_f32_e64 v11, v8, -v2
	v_fmac_f32_e32 v12, v2, v13
	v_fmac_f32_e32 v11, v1, v13
	s_waitcnt vmcnt(1)
	v_mul_f32_e64 v13, v7, -v12
	v_fmac_f32_e32 v13, v11, v6
.LBB25_40:                              ;   Parent Loop BB25_34 Depth=1
                                        ; =>  This Inner Loop Header: Depth=2
	s_waitcnt vmcnt(0)
	v_add_f32_e32 v8, v9, v13
	global_atomic_cmpswap v8, v[4:5], v[8:9], off glc
	s_waitcnt vmcnt(0)
	v_cmp_eq_u32_e32 vcc, v8, v9
	s_or_b64 s[6:7], vcc, s[6:7]
	v_mov_b32_e32 v9, v8
	s_andn2_b64 exec, exec, s[6:7]
	s_cbranch_execnz .LBB25_40
; %bb.41:                               ;   in Loop: Header=BB25_34 Depth=1
	s_or_b64 exec, exec, s[6:7]
	global_load_dword v8, v[4:5], off offset:4
	v_mul_f32_e32 v9, v7, v11
	v_fmac_f32_e32 v9, v12, v6
	s_mov_b64 s[6:7], 0
.LBB25_42:                              ;   Parent Loop BB25_34 Depth=1
                                        ; =>  This Inner Loop Header: Depth=2
	s_waitcnt vmcnt(0)
	v_add_f32_e32 v7, v8, v9
	global_atomic_cmpswap v6, v[4:5], v[7:8], off offset:4 glc
	s_waitcnt vmcnt(0)
	v_cmp_eq_u32_e32 vcc, v6, v8
	s_or_b64 s[6:7], vcc, s[6:7]
	v_mov_b32_e32 v8, v6
	s_andn2_b64 exec, exec, s[6:7]
	s_cbranch_execnz .LBB25_42
	s_branch .LBB25_33
.LBB25_43:
	s_endpgm
	.section	.rodata,"a",@progbits
	.p2align	6, 0x0
	.amdhsa_kernel _ZL33csrmvn_symm_large_adaptive_kernelIii21rocsparse_complex_numIfES1_S1_S1_EvbT_PKS2_N9rocsparse24const_host_device_scalarIT4_EES4_PKT0_PKT1_PKT2_S8_PT3_21rocsparse_index_base_b
		.amdhsa_group_segment_fixed_size 8192
		.amdhsa_private_segment_fixed_size 0
		.amdhsa_kernarg_size 80
		.amdhsa_user_sgpr_count 6
		.amdhsa_user_sgpr_private_segment_buffer 1
		.amdhsa_user_sgpr_dispatch_ptr 0
		.amdhsa_user_sgpr_queue_ptr 0
		.amdhsa_user_sgpr_kernarg_segment_ptr 1
		.amdhsa_user_sgpr_dispatch_id 0
		.amdhsa_user_sgpr_flat_scratch_init 0
		.amdhsa_user_sgpr_private_segment_size 0
		.amdhsa_uses_dynamic_stack 0
		.amdhsa_system_sgpr_private_segment_wavefront_offset 0
		.amdhsa_system_sgpr_workgroup_id_x 1
		.amdhsa_system_sgpr_workgroup_id_y 0
		.amdhsa_system_sgpr_workgroup_id_z 0
		.amdhsa_system_sgpr_workgroup_info 0
		.amdhsa_system_vgpr_workitem_id 0
		.amdhsa_next_free_vgpr 29
		.amdhsa_next_free_sgpr 61
		.amdhsa_reserve_vcc 1
		.amdhsa_reserve_flat_scratch 0
		.amdhsa_float_round_mode_32 0
		.amdhsa_float_round_mode_16_64 0
		.amdhsa_float_denorm_mode_32 3
		.amdhsa_float_denorm_mode_16_64 3
		.amdhsa_dx10_clamp 1
		.amdhsa_ieee_mode 1
		.amdhsa_fp16_overflow 0
		.amdhsa_exception_fp_ieee_invalid_op 0
		.amdhsa_exception_fp_denorm_src 0
		.amdhsa_exception_fp_ieee_div_zero 0
		.amdhsa_exception_fp_ieee_overflow 0
		.amdhsa_exception_fp_ieee_underflow 0
		.amdhsa_exception_fp_ieee_inexact 0
		.amdhsa_exception_int_div_zero 0
	.end_amdhsa_kernel
	.section	.text._ZL33csrmvn_symm_large_adaptive_kernelIii21rocsparse_complex_numIfES1_S1_S1_EvbT_PKS2_N9rocsparse24const_host_device_scalarIT4_EES4_PKT0_PKT1_PKT2_S8_PT3_21rocsparse_index_base_b,"axG",@progbits,_ZL33csrmvn_symm_large_adaptive_kernelIii21rocsparse_complex_numIfES1_S1_S1_EvbT_PKS2_N9rocsparse24const_host_device_scalarIT4_EES4_PKT0_PKT1_PKT2_S8_PT3_21rocsparse_index_base_b,comdat
.Lfunc_end25:
	.size	_ZL33csrmvn_symm_large_adaptive_kernelIii21rocsparse_complex_numIfES1_S1_S1_EvbT_PKS2_N9rocsparse24const_host_device_scalarIT4_EES4_PKT0_PKT1_PKT2_S8_PT3_21rocsparse_index_base_b, .Lfunc_end25-_ZL33csrmvn_symm_large_adaptive_kernelIii21rocsparse_complex_numIfES1_S1_S1_EvbT_PKS2_N9rocsparse24const_host_device_scalarIT4_EES4_PKT0_PKT1_PKT2_S8_PT3_21rocsparse_index_base_b
                                        ; -- End function
	.set _ZL33csrmvn_symm_large_adaptive_kernelIii21rocsparse_complex_numIfES1_S1_S1_EvbT_PKS2_N9rocsparse24const_host_device_scalarIT4_EES4_PKT0_PKT1_PKT2_S8_PT3_21rocsparse_index_base_b.num_vgpr, 17
	.set _ZL33csrmvn_symm_large_adaptive_kernelIii21rocsparse_complex_numIfES1_S1_S1_EvbT_PKS2_N9rocsparse24const_host_device_scalarIT4_EES4_PKT0_PKT1_PKT2_S8_PT3_21rocsparse_index_base_b.num_agpr, 0
	.set _ZL33csrmvn_symm_large_adaptive_kernelIii21rocsparse_complex_numIfES1_S1_S1_EvbT_PKS2_N9rocsparse24const_host_device_scalarIT4_EES4_PKT0_PKT1_PKT2_S8_PT3_21rocsparse_index_base_b.numbered_sgpr, 37
	.set _ZL33csrmvn_symm_large_adaptive_kernelIii21rocsparse_complex_numIfES1_S1_S1_EvbT_PKS2_N9rocsparse24const_host_device_scalarIT4_EES4_PKT0_PKT1_PKT2_S8_PT3_21rocsparse_index_base_b.num_named_barrier, 0
	.set _ZL33csrmvn_symm_large_adaptive_kernelIii21rocsparse_complex_numIfES1_S1_S1_EvbT_PKS2_N9rocsparse24const_host_device_scalarIT4_EES4_PKT0_PKT1_PKT2_S8_PT3_21rocsparse_index_base_b.private_seg_size, 0
	.set _ZL33csrmvn_symm_large_adaptive_kernelIii21rocsparse_complex_numIfES1_S1_S1_EvbT_PKS2_N9rocsparse24const_host_device_scalarIT4_EES4_PKT0_PKT1_PKT2_S8_PT3_21rocsparse_index_base_b.uses_vcc, 1
	.set _ZL33csrmvn_symm_large_adaptive_kernelIii21rocsparse_complex_numIfES1_S1_S1_EvbT_PKS2_N9rocsparse24const_host_device_scalarIT4_EES4_PKT0_PKT1_PKT2_S8_PT3_21rocsparse_index_base_b.uses_flat_scratch, 0
	.set _ZL33csrmvn_symm_large_adaptive_kernelIii21rocsparse_complex_numIfES1_S1_S1_EvbT_PKS2_N9rocsparse24const_host_device_scalarIT4_EES4_PKT0_PKT1_PKT2_S8_PT3_21rocsparse_index_base_b.has_dyn_sized_stack, 0
	.set _ZL33csrmvn_symm_large_adaptive_kernelIii21rocsparse_complex_numIfES1_S1_S1_EvbT_PKS2_N9rocsparse24const_host_device_scalarIT4_EES4_PKT0_PKT1_PKT2_S8_PT3_21rocsparse_index_base_b.has_recursion, 0
	.set _ZL33csrmvn_symm_large_adaptive_kernelIii21rocsparse_complex_numIfES1_S1_S1_EvbT_PKS2_N9rocsparse24const_host_device_scalarIT4_EES4_PKT0_PKT1_PKT2_S8_PT3_21rocsparse_index_base_b.has_indirect_call, 0
	.section	.AMDGPU.csdata,"",@progbits
; Kernel info:
; codeLenInByte = 1984
; TotalNumSgprs: 41
; NumVgprs: 17
; ScratchSize: 0
; MemoryBound: 0
; FloatMode: 240
; IeeeMode: 1
; LDSByteSize: 8192 bytes/workgroup (compile time only)
; SGPRBlocks: 8
; VGPRBlocks: 7
; NumSGPRsForWavesPerEU: 65
; NumVGPRsForWavesPerEU: 29
; Occupancy: 8
; WaveLimiterHint : 1
; COMPUTE_PGM_RSRC2:SCRATCH_EN: 0
; COMPUTE_PGM_RSRC2:USER_SGPR: 6
; COMPUTE_PGM_RSRC2:TRAP_HANDLER: 0
; COMPUTE_PGM_RSRC2:TGID_X_EN: 1
; COMPUTE_PGM_RSRC2:TGID_Y_EN: 0
; COMPUTE_PGM_RSRC2:TGID_Z_EN: 0
; COMPUTE_PGM_RSRC2:TIDIG_COMP_CNT: 0
	.section	.text._ZN9rocsparseL22csrmvn_adaptive_kernelIli21rocsparse_complex_numIfES2_S2_S2_EEvbT_PKS3_PjPKT0_NS_24const_host_device_scalarIT4_EES5_S9_PKT1_PKT2_SC_PT3_21rocsparse_index_base_b,"axG",@progbits,_ZN9rocsparseL22csrmvn_adaptive_kernelIli21rocsparse_complex_numIfES2_S2_S2_EEvbT_PKS3_PjPKT0_NS_24const_host_device_scalarIT4_EES5_S9_PKT1_PKT2_SC_PT3_21rocsparse_index_base_b,comdat
	.globl	_ZN9rocsparseL22csrmvn_adaptive_kernelIli21rocsparse_complex_numIfES2_S2_S2_EEvbT_PKS3_PjPKT0_NS_24const_host_device_scalarIT4_EES5_S9_PKT1_PKT2_SC_PT3_21rocsparse_index_base_b ; -- Begin function _ZN9rocsparseL22csrmvn_adaptive_kernelIli21rocsparse_complex_numIfES2_S2_S2_EEvbT_PKS3_PjPKT0_NS_24const_host_device_scalarIT4_EES5_S9_PKT1_PKT2_SC_PT3_21rocsparse_index_base_b
	.p2align	8
	.type	_ZN9rocsparseL22csrmvn_adaptive_kernelIli21rocsparse_complex_numIfES2_S2_S2_EEvbT_PKS3_PjPKT0_NS_24const_host_device_scalarIT4_EES5_S9_PKT1_PKT2_SC_PT3_21rocsparse_index_base_b,@function
_ZN9rocsparseL22csrmvn_adaptive_kernelIli21rocsparse_complex_numIfES2_S2_S2_EEvbT_PKS3_PjPKT0_NS_24const_host_device_scalarIT4_EES5_S9_PKT1_PKT2_SC_PT3_21rocsparse_index_base_b: ; @_ZN9rocsparseL22csrmvn_adaptive_kernelIli21rocsparse_complex_numIfES2_S2_S2_EEvbT_PKS3_PjPKT0_NS_24const_host_device_scalarIT4_EES5_S9_PKT1_PKT2_SC_PT3_21rocsparse_index_base_b
; %bb.0:
	s_load_dwordx2 s[0:1], s[4:5], 0x28
	s_load_dwordx2 s[42:43], s[4:5], 0x60
	s_add_u32 s7, s4, 40
	s_addc_u32 s8, s5, 0
	s_add_u32 s9, s4, 0x50
	s_load_dwordx2 s[2:3], s[4:5], 0x50
	s_addc_u32 s10, s5, 0
	s_waitcnt lgkmcnt(0)
	s_bitcmp1_b32 s43, 0
	s_cselect_b32 s1, s8, s1
	s_cselect_b32 s0, s7, s0
	v_mov_b32_e32 v1, s0
	v_mov_b32_e32 v2, s1
	flat_load_dwordx2 v[1:2], v[1:2]
	s_cselect_b32 s0, s10, s3
	s_cselect_b32 s1, s9, s2
	v_mov_b32_e32 v3, s1
	v_mov_b32_e32 v4, s0
	flat_load_dwordx2 v[5:6], v[3:4]
	s_waitcnt vmcnt(0) lgkmcnt(0)
	v_cmp_eq_f32_e32 vcc, 0, v1
	v_cmp_eq_f32_e64 s[0:1], 0, v2
	s_and_b64 s[8:9], vcc, s[0:1]
	s_mov_b64 s[0:1], -1
	s_and_saveexec_b64 s[2:3], s[8:9]
; %bb.1:
	v_cmp_neq_f32_e32 vcc, 1.0, v5
	v_cmp_neq_f32_e64 s[0:1], 0, v6
	s_or_b64 s[0:1], vcc, s[0:1]
	s_orn2_b64 s[0:1], s[0:1], exec
; %bb.2:
	s_or_b64 exec, exec, s[2:3]
	s_and_saveexec_b64 s[2:3], s[0:1]
	s_cbranch_execz .LBB26_117
; %bb.3:
	s_load_dwordx2 s[0:1], s[4:5], 0x20
	s_load_dword s7, s[4:5], 0x0
	s_load_dwordx2 s[2:3], s[4:5], 0x10
	s_waitcnt lgkmcnt(0)
	s_bitcmp1_b32 s7, 0
	s_cselect_b64 s[44:45], -1, 0
	s_ashr_i32 s7, s6, 31
	s_lshl_b64 s[8:9], s[6:7], 3
	s_add_u32 s2, s2, s8
	s_addc_u32 s3, s3, s9
	s_load_dwordx4 s[36:39], s[2:3], 0x0
	s_load_dwordx2 s[22:23], s[4:5], 0x58
	s_load_dwordx8 s[24:31], s[4:5], 0x30
	s_lshl_b64 s[48:49], s[6:7], 2
	s_waitcnt lgkmcnt(0)
	s_sub_i32 s2, s38, s36
	s_add_u32 s0, s0, s48
	s_addc_u32 s1, s1, s49
	s_lshl_b64 s[46:47], s[36:37], 3
	s_add_u32 s40, s24, s46
	s_addc_u32 s41, s25, s47
	s_load_dword s33, s[0:1], 0x0
	s_load_dwordx2 s[34:35], s[40:41], 0x0
	s_cmp_lt_i32 s2, 2
	s_mov_b64 s[0:1], -1
	s_cbranch_scc0 .LBB26_73
; %bb.4:
	s_cmp_lg_u32 s2, 1
	s_cselect_b64 s[0:1], -1, 0
	s_waitcnt lgkmcnt(0)
	s_cmp_lg_u32 s33, 0
	s_cselect_b64 s[2:3], -1, 0
	s_or_b64 s[2:3], s[0:1], s[2:3]
	s_mov_b64 s[0:1], -1
	s_and_b64 vcc, exec, s[2:3]
	s_cbranch_vccnz .LBB26_33
; %bb.5:
	v_mov_b32_e32 v3, s36
	v_mov_b32_e32 v4, s37
	v_cmp_le_i64_e32 vcc, s[38:39], v[3:4]
	s_cbranch_vccnz .LBB26_32
; %bb.6:
	v_subrev_co_u32_e32 v16, vcc, s42, v0
	v_subb_co_u32_e64 v17, s[0:1], 0, 0, vcc
	v_cmp_neq_f32_e32 vcc, 0, v5
	v_cmp_neq_f32_e64 s[20:21], 0, v6
	s_or_b64 s[50:51], vcc, s[20:21]
	s_movk_i32 s0, 0x80
	s_add_u32 s7, s28, 4
	v_mov_b32_e32 v3, s38
	v_mov_b32_e32 v15, 0
	v_lshlrev_b32_e32 v18, 3, v0
	v_cmp_gt_u32_e64 s[0:1], s0, v0
	v_cmp_gt_u32_e64 s[2:3], 64, v0
	;; [unrolled: 1-line block ×7, first 2 shown]
	v_cmp_eq_u32_e64 s[18:19], 0, v0
	s_addc_u32 s43, s29, 0
	v_mov_b32_e32 v4, s39
	s_movk_i32 s62, 0x100
	s_mov_b64 s[52:53], s[36:37]
	s_branch .LBB26_9
.LBB26_7:                               ;   in Loop: Header=BB26_9 Depth=1
	s_or_b64 exec, exec, s[56:57]
	s_add_u32 s54, s22, s54
	s_addc_u32 s55, s23, s55
	s_waitcnt lgkmcnt(0)
	global_store_dwordx2 v15, v[7:8], s[54:55]
.LBB26_8:                               ;   in Loop: Header=BB26_9 Depth=1
	s_or_b64 exec, exec, s[20:21]
	s_add_u32 s52, s52, 1
	s_addc_u32 s53, s53, 0
	v_cmp_ge_i64_e32 vcc, s[52:53], v[3:4]
	s_cbranch_vccnz .LBB26_32
.LBB26_9:                               ; =>This Loop Header: Depth=1
                                        ;     Child Loop BB26_11 Depth 2
	s_lshl_b64 s[54:55], s[52:53], 3
	s_add_u32 s20, s24, s54
	s_addc_u32 s21, s25, s55
	s_load_dwordx4 s[64:67], s[20:21], 0x0
	v_mov_b32_e32 v10, 0
	v_mov_b32_e32 v9, 0
	s_waitcnt lgkmcnt(0)
	s_sub_u32 s56, s66, s42
	v_mov_b32_e32 v8, s65
	v_add_co_u32_e32 v7, vcc, s64, v16
	s_subb_u32 s57, s67, 0
	v_addc_co_u32_e32 v8, vcc, v8, v17, vcc
	v_cmp_gt_i64_e32 vcc, s[56:57], v[7:8]
	s_and_saveexec_b64 s[58:59], vcc
	s_cbranch_execz .LBB26_13
; %bb.10:                               ;   in Loop: Header=BB26_9 Depth=1
	v_lshlrev_b64 v[9:10], 3, v[7:8]
	v_mov_b32_e32 v12, s43
	v_add_co_u32_e32 v11, vcc, s7, v9
	v_addc_co_u32_e32 v12, vcc, v12, v10, vcc
	v_lshlrev_b64 v[9:10], 2, v[7:8]
	v_mov_b32_e32 v14, s27
	v_add_co_u32_e32 v13, vcc, s26, v9
	v_addc_co_u32_e32 v14, vcc, v14, v10, vcc
	v_mov_b32_e32 v10, 0
	s_mov_b64 s[60:61], 0
	v_mov_b32_e32 v9, v10
.LBB26_11:                              ;   Parent Loop BB26_9 Depth=1
                                        ; =>  This Inner Loop Header: Depth=2
	global_load_dword v21, v[13:14], off
	global_load_dwordx2 v[19:20], v[11:12], off offset:-4
	v_mov_b32_e32 v23, s31
	s_waitcnt vmcnt(1)
	v_subrev_u32_e32 v21, s42, v21
	v_ashrrev_i32_e32 v22, 31, v21
	v_lshlrev_b64 v[21:22], 3, v[21:22]
	s_waitcnt vmcnt(0)
	v_cndmask_b32_e64 v20, v20, -v20, s[44:45]
	v_add_co_u32_e32 v21, vcc, s30, v21
	v_addc_co_u32_e32 v22, vcc, v23, v22, vcc
	global_load_dwordx2 v[21:22], v[21:22], off
	v_add_co_u32_e32 v7, vcc, s62, v7
	v_addc_co_u32_e32 v8, vcc, 0, v8, vcc
	v_add_co_u32_e32 v11, vcc, 0x800, v11
	v_mul_f32_e64 v23, v20, -v2
	v_mul_f32_e32 v20, v1, v20
	v_addc_co_u32_e32 v12, vcc, 0, v12, vcc
	v_cmp_le_i64_e64 s[20:21], s[56:57], v[7:8]
	v_fmac_f32_e32 v23, v1, v19
	v_fmac_f32_e32 v20, v2, v19
	v_add_co_u32_e32 v13, vcc, 0x400, v13
	v_addc_co_u32_e32 v14, vcc, 0, v14, vcc
	s_or_b64 s[60:61], s[20:21], s[60:61]
	s_waitcnt vmcnt(0)
	v_fmac_f32_e32 v9, v23, v21
	v_fmac_f32_e32 v10, v20, v21
	v_fma_f32 v9, -v20, v22, v9
	v_fmac_f32_e32 v10, v23, v22
	s_andn2_b64 exec, exec, s[60:61]
	s_cbranch_execnz .LBB26_11
; %bb.12:                               ;   in Loop: Header=BB26_9 Depth=1
	s_or_b64 exec, exec, s[60:61]
.LBB26_13:                              ;   in Loop: Header=BB26_9 Depth=1
	s_or_b64 exec, exec, s[58:59]
	ds_write_b64 v18, v[9:10]
	s_waitcnt vmcnt(0) lgkmcnt(0)
	s_barrier
	s_and_saveexec_b64 s[20:21], s[0:1]
	s_cbranch_execz .LBB26_15
; %bb.14:                               ;   in Loop: Header=BB26_9 Depth=1
	ds_read2st64_b64 v[7:10], v18 offset1:2
	s_waitcnt lgkmcnt(0)
	v_add_f32_e32 v7, v9, v7
	v_add_f32_e32 v8, v10, v8
	ds_write_b64 v18, v[7:8]
.LBB26_15:                              ;   in Loop: Header=BB26_9 Depth=1
	s_or_b64 exec, exec, s[20:21]
	s_waitcnt lgkmcnt(0)
	s_barrier
	s_and_saveexec_b64 s[20:21], s[2:3]
	s_cbranch_execz .LBB26_17
; %bb.16:                               ;   in Loop: Header=BB26_9 Depth=1
	ds_read2st64_b64 v[7:10], v18 offset1:1
	s_waitcnt lgkmcnt(0)
	v_add_f32_e32 v7, v9, v7
	v_add_f32_e32 v8, v10, v8
	ds_write_b64 v18, v[7:8]
.LBB26_17:                              ;   in Loop: Header=BB26_9 Depth=1
	s_or_b64 exec, exec, s[20:21]
	s_waitcnt lgkmcnt(0)
	s_barrier
	s_and_saveexec_b64 s[20:21], s[8:9]
	s_cbranch_execz .LBB26_19
; %bb.18:                               ;   in Loop: Header=BB26_9 Depth=1
	ds_read2_b64 v[7:10], v18 offset1:32
	s_waitcnt lgkmcnt(0)
	v_add_f32_e32 v7, v9, v7
	v_add_f32_e32 v8, v10, v8
	ds_write_b64 v18, v[7:8]
.LBB26_19:                              ;   in Loop: Header=BB26_9 Depth=1
	s_or_b64 exec, exec, s[20:21]
	s_waitcnt lgkmcnt(0)
	s_barrier
	s_and_saveexec_b64 s[20:21], s[10:11]
	s_cbranch_execz .LBB26_21
; %bb.20:                               ;   in Loop: Header=BB26_9 Depth=1
	ds_read2_b64 v[7:10], v18 offset1:16
	s_waitcnt lgkmcnt(0)
	v_add_f32_e32 v7, v9, v7
	v_add_f32_e32 v8, v10, v8
	ds_write_b64 v18, v[7:8]
.LBB26_21:                              ;   in Loop: Header=BB26_9 Depth=1
	;; [unrolled: 12-line block ×6, first 2 shown]
	s_or_b64 exec, exec, s[20:21]
	s_waitcnt lgkmcnt(0)
	s_barrier
	s_and_saveexec_b64 s[20:21], s[18:19]
	s_cbranch_execz .LBB26_8
; %bb.30:                               ;   in Loop: Header=BB26_9 Depth=1
	ds_read_b64 v[7:8], v15
	s_and_saveexec_b64 s[56:57], s[50:51]
	s_cbranch_execz .LBB26_7
; %bb.31:                               ;   in Loop: Header=BB26_9 Depth=1
	s_add_u32 s58, s22, s54
	s_addc_u32 s59, s23, s55
	global_load_dwordx2 v[9:10], v15, s[58:59]
	s_waitcnt vmcnt(0) lgkmcnt(0)
	v_fma_f32 v7, v5, v9, v7
	v_fmac_f32_e32 v8, v6, v9
	v_fma_f32 v7, -v6, v10, v7
	v_fmac_f32_e32 v8, v5, v10
	s_branch .LBB26_7
.LBB26_32:
	s_mov_b64 s[0:1], 0
.LBB26_33:
	s_andn2_b64 vcc, exec, s[0:1]
	s_cbranch_vccnz .LBB26_72
; %bb.34:
	s_load_dwordx2 s[8:9], s[4:5], 0x18
	s_sub_i32 s6, s6, s33
	v_mov_b32_e32 v3, 0
	v_or_b32_e32 v4, s33, v0
	v_cmp_eq_u32_e32 vcc, 0, v4
	s_waitcnt lgkmcnt(0)
	s_add_u32 s2, s8, s48
	s_addc_u32 s3, s9, s49
	global_load_dword v13, v3, s[2:3]
	v_mov_b32_e32 v4, 0
	s_and_saveexec_b64 s[0:1], vcc
	s_cbranch_execz .LBB26_38
; %bb.35:
	s_add_u32 s12, s22, s46
	s_addc_u32 s13, s23, s47
	v_mov_b32_e32 v10, 0
	global_load_dwordx2 v[7:8], v10, s[12:13]
	s_mov_b64 s[10:11], exec
	v_mbcnt_lo_u32_b32 v3, s10, 0
	v_add_f32_e32 v9, -1.0, v5
	v_mbcnt_hi_u32_b32 v11, s11, v3
	v_cmp_eq_u32_e32 vcc, 0, v11
	s_waitcnt vmcnt(0) expcnt(0) lgkmcnt(0)
	v_mul_f32_e64 v3, v8, -v6
	v_mul_f32_e32 v4, v9, v8
	s_and_saveexec_b64 s[12:13], vcc
	s_cbranch_execz .LBB26_37
; %bb.36:
	s_ashr_i32 s7, s6, 31
	s_lshl_b64 s[14:15], s[6:7], 2
	s_add_u32 s14, s8, s14
	s_addc_u32 s15, s9, s15
	s_bcnt1_i32_b64 s7, s[10:11]
	s_and_b32 s7, s7, 1
	v_mov_b32_e32 v8, s7
	global_atomic_xor v10, v8, s[14:15]
.LBB26_37:
	s_or_b64 exec, exec, s[12:13]
	v_fmac_f32_e32 v3, v9, v7
	v_fmac_f32_e32 v4, v6, v7
.LBB26_38:
	s_or_b64 exec, exec, s[0:1]
	s_load_dwordx2 s[0:1], s[40:41], 0x8
	s_sub_u32 s11, s34, s42
	s_mul_i32 s7, s33, 0xc00
	s_subb_u32 s12, s35, 0
	s_mul_hi_i32 s10, s33, 0xc00
	s_add_u32 s7, s11, s7
	s_addc_u32 s12, s12, s10
	s_waitcnt lgkmcnt(0)
	s_sub_u32 s0, s0, s42
	v_mov_b32_e32 v8, s12
	v_add_co_u32_e32 v7, vcc, s7, v0
	s_subb_u32 s1, s1, 0
	v_addc_co_u32_e32 v8, vcc, 0, v8, vcc
	v_cmp_gt_i64_e32 vcc, s[0:1], v[7:8]
	s_and_saveexec_b64 s[10:11], vcc
	s_cbranch_execz .LBB26_42
; %bb.39:
	s_add_u32 s14, s7, 0xc00
	v_mov_b32_e32 v10, s1
	s_addc_u32 s15, s12, 0
	v_mov_b32_e32 v9, s0
	v_cmp_lt_i64_e32 vcc, s[14:15], v[9:10]
	v_lshlrev_b64 v[9:10], 3, v[7:8]
	s_and_b64 s[12:13], vcc, exec
	v_mov_b32_e32 v11, s29
	v_add_co_u32_e32 v9, vcc, s28, v9
	v_addc_co_u32_e32 v10, vcc, v11, v10, vcc
	v_add_co_u32_e32 v9, vcc, 4, v9
	v_lshlrev_b64 v[11:12], 2, v[7:8]
	v_addc_co_u32_e32 v10, vcc, 0, v10, vcc
	v_mov_b32_e32 v14, s27
	v_add_co_u32_e32 v11, vcc, s26, v11
	s_cselect_b32 s13, s15, s1
	s_cselect_b32 s12, s14, s0
	v_addc_co_u32_e32 v12, vcc, v14, v12, vcc
	s_mov_b64 s[14:15], 0
	v_mov_b32_e32 v14, s31
	s_movk_i32 s7, 0x100
.LBB26_40:                              ; =>This Inner Loop Header: Depth=1
	global_load_dword v17, v[11:12], off
	global_load_dwordx2 v[15:16], v[9:10], off offset:-4
	s_waitcnt vmcnt(1)
	v_subrev_u32_e32 v17, s42, v17
	v_ashrrev_i32_e32 v18, 31, v17
	v_lshlrev_b64 v[17:18], 3, v[17:18]
	s_waitcnt vmcnt(0)
	v_cndmask_b32_e64 v16, v16, -v16, s[44:45]
	v_add_co_u32_e32 v17, vcc, s30, v17
	v_addc_co_u32_e32 v18, vcc, v14, v18, vcc
	global_load_dwordx2 v[17:18], v[17:18], off
	v_add_co_u32_e32 v7, vcc, s7, v7
	v_addc_co_u32_e32 v8, vcc, 0, v8, vcc
	v_add_co_u32_e32 v9, vcc, 0x800, v9
	v_mul_f32_e64 v19, v16, -v2
	v_mul_f32_e32 v16, v1, v16
	v_addc_co_u32_e32 v10, vcc, 0, v10, vcc
	v_cmp_le_i64_e64 s[0:1], s[12:13], v[7:8]
	v_fmac_f32_e32 v19, v1, v15
	v_fmac_f32_e32 v16, v2, v15
	v_add_co_u32_e32 v11, vcc, 0x400, v11
	v_addc_co_u32_e32 v12, vcc, 0, v12, vcc
	s_or_b64 s[14:15], s[0:1], s[14:15]
	s_waitcnt vmcnt(0)
	v_fmac_f32_e32 v3, v19, v17
	v_fmac_f32_e32 v4, v16, v17
	v_fma_f32 v3, -v16, v18, v3
	v_fmac_f32_e32 v4, v19, v18
	s_andn2_b64 exec, exec, s[14:15]
	s_cbranch_execnz .LBB26_40
; %bb.41:
	s_or_b64 exec, exec, s[14:15]
.LBB26_42:
	s_or_b64 exec, exec, s[10:11]
	s_movk_i32 s0, 0x80
	v_lshlrev_b32_e32 v7, 3, v0
	v_cmp_gt_u32_e32 vcc, s0, v0
	ds_write_b64 v7, v[3:4]
	s_waitcnt vmcnt(0) lgkmcnt(0)
	s_barrier
	s_and_saveexec_b64 s[0:1], vcc
	s_cbranch_execz .LBB26_44
; %bb.43:
	ds_read2st64_b64 v[8:11], v7 offset1:2
	s_waitcnt lgkmcnt(0)
	v_add_f32_e32 v3, v10, v8
	v_add_f32_e32 v4, v11, v9
	ds_write_b64 v7, v[3:4]
.LBB26_44:
	s_or_b64 exec, exec, s[0:1]
	v_cmp_gt_u32_e32 vcc, 64, v0
	s_waitcnt lgkmcnt(0)
	s_barrier
	s_and_saveexec_b64 s[0:1], vcc
	s_cbranch_execz .LBB26_46
; %bb.45:
	ds_read2st64_b64 v[8:11], v7 offset1:1
	s_waitcnt lgkmcnt(0)
	v_add_f32_e32 v3, v10, v8
	v_add_f32_e32 v4, v11, v9
	ds_write_b64 v7, v[3:4]
.LBB26_46:
	s_or_b64 exec, exec, s[0:1]
	v_cmp_gt_u32_e32 vcc, 32, v0
	s_waitcnt lgkmcnt(0)
	s_barrier
	s_and_saveexec_b64 s[0:1], vcc
	s_cbranch_execz .LBB26_48
; %bb.47:
	ds_read2_b64 v[8:11], v7 offset1:32
	s_waitcnt lgkmcnt(0)
	v_add_f32_e32 v3, v10, v8
	v_add_f32_e32 v4, v11, v9
	ds_write_b64 v7, v[3:4]
.LBB26_48:
	s_or_b64 exec, exec, s[0:1]
	v_cmp_gt_u32_e32 vcc, 16, v0
	s_waitcnt lgkmcnt(0)
	s_barrier
	s_and_saveexec_b64 s[0:1], vcc
	s_cbranch_execz .LBB26_50
; %bb.49:
	ds_read2_b64 v[8:11], v7 offset1:16
	s_waitcnt lgkmcnt(0)
	v_add_f32_e32 v3, v10, v8
	v_add_f32_e32 v4, v11, v9
	ds_write_b64 v7, v[3:4]
.LBB26_50:
	;; [unrolled: 13-line block ×5, first 2 shown]
	s_or_b64 exec, exec, s[0:1]
	v_cmp_eq_u32_e32 vcc, 0, v0
	s_waitcnt lgkmcnt(0)
	s_barrier
	s_and_saveexec_b64 s[0:1], vcc
	s_cbranch_execz .LBB26_58
; %bb.57:
	v_mov_b32_e32 v11, 0
	ds_read2_b64 v[7:10], v11 offset1:1
	s_waitcnt lgkmcnt(0)
	v_add_f32_e32 v3, v9, v7
	v_add_f32_e32 v4, v10, v8
	ds_write_b64 v11, v[3:4]
.LBB26_58:
	s_or_b64 exec, exec, s[0:1]
	s_waitcnt lgkmcnt(0)
	s_barrier
	s_and_saveexec_b64 s[0:1], vcc
	s_cbranch_execz .LBB26_71
; %bb.59:
	s_cmp_eq_u32 s33, 0
	s_cbranch_scc1 .LBB26_65
; %bb.60:
	s_ashr_i32 s7, s6, 31
	s_lshl_b64 s[6:7], s[6:7], 2
	s_add_u32 s6, s8, s6
	s_addc_u32 s7, s9, s7
	v_mov_b32_e32 v3, 0
	s_branch .LBB26_62
.LBB26_61:                              ;   in Loop: Header=BB26_62 Depth=1
	s_or_b64 exec, exec, s[8:9]
	s_waitcnt vmcnt(0)
	v_readfirstlane_b32 s8, v4
	v_cmp_eq_u32_e32 vcc, s8, v13
	s_cbranch_vccz .LBB26_64
.LBB26_62:                              ; =>This Inner Loop Header: Depth=1
	v_mbcnt_lo_u32_b32 v4, exec_lo, 0
	v_mbcnt_hi_u32_b32 v4, exec_hi, v4
	v_cmp_eq_u32_e32 vcc, 0, v4
                                        ; implicit-def: $vgpr4
	s_and_saveexec_b64 s[8:9], vcc
	s_cbranch_execz .LBB26_61
; %bb.63:                               ;   in Loop: Header=BB26_62 Depth=1
	global_load_dword v4, v3, s[6:7] glc
	s_branch .LBB26_61
.LBB26_64:
	v_mov_b32_e32 v3, 0
	global_load_ushort v4, v3, s[2:3]
	s_waitcnt vmcnt(0)
	v_xor_b32_e32 v4, 1, v4
	global_store_short v3, v4, s[2:3]
.LBB26_65:
	v_mov_b32_e32 v9, 0
	ds_read_b64 v[3:4], v9
	s_mov_b64 s[8:9], exec
	v_mbcnt_lo_u32_b32 v7, s8, 0
	s_add_u32 s2, s22, s46
	v_mbcnt_hi_u32_b32 v7, s9, v7
	s_addc_u32 s3, s23, s47
	v_cmp_eq_u32_e32 vcc, 0, v7
	s_and_saveexec_b64 s[6:7], vcc
	s_cbranch_execz .LBB26_68
; %bb.66:
	global_load_dword v8, v9, s[2:3]
	s_bcnt1_i32_b64 s8, s[8:9]
	v_cvt_f32_ubyte0_e32 v7, s8
	s_waitcnt lgkmcnt(0)
	v_mul_f32_e32 v3, v3, v7
	s_mov_b64 s[8:9], 0
.LBB26_67:                              ; =>This Inner Loop Header: Depth=1
	s_waitcnt vmcnt(0)
	v_add_f32_e32 v7, v8, v3
	global_atomic_cmpswap v7, v9, v[7:8], s[2:3] glc
	s_waitcnt vmcnt(0)
	v_cmp_eq_u32_e32 vcc, v7, v8
	s_or_b64 s[8:9], vcc, s[8:9]
	v_mov_b32_e32 v8, v7
	s_andn2_b64 exec, exec, s[8:9]
	s_cbranch_execnz .LBB26_67
.LBB26_68:
	s_or_b64 exec, exec, s[6:7]
	s_mov_b64 s[6:7], exec
	s_waitcnt lgkmcnt(0)
	v_mbcnt_lo_u32_b32 v3, s6, 0
	v_mbcnt_hi_u32_b32 v3, s7, v3
	v_cmp_eq_u32_e32 vcc, 0, v3
	s_and_b64 s[8:9], exec, vcc
	s_mov_b64 exec, s[8:9]
	s_cbranch_execz .LBB26_71
; %bb.69:
	v_mov_b32_e32 v3, 0
	global_load_dword v8, v3, s[2:3] offset:4
	s_bcnt1_i32_b64 s6, s[6:7]
	v_cvt_f32_ubyte0_e32 v7, s6
	v_mul_f32_e32 v4, v4, v7
	s_mov_b64 s[6:7], 0
.LBB26_70:                              ; =>This Inner Loop Header: Depth=1
	s_waitcnt vmcnt(0)
	v_add_f32_e32 v7, v8, v4
	global_atomic_cmpswap v7, v3, v[7:8], s[2:3] offset:4 glc
	s_waitcnt vmcnt(0)
	v_cmp_eq_u32_e32 vcc, v7, v8
	s_or_b64 s[6:7], vcc, s[6:7]
	v_mov_b32_e32 v8, v7
	s_andn2_b64 exec, exec, s[6:7]
	s_cbranch_execnz .LBB26_70
.LBB26_71:
	s_or_b64 exec, exec, s[0:1]
.LBB26_72:
	s_mov_b64 s[0:1], 0
.LBB26_73:
	s_andn2_b64 vcc, exec, s[0:1]
	s_cbranch_vccnz .LBB26_117
; %bb.74:
	s_load_dwordx2 s[0:1], s[4:5], 0x8
	v_subrev_co_u32_e32 v3, vcc, s42, v0
	v_subb_co_u32_e64 v4, s[2:3], 0, 0, vcc
	s_waitcnt lgkmcnt(0)
	v_mov_b32_e32 v7, s35
	v_add_co_u32_e32 v3, vcc, s34, v3
	v_addc_co_u32_e32 v4, vcc, v7, v4, vcc
	v_add_co_u32_e32 v7, vcc, 0x300, v3
	v_addc_co_u32_e32 v8, vcc, 0, v4, vcc
	v_cmp_le_i64_e32 vcc, s[0:1], v[7:8]
	v_lshlrev_b32_e32 v11, 3, v0
	s_and_saveexec_b64 s[0:1], vcc
	s_xor_b64 s[2:3], exec, s[0:1]
	s_cbranch_execz .LBB26_79
; %bb.75:
	s_lshl_b64 s[0:1], s[38:39], 3
	s_add_u32 s0, s24, s0
	s_addc_u32 s1, s25, s1
	s_load_dwordx2 s[0:1], s[0:1], 0x0
	s_waitcnt lgkmcnt(0)
	s_sub_u32 s4, s0, s42
	s_subb_u32 s5, s1, 0
	v_cmp_gt_i64_e32 vcc, s[4:5], v[3:4]
	s_and_saveexec_b64 s[6:7], vcc
	s_cbranch_execz .LBB26_78
; %bb.76:
	v_lshlrev_b64 v[7:8], 3, v[3:4]
	v_mov_b32_e32 v9, s29
	v_add_co_u32_e32 v7, vcc, s28, v7
	v_addc_co_u32_e32 v8, vcc, v9, v8, vcc
	v_add_co_u32_e32 v7, vcc, 4, v7
	v_lshlrev_b64 v[9:10], 2, v[3:4]
	v_addc_co_u32_e32 v8, vcc, 0, v8, vcc
	v_mov_b32_e32 v12, s27
	v_add_co_u32_e32 v9, vcc, s26, v9
	v_addc_co_u32_e32 v10, vcc, v12, v10, vcc
	s_mov_b64 s[8:9], 0
	v_mov_b32_e32 v12, s31
	s_movk_i32 s10, 0x100
	v_mov_b32_e32 v13, v11
.LBB26_77:                              ; =>This Inner Loop Header: Depth=1
	global_load_dword v16, v[9:10], off
	global_load_dwordx2 v[14:15], v[7:8], off offset:-4
	s_waitcnt vmcnt(1)
	v_subrev_u32_e32 v16, s42, v16
	v_ashrrev_i32_e32 v17, 31, v16
	v_lshlrev_b64 v[16:17], 3, v[16:17]
	s_waitcnt vmcnt(0)
	v_cndmask_b32_e64 v15, v15, -v15, s[44:45]
	v_add_co_u32_e32 v16, vcc, s30, v16
	v_addc_co_u32_e32 v17, vcc, v12, v17, vcc
	global_load_dwordx2 v[16:17], v[16:17], off
	v_add_co_u32_e32 v3, vcc, s10, v3
	v_addc_co_u32_e32 v4, vcc, 0, v4, vcc
	v_mul_f32_e64 v18, v15, -v2
	v_mul_f32_e32 v19, v1, v15
	v_add_co_u32_e32 v7, vcc, 0x800, v7
	v_fmac_f32_e32 v18, v1, v14
	v_fmac_f32_e32 v19, v2, v14
	v_addc_co_u32_e32 v8, vcc, 0, v8, vcc
	v_cmp_le_i64_e64 s[0:1], s[4:5], v[3:4]
	v_add_co_u32_e32 v9, vcc, 0x400, v9
	v_addc_co_u32_e32 v10, vcc, 0, v10, vcc
	s_or_b64 s[8:9], s[0:1], s[8:9]
	s_waitcnt vmcnt(0)
	v_mul_f32_e64 v14, v17, -v19
	v_mul_f32_e32 v15, v17, v18
	v_fmac_f32_e32 v14, v18, v16
	v_fmac_f32_e32 v15, v19, v16
	ds_write_b64 v13, v[14:15]
	v_add_u32_e32 v13, 0x800, v13
	s_andn2_b64 exec, exec, s[8:9]
	s_cbranch_execnz .LBB26_77
.LBB26_78:
	s_or_b64 exec, exec, s[6:7]
                                        ; implicit-def: $vgpr3_vgpr4
                                        ; implicit-def: $vgpr1_vgpr2
.LBB26_79:
	s_andn2_saveexec_b64 s[0:1], s[2:3]
	s_cbranch_execz .LBB26_81
; %bb.80:
	v_lshlrev_b64 v[7:8], 2, v[3:4]
	v_mov_b32_e32 v9, s27
	v_add_co_u32_e32 v7, vcc, s26, v7
	v_addc_co_u32_e32 v8, vcc, v9, v8, vcc
	global_load_dword v16, v[7:8], off
	global_load_dword v17, v[7:8], off offset:1024
	global_load_dword v18, v[7:8], off offset:2048
	;; [unrolled: 1-line block ×3, first 2 shown]
	v_lshlrev_b64 v[3:4], 3, v[3:4]
	v_mov_b32_e32 v7, s29
	v_add_co_u32_e32 v3, vcc, s28, v3
	s_movk_i32 s2, 0x1000
	v_addc_co_u32_e32 v4, vcc, v7, v4, vcc
	global_load_dwordx2 v[7:8], v[3:4], off
	global_load_dwordx2 v[9:10], v[3:4], off offset:2048
	v_add_co_u32_e32 v3, vcc, s2, v3
	v_addc_co_u32_e32 v4, vcc, 0, v4, vcc
	global_load_dwordx2 v[12:13], v[3:4], off
	global_load_dwordx2 v[14:15], v[3:4], off offset:2048
	v_mov_b32_e32 v22, s31
	v_mov_b32_e32 v23, s31
	;; [unrolled: 1-line block ×4, first 2 shown]
	s_waitcnt vmcnt(7)
	v_subrev_u32_e32 v3, s42, v16
	v_ashrrev_i32_e32 v4, 31, v3
	s_waitcnt vmcnt(6)
	v_subrev_u32_e32 v16, s42, v17
	v_lshlrev_b64 v[3:4], 3, v[3:4]
	v_ashrrev_i32_e32 v17, 31, v16
	s_waitcnt vmcnt(5)
	v_subrev_u32_e32 v18, s42, v18
	v_lshlrev_b64 v[16:17], 3, v[16:17]
	v_add_co_u32_e32 v3, vcc, s30, v3
	s_waitcnt vmcnt(4)
	v_subrev_u32_e32 v20, s42, v19
	v_ashrrev_i32_e32 v19, 31, v18
	v_addc_co_u32_e32 v4, vcc, v22, v4, vcc
	v_lshlrev_b64 v[18:19], 3, v[18:19]
	v_add_co_u32_e32 v16, vcc, s30, v16
	v_ashrrev_i32_e32 v21, 31, v20
	v_addc_co_u32_e32 v17, vcc, v23, v17, vcc
	v_lshlrev_b64 v[20:21], 3, v[20:21]
	v_add_co_u32_e32 v18, vcc, s30, v18
	v_addc_co_u32_e32 v19, vcc, v24, v19, vcc
	global_load_dwordx2 v[22:23], v[3:4], off
	global_load_dwordx2 v[24:25], v[16:17], off
	;; [unrolled: 1-line block ×3, first 2 shown]
	v_add_co_u32_e32 v3, vcc, s30, v20
	v_addc_co_u32_e32 v4, vcc, v28, v21, vcc
	global_load_dwordx2 v[3:4], v[3:4], off
	s_waitcnt vmcnt(7)
	v_cndmask_b32_e64 v8, v8, -v8, s[44:45]
	s_waitcnt vmcnt(6)
	v_cndmask_b32_e64 v10, v10, -v10, s[44:45]
	v_mul_f32_e64 v16, v8, -v2
	v_mul_f32_e32 v17, v1, v8
	v_mul_f32_e64 v18, v10, -v2
	v_mul_f32_e32 v19, v1, v10
	s_waitcnt vmcnt(5)
	v_cndmask_b32_e64 v8, v13, -v13, s[44:45]
	s_waitcnt vmcnt(4)
	v_cndmask_b32_e64 v10, v15, -v15, s[44:45]
	v_fmac_f32_e32 v16, v1, v7
	v_fmac_f32_e32 v17, v2, v7
	;; [unrolled: 1-line block ×4, first 2 shown]
	v_mul_f32_e64 v15, v8, -v2
	v_mul_f32_e32 v20, v1, v8
	v_mul_f32_e64 v21, v10, -v2
	v_mul_f32_e32 v28, v1, v10
	v_fmac_f32_e32 v15, v1, v12
	v_fmac_f32_e32 v20, v2, v12
	;; [unrolled: 1-line block ×4, first 2 shown]
	s_waitcnt vmcnt(3)
	v_mul_f32_e64 v1, v23, -v17
	v_mul_f32_e32 v2, v23, v16
	s_waitcnt vmcnt(2)
	v_mul_f32_e64 v7, v25, -v19
	v_mul_f32_e32 v8, v25, v18
	;; [unrolled: 3-line block ×3, first 2 shown]
	v_fmac_f32_e32 v1, v16, v22
	s_waitcnt vmcnt(0)
	v_mul_f32_e64 v12, v4, -v28
	v_mul_f32_e32 v13, v4, v21
	v_fmac_f32_e32 v2, v17, v22
	v_fmac_f32_e32 v7, v18, v24
	;; [unrolled: 1-line block ×7, first 2 shown]
	ds_write2st64_b64 v11, v[1:2], v[7:8] offset1:4
	ds_write2st64_b64 v11, v[9:10], v[12:13] offset0:8 offset1:12
.LBB26_81:
	s_or_b64 exec, exec, s[0:1]
	s_cmp_lt_i32 s33, 2
	s_mov_b64 s[0:1], -1
	s_waitcnt vmcnt(0) lgkmcnt(0)
	s_barrier
	s_cbranch_scc0 .LBB26_92
; %bb.82:
	v_mov_b32_e32 v1, s37
	v_add_co_u32_e32 v7, vcc, s36, v0
	v_addc_co_u32_e32 v8, vcc, 0, v1, vcc
	v_cmp_gt_i64_e32 vcc, s[38:39], v[7:8]
	s_and_saveexec_b64 s[2:3], vcc
	s_cbranch_execz .LBB26_91
; %bb.83:
	v_cmp_neq_f32_e32 vcc, 0, v5
	v_cmp_neq_f32_e64 s[0:1], 0, v6
	s_or_b64 s[4:5], vcc, s[0:1]
	s_lshl_b32 s0, s34, 3
	s_sub_i32 s10, 0, s0
	s_mov_b64 s[6:7], 0
	v_mov_b32_e32 v12, s25
	v_mov_b32_e32 v13, s23
	s_branch .LBB26_85
.LBB26_84:                              ;   in Loop: Header=BB26_85 Depth=1
	s_or_b64 exec, exec, s[0:1]
	v_add_co_u32_e32 v7, vcc, 0x100, v7
	v_addc_co_u32_e32 v8, vcc, 0, v8, vcc
	v_cmp_le_i64_e32 vcc, s[38:39], v[7:8]
	v_add_co_u32_e64 v1, s[0:1], s22, v9
	v_addc_co_u32_e64 v2, s[0:1], v13, v10, s[0:1]
	s_or_b64 s[6:7], vcc, s[6:7]
	global_store_dwordx2 v[1:2], v[3:4], off
	s_andn2_b64 exec, exec, s[6:7]
	s_cbranch_execz .LBB26_91
.LBB26_85:                              ; =>This Loop Header: Depth=1
                                        ;     Child Loop BB26_87 Depth 2
	v_lshlrev_b64 v[9:10], 3, v[7:8]
	v_add_co_u32_e32 v1, vcc, s24, v9
	v_addc_co_u32_e32 v2, vcc, v12, v10, vcc
	global_load_dwordx4 v[1:4], v[1:2], off
	s_waitcnt vmcnt(0)
	v_mov_b32_e32 v4, 0
	v_subrev_u32_e32 v2, s34, v1
	v_subrev_u32_e32 v14, s34, v3
	v_cmp_lt_i32_e32 vcc, v2, v14
	v_mov_b32_e32 v3, 0
	s_and_saveexec_b64 s[0:1], vcc
	s_cbranch_execz .LBB26_89
; %bb.86:                               ;   in Loop: Header=BB26_85 Depth=1
	v_mov_b32_e32 v4, 0
	v_lshl_add_u32 v1, v1, 3, s10
	s_mov_b64 s[8:9], 0
	v_mov_b32_e32 v3, v4
.LBB26_87:                              ;   Parent Loop BB26_85 Depth=1
                                        ; =>  This Inner Loop Header: Depth=2
	ds_read_b64 v[15:16], v1
	v_add_u32_e32 v2, 1, v2
	v_cmp_ge_i32_e32 vcc, v2, v14
	v_add_u32_e32 v1, 8, v1
	s_or_b64 s[8:9], vcc, s[8:9]
	s_waitcnt lgkmcnt(0)
	v_add_f32_e32 v3, v3, v15
	v_add_f32_e32 v4, v4, v16
	s_andn2_b64 exec, exec, s[8:9]
	s_cbranch_execnz .LBB26_87
; %bb.88:                               ;   in Loop: Header=BB26_85 Depth=1
	s_or_b64 exec, exec, s[8:9]
.LBB26_89:                              ;   in Loop: Header=BB26_85 Depth=1
	s_or_b64 exec, exec, s[0:1]
	s_and_saveexec_b64 s[0:1], s[4:5]
	s_cbranch_execz .LBB26_84
; %bb.90:                               ;   in Loop: Header=BB26_85 Depth=1
	v_mov_b32_e32 v2, s23
	v_add_co_u32_e32 v1, vcc, s22, v9
	v_addc_co_u32_e32 v2, vcc, v2, v10, vcc
	global_load_dwordx2 v[1:2], v[1:2], off
	s_waitcnt vmcnt(0)
	v_fmac_f32_e32 v3, v5, v1
	v_fmac_f32_e32 v4, v6, v1
	v_fma_f32 v3, -v6, v2, v3
	v_fmac_f32_e32 v4, v5, v2
	s_branch .LBB26_84
.LBB26_91:
	s_or_b64 exec, exec, s[2:3]
	s_mov_b64 s[0:1], 0
.LBB26_92:
	s_andn2_b64 vcc, exec, s[0:1]
	s_cbranch_vccnz .LBB26_117
; %bb.93:
	s_flbit_i32_b32 s0, s33
	s_xor_b32 s0, s0, 31
	v_lshrrev_b32_e32 v7, s0, v0
	v_mov_b32_e32 v2, s37
	v_add_co_u32_e32 v1, vcc, s36, v7
	v_addc_co_u32_e32 v2, vcc, 0, v2, vcc
	s_add_i32 s0, s33, -1
	v_mov_b32_e32 v3, 0
	v_and_b32_e32 v0, s0, v0
	v_cmp_le_i64_e32 vcc, s[38:39], v[1:2]
	v_cmp_gt_i64_e64 s[0:1], s[38:39], v[1:2]
	v_mov_b32_e32 v4, v3
	s_and_saveexec_b64 s[2:3], s[0:1]
	s_cbranch_execz .LBB26_99
; %bb.94:
	v_lshlrev_b32_e32 v3, 3, v7
	global_load_dword v7, v3, s[40:41] offset:8
	global_load_dword v8, v3, s[40:41]
	v_mov_b32_e32 v4, 0
	s_waitcnt vmcnt(1)
	v_subrev_u32_e32 v7, s34, v7
	s_waitcnt vmcnt(0)
	v_subrev_u32_e32 v3, s34, v8
	v_add_u32_e32 v8, v0, v3
	v_cmp_lt_i32_e64 s[0:1], v8, v7
	v_mov_b32_e32 v3, 0
	s_and_saveexec_b64 s[4:5], s[0:1]
	s_cbranch_execz .LBB26_98
; %bb.95:
	v_mov_b32_e32 v4, 0
	v_lshlrev_b32_e32 v9, 3, v8
	s_lshl_b32 s8, s33, 3
	s_mov_b64 s[6:7], 0
	v_mov_b32_e32 v3, v4
.LBB26_96:                              ; =>This Inner Loop Header: Depth=1
	ds_read_b64 v[12:13], v9
	v_add_u32_e32 v8, s33, v8
	v_cmp_ge_i32_e64 s[0:1], v8, v7
	v_add_u32_e32 v9, s8, v9
	s_or_b64 s[6:7], s[0:1], s[6:7]
	s_waitcnt lgkmcnt(0)
	v_add_f32_e32 v3, v3, v12
	v_add_f32_e32 v4, v4, v13
	s_andn2_b64 exec, exec, s[6:7]
	s_cbranch_execnz .LBB26_96
; %bb.97:
	s_or_b64 exec, exec, s[6:7]
.LBB26_98:
	s_or_b64 exec, exec, s[4:5]
.LBB26_99:
	s_or_b64 exec, exec, s[2:3]
	s_cmpk_lt_u32 s33, 0x81
	s_waitcnt vmcnt(0)
	s_barrier
	ds_write_b64 v11, v[3:4]
	s_waitcnt lgkmcnt(0)
	s_barrier
	s_cbranch_scc1 .LBB26_101
; %bb.100:
	ds_read_b64 v[7:8], v11 offset:1024
	s_waitcnt lgkmcnt(0)
	s_barrier
	v_add_f32_e32 v3, v3, v7
	v_add_f32_e32 v4, v4, v8
	ds_write_b64 v11, v[3:4]
.LBB26_101:
	s_cmpk_lt_u32 s33, 0x41
	s_waitcnt lgkmcnt(0)
	s_barrier
	s_cbranch_scc1 .LBB26_103
; %bb.102:
	ds_read_b64 v[7:8], v11 offset:512
	s_waitcnt lgkmcnt(0)
	s_barrier
	v_add_f32_e32 v3, v3, v7
	v_add_f32_e32 v4, v4, v8
	ds_write_b64 v11, v[3:4]
.LBB26_103:
	s_cmp_lt_u32 s33, 33
	s_waitcnt lgkmcnt(0)
	s_barrier
	s_cbranch_scc1 .LBB26_105
; %bb.104:
	ds_read_b64 v[7:8], v11 offset:256
	s_waitcnt lgkmcnt(0)
	s_barrier
	v_add_f32_e32 v3, v3, v7
	v_add_f32_e32 v4, v4, v8
	ds_write_b64 v11, v[3:4]
.LBB26_105:
	s_cmp_lt_u32 s33, 17
	s_waitcnt lgkmcnt(0)
	s_barrier
	s_cbranch_scc1 .LBB26_107
; %bb.106:
	ds_read_b64 v[7:8], v11 offset:128
	s_waitcnt lgkmcnt(0)
	s_barrier
	v_add_f32_e32 v3, v3, v7
	v_add_f32_e32 v4, v4, v8
	ds_write_b64 v11, v[3:4]
.LBB26_107:
	s_cmp_lt_u32 s33, 9
	s_waitcnt lgkmcnt(0)
	s_barrier
	s_cbranch_scc1 .LBB26_109
; %bb.108:
	ds_read_b64 v[7:8], v11 offset:64
	s_waitcnt lgkmcnt(0)
	s_barrier
	v_add_f32_e32 v3, v3, v7
	v_add_f32_e32 v4, v4, v8
	ds_write_b64 v11, v[3:4]
.LBB26_109:
	s_cmp_lt_u32 s33, 5
	s_waitcnt lgkmcnt(0)
	s_barrier
	s_cbranch_scc1 .LBB26_111
; %bb.110:
	ds_read_b64 v[7:8], v11 offset:32
	s_waitcnt lgkmcnt(0)
	s_barrier
	v_add_f32_e32 v3, v3, v7
	v_add_f32_e32 v4, v4, v8
	ds_write_b64 v11, v[3:4]
.LBB26_111:
	s_cmp_eq_u32 s33, 2
	s_waitcnt lgkmcnt(0)
	s_barrier
	s_cbranch_scc1 .LBB26_113
; %bb.112:
	ds_read_b64 v[7:8], v11 offset:16
	s_waitcnt lgkmcnt(0)
	s_barrier
	v_add_f32_e32 v3, v3, v7
	v_add_f32_e32 v4, v4, v8
	ds_write_b64 v11, v[3:4]
.LBB26_113:
	s_waitcnt lgkmcnt(0)
	s_barrier
	ds_read_b64 v[7:8], v11 offset:8
	v_cmp_eq_u32_e64 s[0:1], 0, v0
	s_xor_b64 s[2:3], vcc, -1
	s_and_b64 s[0:1], s[0:1], s[2:3]
	s_waitcnt lgkmcnt(0)
	v_add_f32_e32 v3, v3, v7
	v_add_f32_e32 v4, v4, v8
	s_barrier
	ds_write_b64 v11, v[3:4]
	s_and_b64 exec, exec, s[0:1]
	s_cbranch_execz .LBB26_117
; %bb.114:
	v_cmp_neq_f32_e32 vcc, 0, v5
	v_cmp_neq_f32_e64 s[0:1], 0, v6
	v_lshlrev_b64 v[0:1], 3, v[1:2]
	s_or_b64 s[2:3], vcc, s[0:1]
	s_and_saveexec_b64 s[0:1], s[2:3]
	s_cbranch_execz .LBB26_116
; %bb.115:
	v_mov_b32_e32 v2, s23
	v_add_co_u32_e32 v7, vcc, s22, v0
	v_addc_co_u32_e32 v8, vcc, v2, v1, vcc
	global_load_dwordx2 v[7:8], v[7:8], off
	s_waitcnt vmcnt(0)
	v_fmac_f32_e32 v3, v5, v7
	v_fmac_f32_e32 v4, v6, v7
	v_fma_f32 v3, -v6, v8, v3
	v_fmac_f32_e32 v4, v5, v8
.LBB26_116:
	s_or_b64 exec, exec, s[0:1]
	v_mov_b32_e32 v2, s23
	v_add_co_u32_e32 v0, vcc, s22, v0
	v_addc_co_u32_e32 v1, vcc, v2, v1, vcc
	global_store_dwordx2 v[0:1], v[3:4], off
.LBB26_117:
	s_endpgm
	.section	.rodata,"a",@progbits
	.p2align	6, 0x0
	.amdhsa_kernel _ZN9rocsparseL22csrmvn_adaptive_kernelIli21rocsparse_complex_numIfES2_S2_S2_EEvbT_PKS3_PjPKT0_NS_24const_host_device_scalarIT4_EES5_S9_PKT1_PKT2_SC_PT3_21rocsparse_index_base_b
		.amdhsa_group_segment_fixed_size 8192
		.amdhsa_private_segment_fixed_size 0
		.amdhsa_kernarg_size 104
		.amdhsa_user_sgpr_count 6
		.amdhsa_user_sgpr_private_segment_buffer 1
		.amdhsa_user_sgpr_dispatch_ptr 0
		.amdhsa_user_sgpr_queue_ptr 0
		.amdhsa_user_sgpr_kernarg_segment_ptr 1
		.amdhsa_user_sgpr_dispatch_id 0
		.amdhsa_user_sgpr_flat_scratch_init 0
		.amdhsa_user_sgpr_private_segment_size 0
		.amdhsa_uses_dynamic_stack 0
		.amdhsa_system_sgpr_private_segment_wavefront_offset 0
		.amdhsa_system_sgpr_workgroup_id_x 1
		.amdhsa_system_sgpr_workgroup_id_y 0
		.amdhsa_system_sgpr_workgroup_id_z 0
		.amdhsa_system_sgpr_workgroup_info 0
		.amdhsa_system_vgpr_workitem_id 0
		.amdhsa_next_free_vgpr 29
		.amdhsa_next_free_sgpr 68
		.amdhsa_reserve_vcc 1
		.amdhsa_reserve_flat_scratch 0
		.amdhsa_float_round_mode_32 0
		.amdhsa_float_round_mode_16_64 0
		.amdhsa_float_denorm_mode_32 3
		.amdhsa_float_denorm_mode_16_64 3
		.amdhsa_dx10_clamp 1
		.amdhsa_ieee_mode 1
		.amdhsa_fp16_overflow 0
		.amdhsa_exception_fp_ieee_invalid_op 0
		.amdhsa_exception_fp_denorm_src 0
		.amdhsa_exception_fp_ieee_div_zero 0
		.amdhsa_exception_fp_ieee_overflow 0
		.amdhsa_exception_fp_ieee_underflow 0
		.amdhsa_exception_fp_ieee_inexact 0
		.amdhsa_exception_int_div_zero 0
	.end_amdhsa_kernel
	.section	.text._ZN9rocsparseL22csrmvn_adaptive_kernelIli21rocsparse_complex_numIfES2_S2_S2_EEvbT_PKS3_PjPKT0_NS_24const_host_device_scalarIT4_EES5_S9_PKT1_PKT2_SC_PT3_21rocsparse_index_base_b,"axG",@progbits,_ZN9rocsparseL22csrmvn_adaptive_kernelIli21rocsparse_complex_numIfES2_S2_S2_EEvbT_PKS3_PjPKT0_NS_24const_host_device_scalarIT4_EES5_S9_PKT1_PKT2_SC_PT3_21rocsparse_index_base_b,comdat
.Lfunc_end26:
	.size	_ZN9rocsparseL22csrmvn_adaptive_kernelIli21rocsparse_complex_numIfES2_S2_S2_EEvbT_PKS3_PjPKT0_NS_24const_host_device_scalarIT4_EES5_S9_PKT1_PKT2_SC_PT3_21rocsparse_index_base_b, .Lfunc_end26-_ZN9rocsparseL22csrmvn_adaptive_kernelIli21rocsparse_complex_numIfES2_S2_S2_EEvbT_PKS3_PjPKT0_NS_24const_host_device_scalarIT4_EES5_S9_PKT1_PKT2_SC_PT3_21rocsparse_index_base_b
                                        ; -- End function
	.set _ZN9rocsparseL22csrmvn_adaptive_kernelIli21rocsparse_complex_numIfES2_S2_S2_EEvbT_PKS3_PjPKT0_NS_24const_host_device_scalarIT4_EES5_S9_PKT1_PKT2_SC_PT3_21rocsparse_index_base_b.num_vgpr, 29
	.set _ZN9rocsparseL22csrmvn_adaptive_kernelIli21rocsparse_complex_numIfES2_S2_S2_EEvbT_PKS3_PjPKT0_NS_24const_host_device_scalarIT4_EES5_S9_PKT1_PKT2_SC_PT3_21rocsparse_index_base_b.num_agpr, 0
	.set _ZN9rocsparseL22csrmvn_adaptive_kernelIli21rocsparse_complex_numIfES2_S2_S2_EEvbT_PKS3_PjPKT0_NS_24const_host_device_scalarIT4_EES5_S9_PKT1_PKT2_SC_PT3_21rocsparse_index_base_b.numbered_sgpr, 68
	.set _ZN9rocsparseL22csrmvn_adaptive_kernelIli21rocsparse_complex_numIfES2_S2_S2_EEvbT_PKS3_PjPKT0_NS_24const_host_device_scalarIT4_EES5_S9_PKT1_PKT2_SC_PT3_21rocsparse_index_base_b.num_named_barrier, 0
	.set _ZN9rocsparseL22csrmvn_adaptive_kernelIli21rocsparse_complex_numIfES2_S2_S2_EEvbT_PKS3_PjPKT0_NS_24const_host_device_scalarIT4_EES5_S9_PKT1_PKT2_SC_PT3_21rocsparse_index_base_b.private_seg_size, 0
	.set _ZN9rocsparseL22csrmvn_adaptive_kernelIli21rocsparse_complex_numIfES2_S2_S2_EEvbT_PKS3_PjPKT0_NS_24const_host_device_scalarIT4_EES5_S9_PKT1_PKT2_SC_PT3_21rocsparse_index_base_b.uses_vcc, 1
	.set _ZN9rocsparseL22csrmvn_adaptive_kernelIli21rocsparse_complex_numIfES2_S2_S2_EEvbT_PKS3_PjPKT0_NS_24const_host_device_scalarIT4_EES5_S9_PKT1_PKT2_SC_PT3_21rocsparse_index_base_b.uses_flat_scratch, 0
	.set _ZN9rocsparseL22csrmvn_adaptive_kernelIli21rocsparse_complex_numIfES2_S2_S2_EEvbT_PKS3_PjPKT0_NS_24const_host_device_scalarIT4_EES5_S9_PKT1_PKT2_SC_PT3_21rocsparse_index_base_b.has_dyn_sized_stack, 0
	.set _ZN9rocsparseL22csrmvn_adaptive_kernelIli21rocsparse_complex_numIfES2_S2_S2_EEvbT_PKS3_PjPKT0_NS_24const_host_device_scalarIT4_EES5_S9_PKT1_PKT2_SC_PT3_21rocsparse_index_base_b.has_recursion, 0
	.set _ZN9rocsparseL22csrmvn_adaptive_kernelIli21rocsparse_complex_numIfES2_S2_S2_EEvbT_PKS3_PjPKT0_NS_24const_host_device_scalarIT4_EES5_S9_PKT1_PKT2_SC_PT3_21rocsparse_index_base_b.has_indirect_call, 0
	.section	.AMDGPU.csdata,"",@progbits
; Kernel info:
; codeLenInByte = 4584
; TotalNumSgprs: 72
; NumVgprs: 29
; ScratchSize: 0
; MemoryBound: 0
; FloatMode: 240
; IeeeMode: 1
; LDSByteSize: 8192 bytes/workgroup (compile time only)
; SGPRBlocks: 8
; VGPRBlocks: 7
; NumSGPRsForWavesPerEU: 72
; NumVGPRsForWavesPerEU: 29
; Occupancy: 8
; WaveLimiterHint : 1
; COMPUTE_PGM_RSRC2:SCRATCH_EN: 0
; COMPUTE_PGM_RSRC2:USER_SGPR: 6
; COMPUTE_PGM_RSRC2:TRAP_HANDLER: 0
; COMPUTE_PGM_RSRC2:TGID_X_EN: 1
; COMPUTE_PGM_RSRC2:TGID_Y_EN: 0
; COMPUTE_PGM_RSRC2:TGID_Z_EN: 0
; COMPUTE_PGM_RSRC2:TIDIG_COMP_CNT: 0
	.section	.text._ZN9rocsparseL27csrmvn_symm_adaptive_kernelIli21rocsparse_complex_numIfES2_S2_S2_EEvbT_S3_PKS3_NS_24const_host_device_scalarIT4_EES5_PKT0_PKT1_PKT2_S8_PT3_21rocsparse_index_base_b,"axG",@progbits,_ZN9rocsparseL27csrmvn_symm_adaptive_kernelIli21rocsparse_complex_numIfES2_S2_S2_EEvbT_S3_PKS3_NS_24const_host_device_scalarIT4_EES5_PKT0_PKT1_PKT2_S8_PT3_21rocsparse_index_base_b,comdat
	.globl	_ZN9rocsparseL27csrmvn_symm_adaptive_kernelIli21rocsparse_complex_numIfES2_S2_S2_EEvbT_S3_PKS3_NS_24const_host_device_scalarIT4_EES5_PKT0_PKT1_PKT2_S8_PT3_21rocsparse_index_base_b ; -- Begin function _ZN9rocsparseL27csrmvn_symm_adaptive_kernelIli21rocsparse_complex_numIfES2_S2_S2_EEvbT_S3_PKS3_NS_24const_host_device_scalarIT4_EES5_PKT0_PKT1_PKT2_S8_PT3_21rocsparse_index_base_b
	.p2align	8
	.type	_ZN9rocsparseL27csrmvn_symm_adaptive_kernelIli21rocsparse_complex_numIfES2_S2_S2_EEvbT_S3_PKS3_NS_24const_host_device_scalarIT4_EES5_PKT0_PKT1_PKT2_S8_PT3_21rocsparse_index_base_b,@function
_ZN9rocsparseL27csrmvn_symm_adaptive_kernelIli21rocsparse_complex_numIfES2_S2_S2_EEvbT_S3_PKS3_NS_24const_host_device_scalarIT4_EES5_PKT0_PKT1_PKT2_S8_PT3_21rocsparse_index_base_b: ; @_ZN9rocsparseL27csrmvn_symm_adaptive_kernelIli21rocsparse_complex_numIfES2_S2_S2_EEvbT_S3_PKS3_NS_24const_host_device_scalarIT4_EES5_PKT0_PKT1_PKT2_S8_PT3_21rocsparse_index_base_b
; %bb.0:
	s_load_dwordx2 s[30:31], s[4:5], 0x58
	s_load_dwordx2 s[0:1], s[4:5], 0x20
	s_add_u32 s7, s4, 32
	s_addc_u32 s10, s5, 0
	s_waitcnt lgkmcnt(0)
	s_bitcmp1_b32 s31, 0
	s_cselect_b64 s[8:9], -1, 0
	s_and_b64 s[2:3], s[8:9], exec
	s_cselect_b32 s1, s10, s1
	s_cselect_b32 s0, s7, s0
	v_mov_b32_e32 v1, s0
	v_mov_b32_e32 v2, s1
	flat_load_dwordx2 v[6:7], v[1:2]
	s_waitcnt vmcnt(0) lgkmcnt(0)
	v_cmp_eq_f32_e32 vcc, 0, v6
	v_cmp_eq_f32_e64 s[0:1], 0, v7
	s_and_b64 s[10:11], vcc, s[0:1]
	s_mov_b64 s[0:1], -1
	s_and_saveexec_b64 s[2:3], s[10:11]
	s_cbranch_execz .LBB27_2
; %bb.1:
	s_load_dwordx2 s[0:1], s[4:5], 0x48
	s_add_u32 s7, s4, 0x48
	s_addc_u32 s10, s5, 0
	s_and_b64 s[8:9], s[8:9], exec
	s_waitcnt lgkmcnt(0)
	s_cselect_b32 s1, s10, s1
	s_cselect_b32 s0, s7, s0
	v_mov_b32_e32 v1, s0
	v_mov_b32_e32 v2, s1
	flat_load_dwordx2 v[1:2], v[1:2]
	s_waitcnt vmcnt(0) lgkmcnt(0)
	v_cmp_neq_f32_e32 vcc, 1.0, v1
	v_cmp_neq_f32_e64 s[0:1], 0, v2
	s_or_b64 s[0:1], vcc, s[0:1]
	s_orn2_b64 s[0:1], s[0:1], exec
.LBB27_2:
	s_or_b64 exec, exec, s[2:3]
	s_and_saveexec_b64 s[2:3], s[0:1]
	s_cbranch_execz .LBB27_179
; %bb.3:
	s_load_dword s7, s[4:5], 0x0
	s_load_dwordx2 s[0:1], s[4:5], 0x18
	s_mov_b32 s2, 0
	s_mov_b32 s3, s2
	v_mov_b32_e32 v1, s2
	s_waitcnt lgkmcnt(0)
	s_bitcmp1_b32 s7, 0
	s_cselect_b64 s[38:39], -1, 0
	s_ashr_i32 s7, s6, 31
	v_mov_b32_e32 v2, s3
	s_lshl_b64 s[2:3], s[6:7], 3
	s_add_u32 s0, s0, s2
	v_lshlrev_b32_e32 v18, 3, v0
	s_addc_u32 s1, s1, s3
	ds_write2st64_b64 v18, v[1:2], v[1:2] offset1:4
	ds_write2st64_b64 v18, v[1:2], v[1:2] offset0:8 offset1:12
	s_waitcnt lgkmcnt(0)
	s_barrier
	s_load_dwordx4 s[24:27], s[0:1], 0x0
	s_load_dwordx8 s[16:23], s[4:5], 0x28
	s_load_dwordx2 s[14:15], s[4:5], 0x50
	s_mov_b64 s[0:1], -1
	s_waitcnt lgkmcnt(0)
	s_sub_u32 s28, s26, s24
	s_subb_u32 s29, s27, s25
	v_cmp_gt_i64_e64 s[2:3], s[28:29], 2
	s_and_b64 vcc, exec, s[2:3]
	s_cbranch_vccnz .LBB27_47
; %bb.4:
	v_mov_b32_e32 v1, s24
	v_mov_b32_e32 v2, s25
	v_cmp_le_i64_e32 vcc, s[26:27], v[1:2]
	v_subrev_co_u32_e64 v5, s[0:1], s30, v0
	v_mov_b32_e32 v15, 0
	v_subb_co_u32_e64 v14, s[0:1], 0, 0, s[0:1]
	s_cbranch_vccnz .LBB27_34
; %bb.5:
	s_movk_i32 s31, 0x100
	s_add_u32 s33, s20, 4
	v_mov_b32_e32 v1, s26
	v_cmp_gt_u32_e64 s[0:1], s31, v0
	v_cmp_gt_u32_e64 s[2:3], 64, v0
	;; [unrolled: 1-line block ×4, first 2 shown]
	v_cmp_eq_u32_e64 s[10:11], 0, v0
	s_addc_u32 s46, s21, 0
	v_mov_b32_e32 v2, s27
	s_mov_b64 s[34:35], s[24:25]
	s_branch .LBB27_7
.LBB27_6:                               ;   in Loop: Header=BB27_7 Depth=1
	s_or_b64 exec, exec, s[12:13]
	s_add_u32 s34, s34, 1
	s_addc_u32 s35, s35, 0
	v_cmp_ge_i64_e32 vcc, s[34:35], v[1:2]
	s_cbranch_vccnz .LBB27_34
.LBB27_7:                               ; =>This Loop Header: Depth=1
                                        ;     Child Loop BB27_9 Depth 2
                                        ;     Child Loop BB27_23 Depth 2
	;; [unrolled: 1-line block ×5, first 2 shown]
	s_lshl_b64 s[36:37], s[34:35], 3
	s_add_u32 s12, s16, s36
	s_addc_u32 s13, s17, s37
	s_load_dwordx4 s[48:51], s[12:13], 0x0
	v_mov_b32_e32 v9, 0
	v_mov_b32_e32 v8, 0
	s_waitcnt lgkmcnt(0)
	s_sub_u32 s40, s50, s30
	v_mov_b32_e32 v4, s49
	v_add_co_u32_e32 v3, vcc, s48, v5
	s_subb_u32 s41, s51, 0
	v_addc_co_u32_e32 v4, vcc, v4, v14, vcc
	v_cmp_gt_i64_e32 vcc, s[40:41], v[3:4]
	s_and_saveexec_b64 s[42:43], vcc
	s_cbranch_execz .LBB27_11
; %bb.8:                                ;   in Loop: Header=BB27_7 Depth=1
	v_lshlrev_b64 v[8:9], 2, v[3:4]
	v_mov_b32_e32 v11, s19
	v_add_co_u32_e32 v10, vcc, s18, v8
	v_addc_co_u32_e32 v11, vcc, v11, v9, vcc
	v_lshlrev_b64 v[8:9], 3, v[3:4]
	v_mov_b32_e32 v13, s46
	v_add_co_u32_e32 v12, vcc, s33, v8
	v_addc_co_u32_e32 v13, vcc, v13, v9, vcc
	v_mov_b32_e32 v9, 0
	s_mov_b64 s[44:45], 0
	v_mov_b32_e32 v8, v9
.LBB27_9:                               ;   Parent Loop BB27_7 Depth=1
                                        ; =>  This Inner Loop Header: Depth=2
	global_load_dword v19, v[10:11], off
	global_load_dwordx2 v[16:17], v[12:13], off offset:-4
	v_mov_b32_e32 v21, s23
	s_waitcnt vmcnt(1)
	v_subrev_u32_e32 v19, s30, v19
	v_ashrrev_i32_e32 v20, 31, v19
	v_lshlrev_b64 v[19:20], 3, v[19:20]
	s_waitcnt vmcnt(0)
	v_cndmask_b32_e64 v17, v17, -v17, s[38:39]
	v_add_co_u32_e32 v19, vcc, s22, v19
	v_addc_co_u32_e32 v20, vcc, v21, v20, vcc
	global_load_dwordx2 v[19:20], v[19:20], off
	v_add_co_u32_e32 v3, vcc, s31, v3
	v_addc_co_u32_e32 v4, vcc, 0, v4, vcc
	v_add_co_u32_e32 v10, vcc, 0x400, v10
	v_addc_co_u32_e32 v11, vcc, 0, v11, vcc
	v_cmp_le_i64_e64 s[12:13], s[40:41], v[3:4]
	v_add_co_u32_e32 v12, vcc, 0x800, v12
	v_addc_co_u32_e32 v13, vcc, 0, v13, vcc
	s_or_b64 s[44:45], s[12:13], s[44:45]
	s_waitcnt vmcnt(0)
	v_fmac_f32_e32 v8, v16, v19
	v_fmac_f32_e32 v9, v17, v19
	v_fma_f32 v8, -v17, v20, v8
	v_fmac_f32_e32 v9, v16, v20
	s_andn2_b64 exec, exec, s[44:45]
	s_cbranch_execnz .LBB27_9
; %bb.10:                               ;   in Loop: Header=BB27_7 Depth=1
	s_or_b64 exec, exec, s[44:45]
.LBB27_11:                              ;   in Loop: Header=BB27_7 Depth=1
	s_or_b64 exec, exec, s[42:43]
	ds_write_b64 v18, v[8:9]
	s_waitcnt lgkmcnt(0)
	s_barrier
	s_and_saveexec_b64 s[12:13], s[0:1]
	s_cbranch_execz .LBB27_13
; %bb.12:                               ;   in Loop: Header=BB27_7 Depth=1
	ds_read2st64_b64 v[8:11], v18 offset1:4
	ds_read2st64_b64 v[19:22], v18 offset0:8 offset1:12
	s_waitcnt lgkmcnt(0)
	v_add_f32_e32 v3, v19, v10
	v_add_f32_e32 v4, v20, v11
	;; [unrolled: 1-line block ×6, first 2 shown]
	ds_write_b64 v18, v[3:4]
.LBB27_13:                              ;   in Loop: Header=BB27_7 Depth=1
	s_or_b64 exec, exec, s[12:13]
	s_waitcnt lgkmcnt(0)
	s_barrier
	s_and_saveexec_b64 s[12:13], s[2:3]
	s_cbranch_execz .LBB27_15
; %bb.14:                               ;   in Loop: Header=BB27_7 Depth=1
	ds_read2st64_b64 v[8:11], v18 offset1:1
	ds_read2st64_b64 v[19:22], v18 offset0:2 offset1:3
	s_waitcnt lgkmcnt(0)
	v_add_f32_e32 v3, v19, v10
	v_add_f32_e32 v4, v20, v11
	;; [unrolled: 1-line block ×6, first 2 shown]
	ds_write_b64 v18, v[3:4]
.LBB27_15:                              ;   in Loop: Header=BB27_7 Depth=1
	s_or_b64 exec, exec, s[12:13]
	s_waitcnt lgkmcnt(0)
	s_barrier
	s_and_saveexec_b64 s[12:13], s[6:7]
	s_cbranch_execz .LBB27_17
; %bb.16:                               ;   in Loop: Header=BB27_7 Depth=1
	ds_read2_b64 v[8:11], v18 offset1:16
	ds_read2_b64 v[19:22], v18 offset0:32 offset1:48
	s_waitcnt lgkmcnt(0)
	v_add_f32_e32 v3, v19, v10
	v_add_f32_e32 v4, v20, v11
	;; [unrolled: 1-line block ×6, first 2 shown]
	ds_write_b64 v18, v[3:4]
.LBB27_17:                              ;   in Loop: Header=BB27_7 Depth=1
	s_or_b64 exec, exec, s[12:13]
	s_waitcnt lgkmcnt(0)
	s_barrier
	s_and_saveexec_b64 s[12:13], s[8:9]
	s_cbranch_execz .LBB27_19
; %bb.18:                               ;   in Loop: Header=BB27_7 Depth=1
	ds_read2_b64 v[8:11], v18 offset1:4
	ds_read2_b64 v[19:22], v18 offset0:8 offset1:12
	s_waitcnt lgkmcnt(0)
	v_add_f32_e32 v3, v19, v10
	v_add_f32_e32 v4, v20, v11
	;; [unrolled: 1-line block ×6, first 2 shown]
	ds_write_b64 v18, v[3:4]
.LBB27_19:                              ;   in Loop: Header=BB27_7 Depth=1
	s_or_b64 exec, exec, s[12:13]
	s_waitcnt lgkmcnt(0)
	s_barrier
	s_and_saveexec_b64 s[12:13], s[10:11]
	s_cbranch_execz .LBB27_21
; %bb.20:                               ;   in Loop: Header=BB27_7 Depth=1
	ds_read_b128 v[8:11], v15 offset:16
	ds_read_b64 v[3:4], v15 offset:8
	ds_read_b64 v[12:13], v18
	s_waitcnt lgkmcnt(1)
	v_add_f32_e32 v3, v8, v3
	v_add_f32_e32 v4, v9, v4
	;; [unrolled: 1-line block ×4, first 2 shown]
	s_waitcnt lgkmcnt(0)
	v_add_f32_e32 v3, v3, v12
	v_add_f32_e32 v4, v4, v13
	ds_write_b64 v18, v[3:4]
.LBB27_21:                              ;   in Loop: Header=BB27_7 Depth=1
	s_or_b64 exec, exec, s[12:13]
	s_waitcnt lgkmcnt(0)
	s_barrier
	s_and_saveexec_b64 s[12:13], s[10:11]
	s_cbranch_execz .LBB27_6
; %bb.22:                               ;   in Loop: Header=BB27_7 Depth=1
	ds_read_b64 v[3:4], v15
	s_mov_b64 s[40:41], exec
	v_bfrev_b32_e32 v10, 1
	s_waitcnt lgkmcnt(0)
	v_mul_f32_e64 v8, v4, -v7
	v_fmac_f32_e32 v8, v6, v3
.LBB27_23:                              ;   Parent Loop BB27_7 Depth=1
                                        ; =>  This Inner Loop Header: Depth=2
	s_ff1_i32_b64 s42, s[40:41]
	v_readlane_b32 s44, v8, s42
	s_lshl_b64 s[42:43], 1, s42
	s_andn2_b64 s[40:41], s[40:41], s[42:43]
	s_cmp_lg_u64 s[40:41], 0
	v_add_f32_e32 v10, s44, v10
	s_cbranch_scc1 .LBB27_23
; %bb.24:                               ;   in Loop: Header=BB27_7 Depth=1
	v_mbcnt_lo_u32_b32 v8, exec_lo, 0
	s_add_u32 s36, s14, s36
	v_mbcnt_hi_u32_b32 v8, exec_hi, v8
	s_addc_u32 s37, s15, s37
	v_cmp_eq_u32_e32 vcc, 0, v8
	s_and_saveexec_b64 s[40:41], vcc
	s_xor_b64 s[40:41], exec, s[40:41]
	s_cbranch_execz .LBB27_28
; %bb.25:                               ;   in Loop: Header=BB27_7 Depth=1
	global_load_dword v9, v15, s[36:37]
	s_mov_b64 s[42:43], 0
.LBB27_26:                              ;   Parent Loop BB27_7 Depth=1
                                        ; =>  This Inner Loop Header: Depth=2
	s_waitcnt vmcnt(0)
	v_add_f32_e32 v8, v9, v10
	global_atomic_cmpswap v8, v15, v[8:9], s[36:37] glc
	s_waitcnt vmcnt(0)
	v_cmp_eq_u32_e32 vcc, v8, v9
	s_or_b64 s[42:43], vcc, s[42:43]
	v_mov_b32_e32 v9, v8
	s_andn2_b64 exec, exec, s[42:43]
	s_cbranch_execnz .LBB27_26
; %bb.27:                               ;   in Loop: Header=BB27_7 Depth=1
	s_or_b64 exec, exec, s[42:43]
.LBB27_28:                              ;   in Loop: Header=BB27_7 Depth=1
	s_or_b64 exec, exec, s[40:41]
	v_mul_f32_e32 v4, v6, v4
	s_mov_b64 s[40:41], exec
	v_fmac_f32_e32 v4, v7, v3
	v_bfrev_b32_e32 v8, 1
.LBB27_29:                              ;   Parent Loop BB27_7 Depth=1
                                        ; =>  This Inner Loop Header: Depth=2
	s_ff1_i32_b64 s42, s[40:41]
	v_readlane_b32 s44, v4, s42
	s_lshl_b64 s[42:43], 1, s42
	s_andn2_b64 s[40:41], s[40:41], s[42:43]
	s_cmp_lg_u64 s[40:41], 0
	v_add_f32_e32 v8, s44, v8
	s_cbranch_scc1 .LBB27_29
; %bb.30:                               ;   in Loop: Header=BB27_7 Depth=1
	v_mbcnt_lo_u32_b32 v3, exec_lo, 0
	v_mbcnt_hi_u32_b32 v3, exec_hi, v3
	v_cmp_eq_u32_e32 vcc, 0, v3
	s_and_saveexec_b64 s[40:41], vcc
	s_xor_b64 s[40:41], exec, s[40:41]
	s_cbranch_execz .LBB27_6
; %bb.31:                               ;   in Loop: Header=BB27_7 Depth=1
	global_load_dword v4, v15, s[36:37] offset:4
	s_mov_b64 s[40:41], 0
.LBB27_32:                              ;   Parent Loop BB27_7 Depth=1
                                        ; =>  This Inner Loop Header: Depth=2
	s_waitcnt vmcnt(0)
	v_add_f32_e32 v3, v4, v8
	global_atomic_cmpswap v3, v15, v[3:4], s[36:37] offset:4 glc
	s_waitcnt vmcnt(0)
	v_cmp_eq_u32_e32 vcc, v3, v4
	s_or_b64 s[40:41], vcc, s[40:41]
	v_mov_b32_e32 v4, v3
	s_andn2_b64 exec, exec, s[40:41]
	s_cbranch_execnz .LBB27_32
; %bb.33:                               ;   in Loop: Header=BB27_7 Depth=1
	s_or_b64 exec, exec, s[40:41]
	s_branch .LBB27_6
.LBB27_34:
	s_lshl_b64 s[0:1], s[24:25], 3
	s_add_u32 s0, s16, s0
	s_addc_u32 s1, s17, s1
	s_lshl_b64 s[2:3], s[26:27], 3
	s_add_u32 s2, s16, s2
	s_addc_u32 s3, s17, s3
	s_load_dwordx2 s[8:9], s[0:1], 0x0
	s_load_dwordx2 s[6:7], s[2:3], 0x0
	s_waitcnt lgkmcnt(0)
	v_mov_b32_e32 v2, s9
	s_sub_u32 s6, s6, s30
	v_add_co_u32_e32 v1, vcc, s8, v5
	s_subb_u32 s7, s7, 0
	v_addc_co_u32_e32 v2, vcc, v2, v14, vcc
	v_cmp_gt_i64_e32 vcc, s[6:7], v[1:2]
	s_and_saveexec_b64 s[8:9], vcc
	s_cbranch_execz .LBB27_46
; %bb.35:
	s_add_u32 s10, s26, -1
	s_addc_u32 s11, s27, -1
	v_mov_b32_e32 v3, s10
	s_add_u32 s0, s26, -2
	v_mov_b32_e32 v4, s11
	s_addc_u32 s1, s27, -1
	v_cmp_lt_i64_e32 vcc, s[24:25], v[3:4]
	s_cmp_lg_u64 s[24:25], s[0:1]
	s_cselect_b64 s[0:1], -1, 0
	s_and_b64 s[0:1], vcc, s[0:1]
	v_cndmask_b32_e64 v3, 0, 1, s[0:1]
	s_mov_b64 s[12:13], 0
	v_cmp_ne_u32_e64 s[0:1], 1, v3
	v_mov_b32_e32 v5, s17
	v_mov_b32_e32 v12, s19
	s_branch .LBB27_37
.LBB27_36:                              ;   in Loop: Header=BB27_37 Depth=1
	s_or_b64 exec, exec, s[2:3]
	v_add_co_u32_e32 v1, vcc, 0x100, v1
	v_addc_co_u32_e32 v2, vcc, 0, v2, vcc
	v_cmp_le_i64_e32 vcc, s[6:7], v[1:2]
	s_or_b64 s[12:13], vcc, s[12:13]
	s_andn2_b64 exec, exec, s[12:13]
	s_cbranch_execz .LBB27_46
.LBB27_37:                              ; =>This Loop Header: Depth=1
                                        ;     Child Loop BB27_39 Depth 2
                                        ;     Child Loop BB27_43 Depth 2
	;; [unrolled: 1-line block ×3, first 2 shown]
	v_mov_b32_e32 v3, s24
	v_mov_b32_e32 v8, s10
	s_and_b64 vcc, exec, s[0:1]
	v_mov_b32_e32 v4, s25
	v_mov_b32_e32 v9, s11
	s_cbranch_vccnz .LBB27_41
; %bb.38:                               ;   in Loop: Header=BB27_37 Depth=1
	v_mov_b32_e32 v3, s24
	v_mov_b32_e32 v8, s10
	s_mov_b64 s[34:35], 0
	v_mov_b32_e32 v4, s25
	v_mov_b32_e32 v9, s11
.LBB27_39:                              ;   Parent Loop BB27_37 Depth=1
                                        ; =>  This Inner Loop Header: Depth=2
	v_add_co_u32_e32 v10, vcc, v8, v3
	v_addc_co_u32_e32 v11, vcc, v9, v4, vcc
	v_lshrrev_b32_e32 v13, 31, v11
	v_add_co_u32_e32 v10, vcc, v10, v13
	v_addc_co_u32_e32 v11, vcc, 0, v11, vcc
	v_ashrrev_i64 v[10:11], 1, v[10:11]
	v_mov_b32_e32 v15, s17
	v_lshlrev_b64 v[13:14], 3, v[10:11]
	v_add_co_u32_e32 v13, vcc, s16, v13
	v_addc_co_u32_e32 v14, vcc, v15, v14, vcc
	global_load_dwordx2 v[13:14], v[13:14], off
	s_waitcnt vmcnt(0)
	v_subrev_co_u32_e32 v13, vcc, s30, v13
	v_subbrev_co_u32_e32 v14, vcc, 0, v14, vcc
	v_cmp_lt_i64_e32 vcc, v[1:2], v[13:14]
	v_cndmask_b32_e32 v8, v8, v10, vcc
	v_cndmask_b32_e32 v9, v9, v11, vcc
	;; [unrolled: 1-line block ×3, first 2 shown]
	v_add_co_u32_e64 v10, s[2:3], -1, v8
	v_cndmask_b32_e32 v4, v11, v4, vcc
	v_addc_co_u32_e64 v11, s[2:3], -1, v9, s[2:3]
	v_cmp_ge_i64_e32 vcc, v[3:4], v[8:9]
	v_cmp_eq_u64_e64 s[2:3], v[3:4], v[10:11]
	s_or_b64 s[2:3], vcc, s[2:3]
	s_and_b64 s[2:3], exec, s[2:3]
	s_or_b64 s[34:35], s[2:3], s[34:35]
	s_andn2_b64 exec, exec, s[34:35]
	s_cbranch_execnz .LBB27_39
; %bb.40:                               ;   in Loop: Header=BB27_37 Depth=1
	s_or_b64 exec, exec, s[34:35]
.LBB27_41:                              ;   in Loop: Header=BB27_37 Depth=1
	v_lshlrev_b64 v[10:11], 3, v[8:9]
	v_lshlrev_b64 v[13:14], 2, v[1:2]
	v_add_co_u32_e32 v10, vcc, s16, v10
	v_addc_co_u32_e32 v11, vcc, v5, v11, vcc
	global_load_dwordx2 v[10:11], v[10:11], off
	v_add_co_u32_e32 v13, vcc, s18, v13
	v_addc_co_u32_e32 v14, vcc, v12, v14, vcc
	global_load_dword v15, v[13:14], off
	s_waitcnt vmcnt(1)
	v_subrev_co_u32_e32 v13, vcc, s30, v10
	v_subbrev_co_u32_e32 v14, vcc, 0, v11, vcc
	v_cmp_lt_i64_e32 vcc, v[1:2], v[13:14]
	s_waitcnt vmcnt(0)
	v_subrev_u32_e32 v10, s30, v15
	v_cndmask_b32_e32 v4, v9, v4, vcc
	v_cndmask_b32_e32 v3, v8, v3, vcc
	v_ashrrev_i32_e32 v11, 31, v10
	v_cmp_ne_u64_e32 vcc, v[3:4], v[10:11]
	s_and_saveexec_b64 s[2:3], vcc
	s_cbranch_execz .LBB27_36
; %bb.42:                               ;   in Loop: Header=BB27_37 Depth=1
	v_lshlrev_b64 v[8:9], 3, v[1:2]
	v_mov_b32_e32 v14, s21
	v_add_co_u32_e32 v8, vcc, s20, v8
	v_addc_co_u32_e32 v9, vcc, v14, v9, vcc
	v_lshlrev_b64 v[3:4], 3, v[3:4]
	global_load_dwordx2 v[15:16], v[8:9], off
	v_lshlrev_b64 v[10:11], 3, v[10:11]
	v_mov_b32_e32 v8, s23
	v_add_co_u32_e32 v3, vcc, s22, v3
	v_addc_co_u32_e32 v4, vcc, v8, v4, vcc
	v_mov_b32_e32 v13, s15
	global_load_dwordx2 v[8:9], v[3:4], off
	v_add_co_u32_e32 v3, vcc, s14, v10
	v_addc_co_u32_e32 v4, vcc, v13, v11, vcc
	global_load_dword v11, v[3:4], off
	s_mov_b64 s[34:35], 0
	s_waitcnt vmcnt(2)
	v_cndmask_b32_e64 v10, v16, -v16, s[38:39]
	v_mul_f32_e32 v14, v6, v10
	v_mul_f32_e64 v13, v10, -v7
	v_fmac_f32_e32 v14, v7, v15
	v_fmac_f32_e32 v13, v6, v15
	s_waitcnt vmcnt(1)
	v_mul_f32_e64 v15, v9, -v14
	v_fmac_f32_e32 v15, v13, v8
.LBB27_43:                              ;   Parent Loop BB27_37 Depth=1
                                        ; =>  This Inner Loop Header: Depth=2
	s_waitcnt vmcnt(0)
	v_add_f32_e32 v10, v11, v15
	global_atomic_cmpswap v10, v[3:4], v[10:11], off glc
	s_waitcnt vmcnt(0)
	v_cmp_eq_u32_e32 vcc, v10, v11
	s_or_b64 s[34:35], vcc, s[34:35]
	v_mov_b32_e32 v11, v10
	s_andn2_b64 exec, exec, s[34:35]
	s_cbranch_execnz .LBB27_43
; %bb.44:                               ;   in Loop: Header=BB27_37 Depth=1
	s_or_b64 exec, exec, s[34:35]
	global_load_dword v10, v[3:4], off offset:4
	v_mul_f32_e32 v11, v9, v13
	v_fmac_f32_e32 v11, v14, v8
	s_mov_b64 s[34:35], 0
.LBB27_45:                              ;   Parent Loop BB27_37 Depth=1
                                        ; =>  This Inner Loop Header: Depth=2
	s_waitcnt vmcnt(0)
	v_add_f32_e32 v9, v10, v11
	global_atomic_cmpswap v8, v[3:4], v[9:10], off offset:4 glc
	s_waitcnt vmcnt(0)
	v_cmp_eq_u32_e32 vcc, v8, v10
	s_or_b64 s[34:35], vcc, s[34:35]
	v_mov_b32_e32 v10, v8
	s_andn2_b64 exec, exec, s[34:35]
	s_cbranch_execnz .LBB27_45
	s_branch .LBB27_36
.LBB27_46:
	s_or_b64 exec, exec, s[8:9]
	s_mov_b64 s[0:1], 0
.LBB27_47:
	s_and_b64 vcc, exec, s[0:1]
	s_cbranch_vccz .LBB27_179
; %bb.48:
	s_load_dword s0, s[4:5], 0x6c
	v_mov_b32_e32 v1, s28
	s_mov_b32 s13, 0
	v_mov_b32_e32 v2, s29
	s_mov_b64 s[36:37], 0
	s_waitcnt lgkmcnt(0)
	s_and_b32 s12, s0, 0xffff
	v_cmp_lt_u64_e32 vcc, s[12:13], v[1:2]
	s_cbranch_vccnz .LBB27_50
; %bb.49:
	v_cvt_f32_u32_e32 v1, s28
	s_sub_i32 s0, 0, s28
	v_rcp_iflag_f32_e32 v1, v1
	v_mul_f32_e32 v1, 0x4f7ffffe, v1
	v_cvt_u32_f32_e32 v1, v1
	v_readfirstlane_b32 s1, v1
	s_mul_i32 s0, s0, s1
	s_mul_hi_u32 s0, s1, s0
	s_add_i32 s1, s1, s0
	s_mul_hi_u32 s0, s12, s1
	s_mul_i32 s2, s0, s28
	s_sub_i32 s2, s12, s2
	s_add_i32 s1, s0, 1
	s_sub_i32 s3, s2, s28
	s_cmp_ge_u32 s2, s28
	s_cselect_b32 s0, s1, s0
	s_cselect_b32 s2, s3, s2
	s_add_i32 s1, s0, 1
	s_cmp_ge_u32 s2, s28
	s_cselect_b32 s36, s1, s0
.LBB27_50:
	s_lshl_b64 s[0:1], s[24:25], 3
	s_add_u32 s34, s16, s0
	s_addc_u32 s35, s17, s1
	s_load_dwordx2 s[6:7], s[34:35], 0x0
	s_load_dwordx4 s[8:11], s[4:5], 0x8
	v_subrev_co_u32_e32 v1, vcc, s30, v0
	v_subb_co_u32_e64 v3, s[0:1], 0, 0, vcc
	s_waitcnt lgkmcnt(0)
	v_mov_b32_e32 v4, s7
	v_add_co_u32_e32 v2, vcc, s6, v1
	v_addc_co_u32_e32 v3, vcc, v4, v3, vcc
	v_add_co_u32_e32 v4, vcc, 0x300, v2
	v_addc_co_u32_e32 v5, vcc, 0, v3, vcc
	v_cmp_le_i64_e64 s[0:1], s[8:9], v[4:5]
	v_mov_b32_e32 v1, 0
	s_and_saveexec_b64 s[2:3], s[0:1]
	s_xor_b64 s[2:3], exec, s[2:3]
	s_cbranch_execnz .LBB27_53
; %bb.51:
	s_andn2_saveexec_b64 s[2:3], s[2:3]
	s_cbranch_execnz .LBB27_57
.LBB27_52:
	s_or_b64 exec, exec, s[2:3]
	v_cmp_gt_i64_e32 vcc, s[10:11], v[0:1]
	s_and_saveexec_b64 s[2:3], vcc
	s_cbranch_execnz .LBB27_58
	s_branch .LBB27_60
.LBB27_53:
	s_lshl_b64 s[4:5], s[26:27], 3
	s_add_u32 s4, s16, s4
	s_addc_u32 s5, s17, s5
	s_load_dwordx2 s[4:5], s[4:5], 0x0
	s_waitcnt lgkmcnt(0)
	s_sub_u32 s4, s4, s6
	s_subb_u32 s5, s5, s7
	v_cmp_gt_i64_e32 vcc, s[4:5], v[0:1]
	s_and_saveexec_b64 s[8:9], vcc
	s_cbranch_execz .LBB27_56
; %bb.54:
	v_lshlrev_b64 v[8:9], 3, v[2:3]
	v_mov_b32_e32 v10, s21
	v_add_co_u32_e32 v8, vcc, s20, v8
	v_addc_co_u32_e32 v9, vcc, v10, v9, vcc
	v_add_co_u32_e32 v8, vcc, 4, v8
	v_mov_b32_e32 v11, v1
	v_addc_co_u32_e32 v9, vcc, 0, v9, vcc
	s_mov_b64 s[40:41], 0
	v_mov_b32_e32 v12, v18
	v_mov_b32_e32 v10, v0
.LBB27_55:                              ; =>This Inner Loop Header: Depth=1
	global_load_dwordx2 v[13:14], v[8:9], off offset:-4
	v_add_co_u32_e32 v8, vcc, 0x800, v8
	v_addc_co_u32_e32 v9, vcc, 0, v9, vcc
	v_add_co_u32_e32 v10, vcc, 0x100, v10
	v_addc_co_u32_e32 v11, vcc, 0, v11, vcc
	v_cmp_le_i64_e32 vcc, s[4:5], v[10:11]
	s_or_b64 s[40:41], vcc, s[40:41]
	s_waitcnt vmcnt(0)
	v_cndmask_b32_e64 v15, v14, -v14, s[38:39]
	v_mul_f32_e64 v14, v15, -v7
	v_mul_f32_e32 v15, v6, v15
	v_fmac_f32_e32 v14, v6, v13
	v_fmac_f32_e32 v15, v7, v13
	ds_write_b64 v12, v[14:15]
	v_add_u32_e32 v12, 0x800, v12
	s_andn2_b64 exec, exec, s[40:41]
	s_cbranch_execnz .LBB27_55
.LBB27_56:
	s_or_b64 exec, exec, s[8:9]
                                        ; implicit-def: $vgpr6_vgpr7
	s_andn2_saveexec_b64 s[2:3], s[2:3]
	s_cbranch_execz .LBB27_52
.LBB27_57:
	v_lshlrev_b64 v[8:9], 3, v[2:3]
	v_mov_b32_e32 v10, s21
	v_add_co_u32_e32 v8, vcc, s20, v8
	v_addc_co_u32_e32 v9, vcc, v10, v9, vcc
	s_movk_i32 s4, 0x1000
	global_load_dwordx2 v[10:11], v[8:9], off
	global_load_dwordx2 v[12:13], v[8:9], off offset:2048
	v_add_co_u32_e32 v8, vcc, s4, v8
	v_addc_co_u32_e32 v9, vcc, 0, v9, vcc
	global_load_dwordx2 v[14:15], v[8:9], off
	global_load_dwordx2 v[16:17], v[8:9], off offset:2048
	s_waitcnt vmcnt(3)
	v_cndmask_b32_e64 v9, v11, -v11, s[38:39]
	s_waitcnt vmcnt(2)
	v_cndmask_b32_e64 v11, v13, -v13, s[38:39]
	v_mul_f32_e64 v8, v9, -v7
	v_mul_f32_e32 v9, v6, v9
	v_mul_f32_e64 v19, v11, -v7
	v_mul_f32_e32 v20, v6, v11
	s_waitcnt vmcnt(1)
	v_cndmask_b32_e64 v11, v15, -v15, s[38:39]
	s_waitcnt vmcnt(0)
	v_cndmask_b32_e64 v13, v17, -v17, s[38:39]
	v_fmac_f32_e32 v8, v6, v10
	v_fmac_f32_e32 v9, v7, v10
	;; [unrolled: 1-line block ×4, first 2 shown]
	v_mul_f32_e64 v10, v11, -v7
	v_mul_f32_e32 v11, v6, v11
	v_mul_f32_e64 v12, v13, -v7
	v_mul_f32_e32 v13, v6, v13
	v_fmac_f32_e32 v10, v6, v14
	v_fmac_f32_e32 v11, v7, v14
	;; [unrolled: 1-line block ×4, first 2 shown]
	ds_write2st64_b64 v18, v[8:9], v[19:20] offset1:4
	ds_write2st64_b64 v18, v[10:11], v[12:13] offset0:8 offset1:12
	s_or_b64 exec, exec, s[2:3]
	v_cmp_gt_i64_e32 vcc, s[10:11], v[0:1]
	s_and_saveexec_b64 s[2:3], vcc
	s_cbranch_execz .LBB27_60
.LBB27_58:
	v_mov_b32_e32 v6, 0x2000
	v_lshl_add_u32 v8, v0, 3, v6
	v_mov_b32_e32 v7, v1
	s_mov_b64 s[4:5], 0
	v_mov_b32_e32 v9, 0
	v_mov_b32_e32 v6, v0
.LBB27_59:                              ; =>This Inner Loop Header: Depth=1
	v_add_co_u32_e32 v6, vcc, 0x100, v6
	v_addc_co_u32_e32 v7, vcc, 0, v7, vcc
	v_cmp_le_i64_e32 vcc, s[10:11], v[6:7]
	ds_write2_b32 v8, v9, v9 offset1:1
	s_or_b64 s[4:5], vcc, s[4:5]
	v_add_u32_e32 v8, 0x800, v8
	s_andn2_b64 exec, exec, s[4:5]
	s_cbranch_execnz .LBB27_59
.LBB27_60:
	s_or_b64 exec, exec, s[2:3]
	v_mov_b32_e32 v6, s10
	v_mov_b32_e32 v7, s11
	s_sub_u32 s4, s26, s10
	v_cmp_ge_i64_e32 vcc, s[26:27], v[6:7]
	s_subb_u32 s5, s27, s11
	s_and_b64 s[2:3], vcc, exec
	s_cselect_b32 s9, s5, 0
	s_cselect_b32 s8, s4, 0
	s_waitcnt lgkmcnt(0)
	s_barrier
	s_and_saveexec_b64 s[2:3], s[0:1]
	s_xor_b64 s[20:21], exec, s[2:3]
	s_cbranch_execz .LBB27_81
; %bb.61:
	s_lshl_b64 s[0:1], s[26:27], 3
	s_add_u32 s0, s16, s0
	s_addc_u32 s1, s17, s1
	s_load_dwordx2 s[0:1], s[0:1], 0x0
	s_waitcnt lgkmcnt(0)
	s_sub_u32 s38, s0, s6
	s_subb_u32 s39, s1, s7
	v_cmp_gt_i64_e32 vcc, s[38:39], v[0:1]
	s_and_saveexec_b64 s[40:41], vcc
	s_cbranch_execz .LBB27_80
; %bb.62:
	s_add_u32 s42, s26, -1
	s_addc_u32 s43, s27, -1
	s_add_u32 s2, s26, -2
	s_addc_u32 s3, s27, -1
	s_cmp_lg_u64 s[24:25], s[2:3]
	s_cselect_b64 s[2:3], -1, 0
	s_sub_u32 s44, s0, s30
	v_cndmask_b32_e64 v4, 0, 1, s[2:3]
	s_subb_u32 s45, s1, 0
	s_mov_b64 s[46:47], 0
	v_cmp_ne_u32_e64 s[0:1], 1, v4
	v_mov_b32_e32 v14, s17
	v_mov_b32_e32 v15, s19
	;; [unrolled: 1-line block ×4, first 2 shown]
	s_mov_b64 s[48:49], 0
	s_branch .LBB27_65
.LBB27_63:                              ;   in Loop: Header=BB27_65 Depth=1
	s_or_b64 exec, exec, s[2:3]
.LBB27_64:                              ;   in Loop: Header=BB27_65 Depth=1
	s_or_b64 exec, exec, s[4:5]
	v_lshlrev_b64 v[4:5], 3, v[4:5]
	v_lshlrev_b32_e32 v9, 3, v19
	v_add_co_u32_e32 v4, vcc, s22, v4
	v_addc_co_u32_e32 v5, vcc, v16, v5, vcc
	global_load_dwordx2 v[4:5], v[4:5], off
	s_add_u32 s48, s48, 0x100
	ds_read_b32 v10, v9 offset:4
	s_addc_u32 s49, s49, 0
	v_mov_b32_e32 v8, s49
	v_add_co_u32_e32 v7, vcc, s48, v0
	v_addc_co_u32_e32 v8, vcc, 0, v8, vcc
	v_cmp_le_i64_e32 vcc, s[38:39], v[7:8]
	s_or_b64 s[46:47], vcc, s[46:47]
	s_waitcnt vmcnt(0) lgkmcnt(0)
	v_mul_f32_e64 v7, v5, -v10
	v_mul_f32_e32 v8, v5, v6
	v_fmac_f32_e32 v7, v6, v4
	v_fmac_f32_e32 v8, v10, v4
	ds_write_b64 v9, v[7:8]
	s_andn2_b64 exec, exec, s[46:47]
	s_cbranch_execz .LBB27_80
.LBB27_65:                              ; =>This Loop Header: Depth=1
                                        ;     Child Loop BB27_67 Depth 2
                                        ;     Child Loop BB27_74 Depth 2
	;; [unrolled: 1-line block ×3, first 2 shown]
	v_mov_b32_e32 v4, s49
	v_add_co_u32_e32 v5, vcc, s48, v2
	v_addc_co_u32_e32 v6, vcc, v4, v3, vcc
	v_mov_b32_e32 v7, s24
	v_mov_b32_e32 v9, s42
	s_and_b64 vcc, exec, s[0:1]
	v_mov_b32_e32 v8, s25
	v_mov_b32_e32 v10, s43
	s_cbranch_vccnz .LBB27_69
; %bb.66:                               ;   in Loop: Header=BB27_65 Depth=1
	v_mov_b32_e32 v7, s24
	v_mov_b32_e32 v9, s42
	s_mov_b64 s[4:5], 0
	v_mov_b32_e32 v8, s25
	v_mov_b32_e32 v10, s43
.LBB27_67:                              ;   Parent Loop BB27_65 Depth=1
                                        ; =>  This Inner Loop Header: Depth=2
	v_add_co_u32_e32 v4, vcc, v9, v7
	v_addc_co_u32_e32 v12, vcc, v10, v8, vcc
	v_lshrrev_b32_e32 v11, 31, v12
	v_add_co_u32_e32 v11, vcc, v4, v11
	v_addc_co_u32_e32 v12, vcc, 0, v12, vcc
	v_ashrrev_i64 v[11:12], 1, v[11:12]
	v_mov_b32_e32 v13, s17
	v_lshlrev_b64 v[19:20], 3, v[11:12]
	v_add_co_u32_e32 v19, vcc, s16, v19
	v_addc_co_u32_e32 v20, vcc, v13, v20, vcc
	global_load_dwordx2 v[19:20], v[19:20], off
	s_waitcnt vmcnt(0)
	v_subrev_co_u32_e32 v19, vcc, s30, v19
	v_subbrev_co_u32_e32 v20, vcc, 0, v20, vcc
	v_cmp_lt_i64_e32 vcc, v[5:6], v[19:20]
	v_cndmask_b32_e32 v9, v9, v11, vcc
	v_cndmask_b32_e32 v10, v10, v12, vcc
	;; [unrolled: 1-line block ×3, first 2 shown]
	v_add_co_u32_e64 v11, s[2:3], -1, v9
	v_cndmask_b32_e32 v8, v12, v8, vcc
	v_addc_co_u32_e64 v12, s[2:3], -1, v10, s[2:3]
	v_cmp_ge_i64_e32 vcc, v[7:8], v[9:10]
	v_cmp_eq_u64_e64 s[2:3], v[7:8], v[11:12]
	s_or_b64 s[2:3], vcc, s[2:3]
	s_and_b64 s[2:3], exec, s[2:3]
	s_or_b64 s[4:5], s[2:3], s[4:5]
	s_andn2_b64 exec, exec, s[4:5]
	s_cbranch_execnz .LBB27_67
; %bb.68:                               ;   in Loop: Header=BB27_65 Depth=1
	s_or_b64 exec, exec, s[4:5]
.LBB27_69:                              ;   in Loop: Header=BB27_65 Depth=1
	v_lshlrev_b64 v[11:12], 3, v[9:10]
	v_lshlrev_b64 v[19:20], 2, v[5:6]
	v_add_co_u32_e32 v11, vcc, s16, v11
	v_addc_co_u32_e32 v12, vcc, v14, v12, vcc
	global_load_dwordx2 v[11:12], v[11:12], off
	v_add_co_u32_e32 v19, vcc, s18, v19
	v_addc_co_u32_e32 v20, vcc, v15, v20, vcc
	global_load_dword v4, v[19:20], off
	v_cmp_le_i64_e32 vcc, s[44:45], v[5:6]
	v_add_co_u32_e64 v19, s[4:5], s48, v0
	s_waitcnt vmcnt(1)
	v_subrev_co_u32_e64 v11, s[2:3], s30, v11
	v_subbrev_co_u32_e64 v12, s[2:3], 0, v12, s[2:3]
	v_cmp_lt_i64_e64 s[2:3], v[5:6], v[11:12]
	s_waitcnt vmcnt(0)
	v_subrev_u32_e32 v4, s30, v4
	v_cndmask_b32_e64 v8, v10, v8, s[2:3]
	v_ashrrev_i32_e32 v5, 31, v4
	v_cndmask_b32_e64 v7, v9, v7, s[2:3]
	v_cmp_eq_u64_e64 s[2:3], v[7:8], v[4:5]
	v_lshlrev_b32_e32 v12, 3, v19
	s_or_b64 s[2:3], s[2:3], vcc
                                        ; implicit-def: $vgpr6
	s_and_saveexec_b64 s[4:5], s[2:3]
	s_xor_b64 s[2:3], exec, s[4:5]
; %bb.70:                               ;   in Loop: Header=BB27_65 Depth=1
	ds_read_b32 v6, v12
                                        ; implicit-def: $vgpr12
                                        ; implicit-def: $vgpr7_vgpr8
; %bb.71:                               ;   in Loop: Header=BB27_65 Depth=1
	s_andn2_saveexec_b64 s[4:5], s[2:3]
	s_cbranch_execz .LBB27_64
; %bb.72:                               ;   in Loop: Header=BB27_65 Depth=1
	v_cmp_gt_i64_e32 vcc, s[8:9], v[4:5]
	v_cmp_le_i64_e64 s[2:3], s[26:27], v[4:5]
	v_lshlrev_b64 v[7:8], 3, v[7:8]
	s_or_b64 s[2:3], vcc, s[2:3]
                                        ; implicit-def: $vgpr6
	s_and_saveexec_b64 s[50:51], s[2:3]
	s_xor_b64 s[2:3], exec, s[50:51]
	s_cbranch_execz .LBB27_78
; %bb.73:                               ;   in Loop: Header=BB27_65 Depth=1
	v_lshlrev_b64 v[20:21], 3, v[4:5]
	v_mov_b32_e32 v10, s23
	s_waitcnt lgkmcnt(0)
	v_add_co_u32_e32 v6, vcc, s22, v7
	v_addc_co_u32_e32 v7, vcc, v10, v8, vcc
	v_mov_b32_e32 v9, s15
	global_load_dwordx2 v[10:11], v[6:7], off
	v_add_co_u32_e32 v8, vcc, s14, v20
	v_addc_co_u32_e32 v9, vcc, v9, v21, vcc
	global_load_dword v13, v[8:9], off
	ds_read_b64 v[6:7], v12
	s_mov_b64 s[50:51], 0
	s_waitcnt vmcnt(1) lgkmcnt(0)
	v_mul_f32_e64 v20, v11, -v7
	v_fmac_f32_e32 v20, v6, v10
.LBB27_74:                              ;   Parent Loop BB27_65 Depth=1
                                        ; =>  This Inner Loop Header: Depth=2
	s_waitcnt vmcnt(0)
	v_add_f32_e32 v12, v13, v20
	global_atomic_cmpswap v12, v[8:9], v[12:13], off glc
	s_waitcnt vmcnt(0)
	v_cmp_eq_u32_e32 vcc, v12, v13
	s_or_b64 s[50:51], vcc, s[50:51]
	v_mov_b32_e32 v13, v12
	s_andn2_b64 exec, exec, s[50:51]
	s_cbranch_execnz .LBB27_74
; %bb.75:                               ;   in Loop: Header=BB27_65 Depth=1
	s_or_b64 exec, exec, s[50:51]
	global_load_dword v12, v[8:9], off offset:4
	v_mul_f32_e32 v13, v11, v6
	v_fmac_f32_e32 v13, v7, v10
	s_mov_b64 s[50:51], 0
.LBB27_76:                              ;   Parent Loop BB27_65 Depth=1
                                        ; =>  This Inner Loop Header: Depth=2
	s_waitcnt vmcnt(0)
	v_add_f32_e32 v11, v12, v13
	global_atomic_cmpswap v7, v[8:9], v[11:12], off offset:4 glc
	s_waitcnt vmcnt(0)
	v_cmp_eq_u32_e32 vcc, v7, v12
	s_or_b64 s[50:51], vcc, s[50:51]
	v_mov_b32_e32 v12, v7
	s_andn2_b64 exec, exec, s[50:51]
	s_cbranch_execnz .LBB27_76
; %bb.77:                               ;   in Loop: Header=BB27_65 Depth=1
	s_or_b64 exec, exec, s[50:51]
                                        ; implicit-def: $vgpr7_vgpr8
                                        ; implicit-def: $vgpr12
.LBB27_78:                              ;   in Loop: Header=BB27_65 Depth=1
	s_andn2_saveexec_b64 s[2:3], s[2:3]
	s_cbranch_execz .LBB27_63
; %bb.79:                               ;   in Loop: Header=BB27_65 Depth=1
	s_waitcnt lgkmcnt(0)
	v_add_co_u32_e32 v6, vcc, s22, v7
	v_addc_co_u32_e32 v7, vcc, v16, v8, vcc
	global_load_dwordx2 v[8:9], v[6:7], off
	ds_read_b64 v[6:7], v12
	v_subrev_u32_e32 v10, s8, v4
	v_lshl_add_u32 v10, v10, 3, v17
	s_waitcnt vmcnt(0) lgkmcnt(0)
	v_mul_f32_e64 v11, v9, -v7
	v_mul_f32_e32 v9, v9, v6
	v_fmac_f32_e32 v11, v6, v8
	v_fmac_f32_e32 v9, v7, v8
	ds_add_f32 v10, v11
	ds_add_f32 v10, v9 offset:4
	s_branch .LBB27_63
.LBB27_80:
	s_or_b64 exec, exec, s[40:41]
                                        ; implicit-def: $vgpr4_vgpr5
                                        ; implicit-def: $vgpr2
.LBB27_81:
	s_andn2_saveexec_b64 s[4:5], s[20:21]
	s_cbranch_execz .LBB27_139
; %bb.82:
	s_add_u32 s20, s26, -1
	s_addc_u32 s21, s27, -1
	s_add_u32 s0, s26, -2
	s_addc_u32 s1, s27, -1
	s_cmp_lg_u64 s[24:25], s[0:1]
	v_mov_b32_e32 v9, s24
	v_mov_b32_e32 v11, s20
	s_cselect_b64 s[2:3], -1, 0
	s_cmp_eq_u64 s[24:25], s[0:1]
	v_mov_b32_e32 v10, s25
	v_mov_b32_e32 v12, s21
	s_cbranch_scc1 .LBB27_86
; %bb.83:
	v_mov_b32_e32 v9, s24
	v_mov_b32_e32 v11, s20
	s_mov_b64 s[38:39], 0
	v_mov_b32_e32 v10, s25
	v_mov_b32_e32 v12, s21
	;; [unrolled: 1-line block ×3, first 2 shown]
.LBB27_84:                              ; =>This Inner Loop Header: Depth=1
	v_add_co_u32_e32 v7, vcc, v11, v9
	v_addc_co_u32_e32 v8, vcc, v12, v10, vcc
	v_lshrrev_b32_e32 v13, 31, v8
	v_add_co_u32_e32 v7, vcc, v7, v13
	v_addc_co_u32_e32 v8, vcc, 0, v8, vcc
	v_ashrrev_i64 v[7:8], 1, v[7:8]
	v_lshlrev_b64 v[13:14], 3, v[7:8]
	v_add_co_u32_e32 v13, vcc, s16, v13
	v_addc_co_u32_e32 v14, vcc, v6, v14, vcc
	global_load_dwordx2 v[13:14], v[13:14], off
	s_waitcnt vmcnt(0)
	v_subrev_co_u32_e32 v13, vcc, s30, v13
	v_subbrev_co_u32_e32 v14, vcc, 0, v14, vcc
	v_cmp_lt_i64_e32 vcc, v[2:3], v[13:14]
	v_cndmask_b32_e32 v11, v11, v7, vcc
	v_cndmask_b32_e32 v12, v12, v8, vcc
	;; [unrolled: 1-line block ×3, first 2 shown]
	v_add_co_u32_e64 v7, s[0:1], -1, v11
	v_cndmask_b32_e32 v10, v8, v10, vcc
	v_addc_co_u32_e64 v8, s[0:1], -1, v12, s[0:1]
	v_cmp_ge_i64_e32 vcc, v[9:10], v[11:12]
	v_cmp_eq_u64_e64 s[0:1], v[9:10], v[7:8]
	s_or_b64 s[0:1], vcc, s[0:1]
	s_and_b64 s[0:1], exec, s[0:1]
	s_or_b64 s[38:39], s[0:1], s[38:39]
	s_andn2_b64 exec, exec, s[38:39]
	s_cbranch_execnz .LBB27_84
; %bb.85:
	s_or_b64 exec, exec, s[38:39]
.LBB27_86:
	v_lshlrev_b64 v[6:7], 3, v[11:12]
	v_mov_b32_e32 v8, s17
	v_add_co_u32_e32 v6, vcc, s16, v6
	v_addc_co_u32_e32 v7, vcc, v8, v7, vcc
	global_load_dwordx2 v[13:14], v[6:7], off
	v_lshlrev_b64 v[6:7], 2, v[2:3]
	v_mov_b32_e32 v8, s19
	v_add_co_u32_e32 v6, vcc, s18, v6
	v_addc_co_u32_e32 v7, vcc, v8, v7, vcc
	global_load_dword v8, v[6:7], off
	s_lshl_b64 s[0:1], s[26:27], 3
	s_add_u32 s18, s16, s0
	s_addc_u32 s19, s17, s1
	s_waitcnt vmcnt(1)
	v_subrev_co_u32_e32 v13, vcc, s30, v13
	v_subbrev_co_u32_e32 v14, vcc, 0, v14, vcc
	v_cmp_lt_i64_e32 vcc, v[2:3], v[13:14]
	v_cndmask_b32_e32 v12, v12, v10, vcc
	s_waitcnt vmcnt(0)
	v_subrev_u32_e32 v8, s30, v8
	v_cndmask_b32_e32 v11, v11, v9, vcc
	v_ashrrev_i32_e32 v9, 31, v8
	v_cmp_ne_u64_e32 vcc, v[11:12], v[8:9]
	s_and_saveexec_b64 s[38:39], vcc
	s_cbranch_execz .LBB27_96
; %bb.87:
	s_load_dwordx2 s[0:1], s[18:19], 0x0
	s_waitcnt lgkmcnt(0)
	s_sub_u32 s0, s0, s30
	s_subb_u32 s1, s1, 0
	v_cmp_gt_i64_e32 vcc, s[0:1], v[2:3]
	s_and_b64 exec, exec, vcc
	s_cbranch_execz .LBB27_96
; %bb.88:
	v_cmp_gt_i64_e32 vcc, s[8:9], v[8:9]
	v_cmp_le_i64_e64 s[0:1], s[26:27], v[8:9]
	v_lshlrev_b64 v[10:11], 3, v[11:12]
	s_or_b64 s[0:1], vcc, s[0:1]
	s_and_saveexec_b64 s[40:41], s[0:1]
	s_xor_b64 s[0:1], exec, s[40:41]
	s_cbranch_execz .LBB27_94
; %bb.89:
	v_lshlrev_b64 v[14:15], 3, v[8:9]
	v_mov_b32_e32 v12, s23
	v_add_co_u32_e32 v10, vcc, s22, v10
	v_addc_co_u32_e32 v11, vcc, v12, v11, vcc
	v_mov_b32_e32 v16, s15
	global_load_dwordx2 v[12:13], v[10:11], off
	v_add_co_u32_e32 v10, vcc, s14, v14
	v_addc_co_u32_e32 v11, vcc, v16, v15, vcc
	global_load_dword v17, v[10:11], off
	ds_read_b64 v[14:15], v18
	s_mov_b64 s[40:41], 0
	s_waitcnt vmcnt(1) lgkmcnt(0)
	v_mul_f32_e64 v19, v13, -v15
	v_fmac_f32_e32 v19, v14, v12
.LBB27_90:                              ; =>This Inner Loop Header: Depth=1
	s_waitcnt vmcnt(0)
	v_add_f32_e32 v16, v17, v19
	global_atomic_cmpswap v16, v[10:11], v[16:17], off glc
	s_waitcnt vmcnt(0)
	v_cmp_eq_u32_e32 vcc, v16, v17
	s_or_b64 s[40:41], vcc, s[40:41]
	v_mov_b32_e32 v17, v16
	s_andn2_b64 exec, exec, s[40:41]
	s_cbranch_execnz .LBB27_90
; %bb.91:
	s_or_b64 exec, exec, s[40:41]
	global_load_dword v16, v[10:11], off offset:4
	v_mul_f32_e32 v13, v13, v14
	v_fmac_f32_e32 v13, v15, v12
	s_mov_b64 s[40:41], 0
.LBB27_92:                              ; =>This Inner Loop Header: Depth=1
	s_waitcnt vmcnt(0)
	v_add_f32_e32 v15, v16, v13
	global_atomic_cmpswap v12, v[10:11], v[15:16], off offset:4 glc
	s_waitcnt vmcnt(0)
	v_cmp_eq_u32_e32 vcc, v12, v16
	s_or_b64 s[40:41], vcc, s[40:41]
	v_mov_b32_e32 v16, v12
	s_andn2_b64 exec, exec, s[40:41]
	s_cbranch_execnz .LBB27_92
; %bb.93:
	s_or_b64 exec, exec, s[40:41]
                                        ; implicit-def: $vgpr10_vgpr11
.LBB27_94:
	s_andn2_saveexec_b64 s[0:1], s[0:1]
	s_cbranch_execz .LBB27_96
; %bb.95:
	v_mov_b32_e32 v12, s23
	v_add_co_u32_e32 v10, vcc, s22, v10
	v_addc_co_u32_e32 v11, vcc, v12, v11, vcc
	global_load_dwordx2 v[10:11], v[10:11], off
	ds_read_b64 v[12:13], v18
	v_subrev_u32_e32 v14, s8, v8
	v_mov_b32_e32 v15, 0x2000
	v_lshl_add_u32 v14, v14, 3, v15
	s_waitcnt vmcnt(0) lgkmcnt(0)
	v_mul_f32_e64 v15, v11, -v13
	v_mul_f32_e32 v11, v11, v12
	v_fmac_f32_e32 v15, v12, v10
	v_fmac_f32_e32 v11, v13, v10
	ds_add_f32 v14, v15
	ds_add_f32 v14, v11 offset:4
.LBB27_96:
	s_or_b64 exec, exec, s[38:39]
	v_lshlrev_b64 v[8:9], 3, v[8:9]
	v_mov_b32_e32 v10, s23
	v_add_co_u32_e32 v8, vcc, s22, v8
	v_addc_co_u32_e32 v9, vcc, v10, v9, vcc
	global_load_dwordx2 v[8:9], v[8:9], off
	ds_read_b64 v[14:15], v18
	v_cndmask_b32_e64 v16, 0, 1, s[2:3]
	v_add_co_u32_e32 v10, vcc, 0x100, v2
	v_cmp_ne_u32_e64 s[0:1], 1, v16
	v_mov_b32_e32 v12, s24
	v_addc_co_u32_e32 v11, vcc, 0, v3, vcc
	v_mov_b32_e32 v13, s25
	s_andn2_b64 vcc, exec, s[2:3]
	s_waitcnt vmcnt(0) lgkmcnt(0)
	v_mul_f32_e64 v16, v9, -v15
	v_mul_f32_e32 v17, v9, v14
	v_fmac_f32_e32 v16, v14, v8
	v_fmac_f32_e32 v17, v15, v8
	v_mov_b32_e32 v14, s20
	v_mov_b32_e32 v15, s21
	ds_write_b64 v18, v[16:17]
	s_cbranch_vccnz .LBB27_100
; %bb.97:
	v_mov_b32_e32 v12, s24
	v_mov_b32_e32 v14, s20
	s_mov_b64 s[38:39], 0
	v_mov_b32_e32 v13, s25
	v_mov_b32_e32 v15, s21
	;; [unrolled: 1-line block ×3, first 2 shown]
.LBB27_98:                              ; =>This Inner Loop Header: Depth=1
	v_add_co_u32_e32 v9, vcc, v14, v12
	v_addc_co_u32_e32 v17, vcc, v15, v13, vcc
	v_lshrrev_b32_e32 v16, 31, v17
	v_add_co_u32_e32 v16, vcc, v9, v16
	v_addc_co_u32_e32 v17, vcc, 0, v17, vcc
	v_ashrrev_i64 v[16:17], 1, v[16:17]
	v_lshlrev_b64 v[19:20], 3, v[16:17]
	v_add_co_u32_e32 v19, vcc, s16, v19
	v_addc_co_u32_e32 v20, vcc, v8, v20, vcc
	global_load_dwordx2 v[19:20], v[19:20], off
	s_waitcnt vmcnt(0)
	v_subrev_co_u32_e32 v19, vcc, s30, v19
	v_subbrev_co_u32_e32 v20, vcc, 0, v20, vcc
	v_cmp_lt_i64_e32 vcc, v[10:11], v[19:20]
	v_cndmask_b32_e32 v14, v14, v16, vcc
	v_cndmask_b32_e32 v15, v15, v17, vcc
	;; [unrolled: 1-line block ×3, first 2 shown]
	v_add_co_u32_e64 v16, s[2:3], -1, v14
	v_cndmask_b32_e32 v13, v17, v13, vcc
	v_addc_co_u32_e64 v17, s[2:3], -1, v15, s[2:3]
	v_cmp_ge_i64_e32 vcc, v[12:13], v[14:15]
	v_cmp_eq_u64_e64 s[2:3], v[12:13], v[16:17]
	s_or_b64 s[2:3], vcc, s[2:3]
	s_and_b64 s[2:3], exec, s[2:3]
	s_or_b64 s[38:39], s[2:3], s[38:39]
	s_andn2_b64 exec, exec, s[38:39]
	s_cbranch_execnz .LBB27_98
; %bb.99:
	s_or_b64 exec, exec, s[38:39]
.LBB27_100:
	v_lshlrev_b64 v[8:9], 3, v[14:15]
	v_mov_b32_e32 v16, s17
	v_add_co_u32_e32 v8, vcc, s16, v8
	v_addc_co_u32_e32 v9, vcc, v16, v9, vcc
	global_load_dwordx2 v[16:17], v[8:9], off
	global_load_dword v19, v[6:7], off offset:1024
	s_waitcnt vmcnt(1)
	v_subrev_co_u32_e32 v16, vcc, s30, v16
	v_subbrev_co_u32_e32 v17, vcc, 0, v17, vcc
	v_cmp_lt_i64_e32 vcc, v[10:11], v[16:17]
	s_waitcnt vmcnt(0)
	v_subrev_u32_e32 v8, s30, v19
	v_cndmask_b32_e32 v13, v15, v13, vcc
	v_cndmask_b32_e32 v12, v14, v12, vcc
	v_ashrrev_i32_e32 v9, 31, v8
	v_cmp_ne_u64_e32 vcc, v[12:13], v[8:9]
	s_and_saveexec_b64 s[38:39], vcc
	s_cbranch_execz .LBB27_110
; %bb.101:
	s_load_dwordx2 s[2:3], s[18:19], 0x0
	s_waitcnt lgkmcnt(0)
	s_sub_u32 s2, s2, s30
	s_subb_u32 s3, s3, 0
	v_cmp_gt_i64_e32 vcc, s[2:3], v[10:11]
	s_and_b64 exec, exec, vcc
	s_cbranch_execz .LBB27_110
; %bb.102:
	v_cmp_gt_i64_e32 vcc, s[8:9], v[8:9]
	v_cmp_le_i64_e64 s[2:3], s[26:27], v[8:9]
	v_lshlrev_b64 v[10:11], 3, v[12:13]
	s_or_b64 s[2:3], vcc, s[2:3]
	s_and_saveexec_b64 s[40:41], s[2:3]
	s_xor_b64 s[2:3], exec, s[40:41]
	s_cbranch_execz .LBB27_108
; %bb.103:
	v_lshlrev_b64 v[14:15], 3, v[8:9]
	v_mov_b32_e32 v12, s23
	v_add_co_u32_e32 v10, vcc, s22, v10
	v_addc_co_u32_e32 v11, vcc, v12, v11, vcc
	v_mov_b32_e32 v16, s15
	global_load_dwordx2 v[12:13], v[10:11], off
	v_add_co_u32_e32 v10, vcc, s14, v14
	v_addc_co_u32_e32 v11, vcc, v16, v15, vcc
	global_load_dword v17, v[10:11], off
	ds_read_b64 v[14:15], v18 offset:2048
	s_mov_b64 s[40:41], 0
	s_waitcnt vmcnt(1) lgkmcnt(0)
	v_mul_f32_e64 v19, v13, -v15
	v_fmac_f32_e32 v19, v14, v12
.LBB27_104:                             ; =>This Inner Loop Header: Depth=1
	s_waitcnt vmcnt(0)
	v_add_f32_e32 v16, v17, v19
	global_atomic_cmpswap v16, v[10:11], v[16:17], off glc
	s_waitcnt vmcnt(0)
	v_cmp_eq_u32_e32 vcc, v16, v17
	s_or_b64 s[40:41], vcc, s[40:41]
	v_mov_b32_e32 v17, v16
	s_andn2_b64 exec, exec, s[40:41]
	s_cbranch_execnz .LBB27_104
; %bb.105:
	s_or_b64 exec, exec, s[40:41]
	global_load_dword v16, v[10:11], off offset:4
	v_mul_f32_e32 v13, v13, v14
	v_fmac_f32_e32 v13, v15, v12
	s_mov_b64 s[40:41], 0
.LBB27_106:                             ; =>This Inner Loop Header: Depth=1
	s_waitcnt vmcnt(0)
	v_add_f32_e32 v15, v16, v13
	global_atomic_cmpswap v12, v[10:11], v[15:16], off offset:4 glc
	s_waitcnt vmcnt(0)
	v_cmp_eq_u32_e32 vcc, v12, v16
	s_or_b64 s[40:41], vcc, s[40:41]
	v_mov_b32_e32 v16, v12
	s_andn2_b64 exec, exec, s[40:41]
	s_cbranch_execnz .LBB27_106
; %bb.107:
	s_or_b64 exec, exec, s[40:41]
                                        ; implicit-def: $vgpr10_vgpr11
.LBB27_108:
	s_andn2_saveexec_b64 s[2:3], s[2:3]
	s_cbranch_execz .LBB27_110
; %bb.109:
	v_mov_b32_e32 v12, s23
	v_add_co_u32_e32 v10, vcc, s22, v10
	v_addc_co_u32_e32 v11, vcc, v12, v11, vcc
	global_load_dwordx2 v[10:11], v[10:11], off
	ds_read_b64 v[12:13], v18 offset:2048
	v_subrev_u32_e32 v14, s8, v8
	v_mov_b32_e32 v15, 0x2000
	v_lshl_add_u32 v14, v14, 3, v15
	s_waitcnt vmcnt(0) lgkmcnt(0)
	v_mul_f32_e64 v15, v11, -v13
	v_mul_f32_e32 v11, v11, v12
	v_fmac_f32_e32 v15, v12, v10
	v_fmac_f32_e32 v11, v13, v10
	ds_add_f32 v14, v15
	ds_add_f32 v14, v11 offset:4
.LBB27_110:
	s_or_b64 exec, exec, s[38:39]
	v_lshlrev_b64 v[8:9], 3, v[8:9]
	v_mov_b32_e32 v10, s23
	v_add_co_u32_e32 v8, vcc, s22, v8
	v_addc_co_u32_e32 v9, vcc, v10, v9, vcc
	global_load_dwordx2 v[12:13], v[8:9], off
	ds_read_b64 v[14:15], v18 offset:2048
	v_add_co_u32_e32 v8, vcc, 0x200, v2
	v_addc_co_u32_e32 v9, vcc, 0, v3, vcc
	v_mov_b32_e32 v10, s24
	v_mov_b32_e32 v11, s25
	s_and_b64 vcc, exec, s[0:1]
	s_waitcnt vmcnt(0) lgkmcnt(0)
	v_mul_f32_e64 v2, v13, -v15
	v_mul_f32_e32 v3, v13, v14
	v_fmac_f32_e32 v2, v14, v12
	v_fmac_f32_e32 v3, v15, v12
	v_mov_b32_e32 v12, s20
	v_mov_b32_e32 v13, s21
	ds_write_b64 v18, v[2:3] offset:2048
	s_cbranch_vccnz .LBB27_114
; %bb.111:
	v_mov_b32_e32 v10, s24
	v_mov_b32_e32 v12, s20
	s_mov_b64 s[38:39], 0
	v_mov_b32_e32 v11, s25
	v_mov_b32_e32 v13, s21
	v_mov_b32_e32 v2, s17
.LBB27_112:                             ; =>This Inner Loop Header: Depth=1
	v_add_co_u32_e32 v3, vcc, v12, v10
	v_addc_co_u32_e32 v15, vcc, v13, v11, vcc
	v_lshrrev_b32_e32 v14, 31, v15
	v_add_co_u32_e32 v14, vcc, v3, v14
	v_addc_co_u32_e32 v15, vcc, 0, v15, vcc
	v_ashrrev_i64 v[14:15], 1, v[14:15]
	v_lshlrev_b64 v[16:17], 3, v[14:15]
	v_add_co_u32_e32 v16, vcc, s16, v16
	v_addc_co_u32_e32 v17, vcc, v2, v17, vcc
	global_load_dwordx2 v[16:17], v[16:17], off
	s_waitcnt vmcnt(0)
	v_subrev_co_u32_e32 v16, vcc, s30, v16
	v_subbrev_co_u32_e32 v17, vcc, 0, v17, vcc
	v_cmp_lt_i64_e32 vcc, v[8:9], v[16:17]
	v_cndmask_b32_e32 v12, v12, v14, vcc
	v_cndmask_b32_e32 v13, v13, v15, vcc
	;; [unrolled: 1-line block ×3, first 2 shown]
	v_add_co_u32_e64 v14, s[2:3], -1, v12
	v_cndmask_b32_e32 v11, v15, v11, vcc
	v_addc_co_u32_e64 v15, s[2:3], -1, v13, s[2:3]
	v_cmp_ge_i64_e32 vcc, v[10:11], v[12:13]
	v_cmp_eq_u64_e64 s[2:3], v[10:11], v[14:15]
	s_or_b64 s[2:3], vcc, s[2:3]
	s_and_b64 s[2:3], exec, s[2:3]
	s_or_b64 s[38:39], s[2:3], s[38:39]
	s_andn2_b64 exec, exec, s[38:39]
	s_cbranch_execnz .LBB27_112
; %bb.113:
	s_or_b64 exec, exec, s[38:39]
.LBB27_114:
	v_lshlrev_b64 v[2:3], 3, v[12:13]
	v_mov_b32_e32 v14, s17
	v_add_co_u32_e32 v2, vcc, s16, v2
	v_addc_co_u32_e32 v3, vcc, v14, v3, vcc
	global_load_dwordx2 v[14:15], v[2:3], off
	global_load_dword v16, v[6:7], off offset:2048
	s_waitcnt vmcnt(1)
	v_subrev_co_u32_e32 v14, vcc, s30, v14
	v_subbrev_co_u32_e32 v15, vcc, 0, v15, vcc
	v_cmp_lt_i64_e32 vcc, v[8:9], v[14:15]
	s_waitcnt vmcnt(0)
	v_subrev_u32_e32 v2, s30, v16
	v_cndmask_b32_e32 v11, v13, v11, vcc
	v_cndmask_b32_e32 v10, v12, v10, vcc
	v_ashrrev_i32_e32 v3, 31, v2
	v_cmp_ne_u64_e32 vcc, v[10:11], v[2:3]
	s_and_saveexec_b64 s[38:39], vcc
	s_cbranch_execz .LBB27_124
; %bb.115:
	s_load_dwordx2 s[2:3], s[18:19], 0x0
	s_waitcnt lgkmcnt(0)
	s_sub_u32 s2, s2, s30
	s_subb_u32 s3, s3, 0
	v_cmp_gt_i64_e32 vcc, s[2:3], v[8:9]
	s_and_b64 exec, exec, vcc
	s_cbranch_execz .LBB27_124
; %bb.116:
	v_cmp_gt_i64_e32 vcc, s[8:9], v[2:3]
	v_cmp_le_i64_e64 s[2:3], s[26:27], v[2:3]
	v_lshlrev_b64 v[8:9], 3, v[10:11]
	s_or_b64 s[2:3], vcc, s[2:3]
	s_and_saveexec_b64 s[40:41], s[2:3]
	s_xor_b64 s[2:3], exec, s[40:41]
	s_cbranch_execz .LBB27_122
; %bb.117:
	v_lshlrev_b64 v[12:13], 3, v[2:3]
	v_mov_b32_e32 v10, s23
	v_add_co_u32_e32 v8, vcc, s22, v8
	v_addc_co_u32_e32 v9, vcc, v10, v9, vcc
	v_mov_b32_e32 v14, s15
	global_load_dwordx2 v[10:11], v[8:9], off
	v_add_co_u32_e32 v8, vcc, s14, v12
	v_addc_co_u32_e32 v9, vcc, v14, v13, vcc
	global_load_dword v15, v[8:9], off
	ds_read_b64 v[12:13], v18 offset:4096
	s_mov_b64 s[40:41], 0
	s_waitcnt vmcnt(1) lgkmcnt(0)
	v_mul_f32_e64 v16, v11, -v13
	v_fmac_f32_e32 v16, v12, v10
.LBB27_118:                             ; =>This Inner Loop Header: Depth=1
	s_waitcnt vmcnt(0)
	v_add_f32_e32 v14, v15, v16
	global_atomic_cmpswap v14, v[8:9], v[14:15], off glc
	s_waitcnt vmcnt(0)
	v_cmp_eq_u32_e32 vcc, v14, v15
	s_or_b64 s[40:41], vcc, s[40:41]
	v_mov_b32_e32 v15, v14
	s_andn2_b64 exec, exec, s[40:41]
	s_cbranch_execnz .LBB27_118
; %bb.119:
	s_or_b64 exec, exec, s[40:41]
	global_load_dword v14, v[8:9], off offset:4
	v_mul_f32_e32 v11, v11, v12
	v_fmac_f32_e32 v11, v13, v10
	s_mov_b64 s[40:41], 0
.LBB27_120:                             ; =>This Inner Loop Header: Depth=1
	s_waitcnt vmcnt(0)
	v_add_f32_e32 v13, v14, v11
	global_atomic_cmpswap v10, v[8:9], v[13:14], off offset:4 glc
	s_waitcnt vmcnt(0)
	v_cmp_eq_u32_e32 vcc, v10, v14
	s_or_b64 s[40:41], vcc, s[40:41]
	v_mov_b32_e32 v14, v10
	s_andn2_b64 exec, exec, s[40:41]
	s_cbranch_execnz .LBB27_120
; %bb.121:
	s_or_b64 exec, exec, s[40:41]
                                        ; implicit-def: $vgpr8_vgpr9
.LBB27_122:
	s_andn2_saveexec_b64 s[2:3], s[2:3]
	s_cbranch_execz .LBB27_124
; %bb.123:
	v_mov_b32_e32 v10, s23
	v_add_co_u32_e32 v8, vcc, s22, v8
	v_addc_co_u32_e32 v9, vcc, v10, v9, vcc
	global_load_dwordx2 v[8:9], v[8:9], off
	ds_read_b64 v[10:11], v18 offset:4096
	v_subrev_u32_e32 v12, s8, v2
	v_mov_b32_e32 v13, 0x2000
	v_lshl_add_u32 v12, v12, 3, v13
	s_waitcnt vmcnt(0) lgkmcnt(0)
	v_mul_f32_e64 v13, v9, -v11
	v_mul_f32_e32 v9, v9, v10
	v_fmac_f32_e32 v13, v10, v8
	v_fmac_f32_e32 v9, v11, v8
	ds_add_f32 v12, v13
	ds_add_f32 v12, v9 offset:4
.LBB27_124:
	s_or_b64 exec, exec, s[38:39]
	v_lshlrev_b64 v[2:3], 3, v[2:3]
	v_mov_b32_e32 v8, s23
	v_add_co_u32_e32 v2, vcc, s22, v2
	v_addc_co_u32_e32 v3, vcc, v8, v3, vcc
	global_load_dwordx2 v[2:3], v[2:3], off
	ds_read_b64 v[10:11], v18 offset:4096
	v_mov_b32_e32 v8, s24
	s_and_b64 vcc, exec, s[0:1]
	v_mov_b32_e32 v9, s25
	s_waitcnt vmcnt(0) lgkmcnt(0)
	v_mul_f32_e64 v12, v3, -v11
	v_mul_f32_e32 v13, v3, v10
	v_fmac_f32_e32 v12, v10, v2
	v_fmac_f32_e32 v13, v11, v2
	v_mov_b32_e32 v10, s20
	v_mov_b32_e32 v11, s21
	ds_write_b64 v18, v[12:13] offset:4096
	s_cbranch_vccnz .LBB27_128
; %bb.125:
	v_mov_b32_e32 v8, s24
	v_mov_b32_e32 v10, s20
	s_mov_b64 s[2:3], 0
	v_mov_b32_e32 v9, s25
	v_mov_b32_e32 v11, s21
	v_mov_b32_e32 v2, s17
.LBB27_126:                             ; =>This Inner Loop Header: Depth=1
	v_add_co_u32_e32 v3, vcc, v10, v8
	v_addc_co_u32_e32 v13, vcc, v11, v9, vcc
	v_lshrrev_b32_e32 v12, 31, v13
	v_add_co_u32_e32 v12, vcc, v3, v12
	v_addc_co_u32_e32 v13, vcc, 0, v13, vcc
	v_ashrrev_i64 v[12:13], 1, v[12:13]
	v_lshlrev_b64 v[14:15], 3, v[12:13]
	v_add_co_u32_e32 v14, vcc, s16, v14
	v_addc_co_u32_e32 v15, vcc, v2, v15, vcc
	global_load_dwordx2 v[14:15], v[14:15], off
	s_waitcnt vmcnt(0)
	v_subrev_co_u32_e32 v14, vcc, s30, v14
	v_subbrev_co_u32_e32 v15, vcc, 0, v15, vcc
	v_cmp_lt_i64_e32 vcc, v[4:5], v[14:15]
	v_cndmask_b32_e32 v10, v10, v12, vcc
	v_cndmask_b32_e32 v11, v11, v13, vcc
	;; [unrolled: 1-line block ×3, first 2 shown]
	v_add_co_u32_e64 v12, s[0:1], -1, v10
	v_cndmask_b32_e32 v9, v13, v9, vcc
	v_addc_co_u32_e64 v13, s[0:1], -1, v11, s[0:1]
	v_cmp_ge_i64_e32 vcc, v[8:9], v[10:11]
	v_cmp_eq_u64_e64 s[0:1], v[8:9], v[12:13]
	s_or_b64 s[0:1], vcc, s[0:1]
	s_and_b64 s[0:1], exec, s[0:1]
	s_or_b64 s[2:3], s[0:1], s[2:3]
	s_andn2_b64 exec, exec, s[2:3]
	s_cbranch_execnz .LBB27_126
; %bb.127:
	s_or_b64 exec, exec, s[2:3]
.LBB27_128:
	v_lshlrev_b64 v[2:3], 3, v[10:11]
	v_mov_b32_e32 v12, s17
	v_add_co_u32_e32 v2, vcc, s16, v2
	v_addc_co_u32_e32 v3, vcc, v12, v3, vcc
	global_load_dword v13, v[6:7], off offset:3072
	s_nop 0
	global_load_dwordx2 v[6:7], v[2:3], off
	s_waitcnt vmcnt(1)
	v_subrev_u32_e32 v2, s30, v13
	v_ashrrev_i32_e32 v3, 31, v2
	s_waitcnt vmcnt(0)
	v_subrev_co_u32_e32 v6, vcc, s30, v6
	v_subbrev_co_u32_e32 v7, vcc, 0, v7, vcc
	v_cmp_lt_i64_e32 vcc, v[4:5], v[6:7]
	v_cndmask_b32_e32 v7, v11, v9, vcc
	v_cndmask_b32_e32 v6, v10, v8, vcc
	v_cmp_ne_u64_e32 vcc, v[6:7], v[2:3]
	s_and_saveexec_b64 s[2:3], vcc
	s_cbranch_execz .LBB27_138
; %bb.129:
	s_load_dwordx2 s[0:1], s[18:19], 0x0
	s_waitcnt lgkmcnt(0)
	s_sub_u32 s0, s0, s30
	s_subb_u32 s1, s1, 0
	v_cmp_gt_i64_e32 vcc, s[0:1], v[4:5]
	s_and_b64 exec, exec, vcc
	s_cbranch_execz .LBB27_138
; %bb.130:
	v_cmp_gt_i64_e32 vcc, s[8:9], v[2:3]
	v_cmp_le_i64_e64 s[0:1], s[26:27], v[2:3]
	v_lshlrev_b64 v[4:5], 3, v[6:7]
	s_or_b64 s[0:1], vcc, s[0:1]
	s_and_saveexec_b64 s[18:19], s[0:1]
	s_xor_b64 s[0:1], exec, s[18:19]
	s_cbranch_execz .LBB27_136
; %bb.131:
	v_lshlrev_b64 v[8:9], 3, v[2:3]
	v_mov_b32_e32 v6, s23
	v_add_co_u32_e32 v4, vcc, s22, v4
	v_addc_co_u32_e32 v5, vcc, v6, v5, vcc
	v_mov_b32_e32 v10, s15
	global_load_dwordx2 v[6:7], v[4:5], off
	v_add_co_u32_e32 v4, vcc, s14, v8
	v_addc_co_u32_e32 v5, vcc, v10, v9, vcc
	global_load_dword v11, v[4:5], off
	ds_read_b64 v[8:9], v18 offset:6144
	s_mov_b64 s[18:19], 0
	s_waitcnt vmcnt(1) lgkmcnt(0)
	v_mul_f32_e64 v12, v7, -v9
	v_fmac_f32_e32 v12, v8, v6
.LBB27_132:                             ; =>This Inner Loop Header: Depth=1
	s_waitcnt vmcnt(0)
	v_add_f32_e32 v10, v11, v12
	global_atomic_cmpswap v10, v[4:5], v[10:11], off glc
	s_waitcnt vmcnt(0)
	v_cmp_eq_u32_e32 vcc, v10, v11
	s_or_b64 s[18:19], vcc, s[18:19]
	v_mov_b32_e32 v11, v10
	s_andn2_b64 exec, exec, s[18:19]
	s_cbranch_execnz .LBB27_132
; %bb.133:
	s_or_b64 exec, exec, s[18:19]
	global_load_dword v10, v[4:5], off offset:4
	v_mul_f32_e32 v7, v7, v8
	v_fmac_f32_e32 v7, v9, v6
	s_mov_b64 s[18:19], 0
.LBB27_134:                             ; =>This Inner Loop Header: Depth=1
	s_waitcnt vmcnt(0)
	v_add_f32_e32 v9, v10, v7
	global_atomic_cmpswap v6, v[4:5], v[9:10], off offset:4 glc
	s_waitcnt vmcnt(0)
	v_cmp_eq_u32_e32 vcc, v6, v10
	s_or_b64 s[18:19], vcc, s[18:19]
	v_mov_b32_e32 v10, v6
	s_andn2_b64 exec, exec, s[18:19]
	s_cbranch_execnz .LBB27_134
; %bb.135:
	s_or_b64 exec, exec, s[18:19]
                                        ; implicit-def: $vgpr4_vgpr5
.LBB27_136:
	s_andn2_saveexec_b64 s[0:1], s[0:1]
	s_cbranch_execz .LBB27_138
; %bb.137:
	v_mov_b32_e32 v6, s23
	v_add_co_u32_e32 v4, vcc, s22, v4
	v_addc_co_u32_e32 v5, vcc, v6, v5, vcc
	global_load_dwordx2 v[4:5], v[4:5], off
	ds_read_b64 v[6:7], v18 offset:6144
	v_subrev_u32_e32 v8, s8, v2
	v_mov_b32_e32 v9, 0x2000
	v_lshl_add_u32 v8, v8, 3, v9
	s_waitcnt vmcnt(0) lgkmcnt(0)
	v_mul_f32_e64 v9, v5, -v7
	v_mul_f32_e32 v5, v5, v6
	v_fmac_f32_e32 v9, v6, v4
	v_fmac_f32_e32 v5, v7, v4
	ds_add_f32 v8, v9
	ds_add_f32 v8, v5 offset:4
.LBB27_138:
	s_or_b64 exec, exec, s[2:3]
	v_lshlrev_b64 v[2:3], 3, v[2:3]
	v_mov_b32_e32 v4, s23
	v_add_co_u32_e32 v2, vcc, s22, v2
	v_addc_co_u32_e32 v3, vcc, v4, v3, vcc
	global_load_dwordx2 v[2:3], v[2:3], off
	ds_read_b64 v[4:5], v18 offset:6144
	s_waitcnt vmcnt(0) lgkmcnt(0)
	v_mul_f32_e64 v6, v3, -v5
	v_mul_f32_e32 v7, v3, v4
	v_fmac_f32_e32 v6, v4, v2
	v_fmac_f32_e32 v7, v5, v2
	ds_write_b64 v18, v[6:7] offset:6144
.LBB27_139:
	s_or_b64 exec, exec, s[4:5]
	v_mov_b32_e32 v2, s10
	v_mov_b32_e32 v3, s11
	v_cmp_lt_i64_e32 vcc, s[26:27], v[2:3]
	s_waitcnt lgkmcnt(0)
	s_and_b64 s[0:1], vcc, exec
	s_cselect_b32 s10, s26, s10
	s_cselect_b32 s0, s27, s11
	s_sub_u32 s2, s10, s28
	s_subb_u32 s3, s0, s29
	v_cmp_gt_i64_e32 vcc, s[2:3], v[0:1]
	s_barrier
	s_and_saveexec_b64 s[0:1], vcc
	s_cbranch_execz .LBB27_146
; %bb.140:
	s_lshl_b64 s[4:5], s[8:9], 3
	s_add_u32 s11, s14, s4
	s_addc_u32 s8, s15, s5
	v_mov_b32_e32 v3, v1
	s_mov_b64 s[4:5], 0
	v_mov_b32_e32 v10, s8
	v_mov_b32_e32 v11, 0x2000
	;; [unrolled: 1-line block ×3, first 2 shown]
.LBB27_141:                             ; =>This Loop Header: Depth=1
                                        ;     Child Loop BB27_142 Depth 2
                                        ;     Child Loop BB27_144 Depth 2
	v_lshlrev_b64 v[4:5], 3, v[2:3]
	v_lshl_add_u32 v6, v2, 3, v11
	v_add_co_u32_e32 v4, vcc, s11, v4
	v_addc_co_u32_e32 v5, vcc, v10, v5, vcc
	global_load_dword v9, v[4:5], off
	ds_read2_b32 v[6:7], v6 offset1:1
	s_mov_b64 s[8:9], 0
.LBB27_142:                             ;   Parent Loop BB27_141 Depth=1
                                        ; =>  This Inner Loop Header: Depth=2
	s_waitcnt vmcnt(0) lgkmcnt(0)
	v_add_f32_e32 v8, v9, v6
	global_atomic_cmpswap v8, v[4:5], v[8:9], off glc
	s_waitcnt vmcnt(0)
	v_cmp_eq_u32_e32 vcc, v8, v9
	s_or_b64 s[8:9], vcc, s[8:9]
	v_mov_b32_e32 v9, v8
	s_andn2_b64 exec, exec, s[8:9]
	s_cbranch_execnz .LBB27_142
; %bb.143:                              ;   in Loop: Header=BB27_141 Depth=1
	s_or_b64 exec, exec, s[8:9]
	global_load_dword v9, v[4:5], off offset:4
	s_mov_b64 s[8:9], 0
.LBB27_144:                             ;   Parent Loop BB27_141 Depth=1
                                        ; =>  This Inner Loop Header: Depth=2
	s_waitcnt vmcnt(0)
	v_add_f32_e32 v8, v9, v7
	global_atomic_cmpswap v6, v[4:5], v[8:9], off offset:4 glc
	s_waitcnt vmcnt(0)
	v_cmp_eq_u32_e32 vcc, v6, v9
	s_or_b64 s[8:9], vcc, s[8:9]
	v_mov_b32_e32 v9, v6
	s_andn2_b64 exec, exec, s[8:9]
	s_cbranch_execnz .LBB27_144
; %bb.145:                              ;   in Loop: Header=BB27_141 Depth=1
	s_or_b64 exec, exec, s[8:9]
	v_add_co_u32_e32 v2, vcc, 0x100, v2
	v_addc_co_u32_e32 v3, vcc, 0, v3, vcc
	v_cmp_le_i64_e32 vcc, s[2:3], v[2:3]
	s_or_b64 s[4:5], vcc, s[4:5]
	s_andn2_b64 exec, exec, s[4:5]
	s_cbranch_execnz .LBB27_141
.LBB27_146:
	s_or_b64 exec, exec, s[0:1]
	s_add_i32 s0, s36, -1
	s_ashr_i32 s1, s0, 1
	s_or_b32 s0, s1, s0
	s_ashr_i32 s1, s0, 2
	s_or_b32 s0, s1, s0
	;; [unrolled: 2-line block ×5, first 2 shown]
	s_add_i32 s0, s0, 1
	s_ashr_i32 s3, s0, 1
	v_mov_b32_e32 v2, s25
	v_add_co_u32_e32 v6, vcc, s24, v0
	v_addc_co_u32_e32 v7, vcc, 0, v2, vcc
	s_cmp_gt_i32 s3, 1
	s_mov_b64 s[0:1], -1
	s_barrier
	s_cbranch_scc1 .LBB27_159
; %bb.147:
	v_cmp_gt_i64_e32 vcc, s[26:27], v[6:7]
	s_and_saveexec_b64 s[0:1], vcc
	s_cbranch_execz .LBB27_158
; %bb.148:
	s_sub_i32 s4, s10, s26
	s_lshl_b32 s4, s4, 3
	s_add_i32 s13, s4, 0x2000
	s_lshl_b32 s4, s6, 3
	v_mov_b32_e32 v9, v7
	s_sub_i32 s18, 0, s4
	s_mov_b64 s[4:5], 0
	v_mov_b32_e32 v14, s17
	v_mov_b32_e32 v15, s15
	;; [unrolled: 1-line block ×3, first 2 shown]
.LBB27_149:                             ; =>This Loop Header: Depth=1
                                        ;     Child Loop BB27_151 Depth 2
                                        ;     Child Loop BB27_154 Depth 2
	;; [unrolled: 1-line block ×3, first 2 shown]
	v_lshlrev_b64 v[10:11], 3, v[8:9]
	v_mov_b32_e32 v16, 0
	v_add_co_u32_e32 v2, vcc, s16, v10
	v_addc_co_u32_e32 v3, vcc, v14, v11, vcc
	global_load_dwordx4 v[2:5], v[2:3], off
	v_mov_b32_e32 v17, 0
	s_waitcnt vmcnt(0)
	v_cmp_lt_i64_e32 vcc, v[2:3], v[4:5]
	s_and_saveexec_b64 s[8:9], vcc
	s_cbranch_execz .LBB27_153
; %bb.150:                              ;   in Loop: Header=BB27_149 Depth=1
	v_mov_b32_e32 v12, s7
	v_subrev_co_u32_e32 v4, vcc, s6, v4
	v_subb_co_u32_e32 v5, vcc, v5, v12, vcc
	v_mov_b32_e32 v13, s7
	v_subrev_co_u32_e32 v12, vcc, s6, v2
	v_subb_co_u32_e32 v13, vcc, v3, v13, vcc
	v_lshl_add_u32 v2, v2, 3, s18
	v_mov_b32_e32 v16, 0
	s_mov_b64 s[10:11], 0
	v_mov_b32_e32 v17, 0
.LBB27_151:                             ;   Parent Loop BB27_149 Depth=1
                                        ; =>  This Inner Loop Header: Depth=2
	ds_read_b64 v[19:20], v2
	v_add_co_u32_e32 v12, vcc, 1, v12
	v_addc_co_u32_e32 v13, vcc, 0, v13, vcc
	v_cmp_ge_i64_e32 vcc, v[12:13], v[4:5]
	v_add_u32_e32 v2, 8, v2
	s_or_b64 s[10:11], vcc, s[10:11]
	s_waitcnt lgkmcnt(0)
	v_add_f32_e32 v17, v17, v19
	v_add_f32_e32 v16, v16, v20
	s_andn2_b64 exec, exec, s[10:11]
	s_cbranch_execnz .LBB27_151
; %bb.152:                              ;   in Loop: Header=BB27_149 Depth=1
	s_or_b64 exec, exec, s[10:11]
.LBB27_153:                             ;   in Loop: Header=BB27_149 Depth=1
	s_or_b64 exec, exec, s[8:9]
	v_add_co_u32_e32 v2, vcc, s14, v10
	v_addc_co_u32_e32 v3, vcc, v15, v11, vcc
	global_load_dword v11, v[2:3], off
	v_lshl_add_u32 v4, v8, 3, s13
	ds_read2_b32 v[4:5], v4 offset1:1
	s_mov_b64 s[8:9], 0
	s_waitcnt lgkmcnt(0)
	v_add_f32_e32 v4, v17, v4
.LBB27_154:                             ;   Parent Loop BB27_149 Depth=1
                                        ; =>  This Inner Loop Header: Depth=2
	s_waitcnt vmcnt(0)
	v_add_f32_e32 v10, v11, v4
	global_atomic_cmpswap v10, v[2:3], v[10:11], off glc
	s_waitcnt vmcnt(0)
	v_cmp_eq_u32_e32 vcc, v10, v11
	s_or_b64 s[8:9], vcc, s[8:9]
	v_mov_b32_e32 v11, v10
	s_andn2_b64 exec, exec, s[8:9]
	s_cbranch_execnz .LBB27_154
; %bb.155:                              ;   in Loop: Header=BB27_149 Depth=1
	s_or_b64 exec, exec, s[8:9]
	global_load_dword v11, v[2:3], off offset:4
	v_add_f32_e32 v4, v16, v5
	s_mov_b64 s[8:9], 0
.LBB27_156:                             ;   Parent Loop BB27_149 Depth=1
                                        ; =>  This Inner Loop Header: Depth=2
	s_waitcnt vmcnt(0)
	v_add_f32_e32 v10, v11, v4
	global_atomic_cmpswap v5, v[2:3], v[10:11], off offset:4 glc
	s_waitcnt vmcnt(0)
	v_cmp_eq_u32_e32 vcc, v5, v11
	s_or_b64 s[8:9], vcc, s[8:9]
	v_mov_b32_e32 v11, v5
	s_andn2_b64 exec, exec, s[8:9]
	s_cbranch_execnz .LBB27_156
; %bb.157:                              ;   in Loop: Header=BB27_149 Depth=1
	s_or_b64 exec, exec, s[8:9]
	v_add_co_u32_e32 v8, vcc, s12, v8
	v_addc_co_u32_e32 v9, vcc, 0, v9, vcc
	v_cmp_le_i64_e32 vcc, s[26:27], v[8:9]
	s_or_b64 s[4:5], vcc, s[4:5]
	s_andn2_b64 exec, exec, s[4:5]
	s_cbranch_execnz .LBB27_149
.LBB27_158:
	s_or_b64 exec, exec, s[0:1]
	s_mov_b64 s[0:1], 0
.LBB27_159:
	s_andn2_b64 vcc, exec, s[0:1]
	s_cbranch_vccnz .LBB27_179
; %bb.160:
	v_cvt_f32_u32_e32 v2, s3
	s_sub_i32 s8, 0, s3
	v_mov_b32_e32 v5, 0
	v_mov_b32_e32 v8, s35
	v_rcp_iflag_f32_e32 v2, v2
	v_mov_b32_e32 v12, s7
	v_mul_f32_e32 v2, 0x4f7ffffe, v2
	v_cvt_u32_f32_e32 v2, v2
	v_mul_lo_u32 v3, s8, v2
	v_mul_hi_u32 v3, v2, v3
	v_add_u32_e32 v2, v2, v3
	v_mul_hi_u32 v2, v0, v2
	v_mul_lo_u32 v3, v2, s3
	v_add_u32_e32 v4, 1, v2
	v_sub_u32_e32 v3, v0, v3
	v_cmp_le_u32_e32 vcc, s3, v3
	v_cndmask_b32_e32 v2, v2, v4, vcc
	v_subrev_u32_e32 v4, s3, v3
	v_cndmask_b32_e32 v3, v3, v4, vcc
	v_add_u32_e32 v4, 1, v2
	v_cmp_le_u32_e32 vcc, s3, v3
	v_cndmask_b32_e32 v4, v2, v4, vcc
	v_lshlrev_b64 v[2:3], 3, v[4:5]
	v_add_co_u32_e32 v2, vcc, s34, v2
	v_addc_co_u32_e32 v3, vcc, v8, v3, vcc
	global_load_dwordx4 v[8:11], v[2:3], off
	v_mov_b32_e32 v3, s7
	s_waitcnt vmcnt(0)
	v_subrev_co_u32_e32 v2, vcc, s6, v8
	v_subb_co_u32_e32 v3, vcc, v9, v3, vcc
	v_subrev_co_u32_e32 v13, vcc, s6, v10
	v_subb_co_u32_e32 v14, vcc, v11, v12, vcc
	v_sub_co_u32_e32 v11, vcc, v13, v2
	v_subb_co_u32_e32 v10, vcc, v14, v3, vcc
	v_mov_b32_e32 v9, v5
	v_cmp_ne_u64_e32 vcc, 0, v[9:10]
                                        ; implicit-def: $vgpr8_vgpr9
	s_and_saveexec_b64 s[0:1], vcc
	s_xor_b64 s[4:5], exec, s[0:1]
	s_cbranch_execz .LBB27_162
; %bb.161:
	s_add_u32 s0, s3, 0
	s_addc_u32 s1, 0, 0
	s_xor_b64 s[6:7], s[0:1], 0
	v_cvt_f32_u32_e32 v8, s6
	v_cvt_f32_u32_e32 v9, s7
	s_sub_u32 s9, 0, s6
	s_subb_u32 s10, 0, s7
	v_ashrrev_i32_e32 v12, 31, v10
	v_madmk_f32 v8, v9, 0x4f800000, v8
	v_rcp_f32_e32 v8, v8
	v_mul_f32_e32 v8, 0x5f7ffffc, v8
	v_mul_f32_e32 v9, 0x2f800000, v8
	v_trunc_f32_e32 v9, v9
	v_madmk_f32 v8, v9, 0xcf800000, v8
	v_cvt_u32_f32_e32 v9, v9
	v_cvt_u32_f32_e32 v8, v8
	v_readfirstlane_b32 s11, v9
	v_readfirstlane_b32 s0, v8
	s_mul_i32 s1, s9, s11
	s_mul_hi_u32 s13, s9, s0
	s_mul_i32 s12, s10, s0
	s_add_i32 s1, s13, s1
	s_mul_i32 s16, s9, s0
	s_add_i32 s1, s1, s12
	s_mul_i32 s13, s0, s1
	s_mul_hi_u32 s17, s0, s16
	s_mul_hi_u32 s12, s0, s1
	s_add_u32 s13, s17, s13
	s_addc_u32 s12, 0, s12
	s_mul_hi_u32 s18, s11, s16
	s_mul_i32 s16, s11, s16
	s_add_u32 s13, s13, s16
	s_mul_hi_u32 s17, s11, s1
	s_addc_u32 s12, s12, s18
	s_addc_u32 s13, s17, 0
	s_mul_i32 s1, s11, s1
	s_add_u32 s1, s12, s1
	s_addc_u32 s12, 0, s13
	s_add_u32 s13, s0, s1
	s_cselect_b64 s[0:1], -1, 0
	s_cmp_lg_u64 s[0:1], 0
	s_addc_u32 s11, s11, s12
	s_mul_i32 s0, s9, s11
	s_mul_hi_u32 s1, s9, s13
	s_add_i32 s0, s1, s0
	s_mul_i32 s10, s10, s13
	s_add_i32 s0, s0, s10
	s_mul_i32 s9, s9, s13
	s_mul_hi_u32 s10, s11, s9
	s_mul_i32 s12, s11, s9
	s_mul_i32 s17, s13, s0
	s_mul_hi_u32 s9, s13, s9
	s_mul_hi_u32 s16, s13, s0
	s_add_u32 s9, s9, s17
	s_addc_u32 s16, 0, s16
	s_add_u32 s9, s9, s12
	s_mul_hi_u32 s1, s11, s0
	s_addc_u32 s9, s16, s10
	s_addc_u32 s1, s1, 0
	s_mul_i32 s0, s11, s0
	s_add_u32 s0, s9, s0
	s_addc_u32 s9, 0, s1
	s_add_u32 s10, s13, s0
	s_cselect_b64 s[0:1], -1, 0
	s_cmp_lg_u64 s[0:1], 0
	v_add_co_u32_e32 v8, vcc, v11, v12
	s_addc_u32 s9, s11, s9
	v_xor_b32_e32 v15, v8, v12
	v_mad_u64_u32 v[8:9], s[0:1], v15, s9, 0
	v_mul_hi_u32 v11, v15, s10
	v_addc_co_u32_e32 v10, vcc, v10, v12, vcc
	v_xor_b32_e32 v16, v10, v12
	v_add_co_u32_e32 v17, vcc, v11, v8
	v_addc_co_u32_e32 v19, vcc, 0, v9, vcc
	v_mad_u64_u32 v[8:9], s[0:1], v16, s10, 0
	v_mad_u64_u32 v[10:11], s[0:1], v16, s9, 0
	v_add_co_u32_e32 v8, vcc, v17, v8
	v_addc_co_u32_e32 v8, vcc, v19, v9, vcc
	v_addc_co_u32_e32 v9, vcc, 0, v11, vcc
	v_add_co_u32_e32 v10, vcc, v8, v10
	v_addc_co_u32_e32 v11, vcc, 0, v9, vcc
	v_mul_lo_u32 v17, s7, v10
	v_mul_lo_u32 v19, s6, v11
	v_mad_u64_u32 v[8:9], s[0:1], s6, v10, 0
	v_add3_u32 v9, v9, v19, v17
	v_sub_u32_e32 v17, v16, v9
	v_mov_b32_e32 v19, s7
	v_sub_co_u32_e32 v8, vcc, v15, v8
	v_subb_co_u32_e64 v15, s[0:1], v17, v19, vcc
	v_subrev_co_u32_e64 v17, s[0:1], s6, v8
	v_subbrev_co_u32_e64 v15, s[0:1], 0, v15, s[0:1]
	v_cmp_le_u32_e64 s[0:1], s7, v15
	v_cndmask_b32_e64 v19, 0, -1, s[0:1]
	v_cmp_le_u32_e64 s[0:1], s6, v17
	v_cndmask_b32_e64 v17, 0, -1, s[0:1]
	v_cmp_eq_u32_e64 s[0:1], s7, v15
	v_cndmask_b32_e64 v15, v19, v17, s[0:1]
	v_add_co_u32_e64 v17, s[0:1], 2, v10
	v_subb_co_u32_e32 v9, vcc, v16, v9, vcc
	v_addc_co_u32_e64 v19, s[0:1], 0, v11, s[0:1]
	v_cmp_le_u32_e32 vcc, s7, v9
	v_add_co_u32_e64 v20, s[0:1], 1, v10
	v_cndmask_b32_e64 v16, 0, -1, vcc
	v_cmp_le_u32_e32 vcc, s6, v8
	v_addc_co_u32_e64 v21, s[0:1], 0, v11, s[0:1]
	v_cndmask_b32_e64 v8, 0, -1, vcc
	v_cmp_eq_u32_e32 vcc, s7, v9
	v_cmp_ne_u32_e64 s[0:1], 0, v15
	v_cndmask_b32_e32 v8, v16, v8, vcc
	v_cndmask_b32_e64 v15, v21, v19, s[0:1]
	v_cmp_ne_u32_e32 vcc, 0, v8
	v_cndmask_b32_e64 v9, v20, v17, s[0:1]
	v_cndmask_b32_e32 v8, v11, v15, vcc
	v_cndmask_b32_e32 v9, v10, v9, vcc
	v_xor_b32_e32 v10, v8, v12
	v_xor_b32_e32 v8, v9, v12
	v_sub_co_u32_e32 v8, vcc, v8, v12
	v_subb_co_u32_e32 v9, vcc, v10, v12, vcc
                                        ; implicit-def: $vgpr11
.LBB27_162:
	s_andn2_saveexec_b64 s[0:1], s[4:5]
	s_cbranch_execz .LBB27_164
; %bb.163:
	v_cvt_f32_u32_e32 v8, s3
	v_rcp_iflag_f32_e32 v8, v8
	v_mul_f32_e32 v8, 0x4f7ffffe, v8
	v_cvt_u32_f32_e32 v8, v8
	v_mul_lo_u32 v9, s8, v8
	v_mul_hi_u32 v9, v8, v9
	v_add_u32_e32 v8, v8, v9
	v_mul_hi_u32 v8, v11, v8
	v_mul_lo_u32 v9, v8, s3
	v_add_u32_e32 v10, 1, v8
	v_sub_u32_e32 v9, v11, v9
	v_subrev_u32_e32 v11, s3, v9
	v_cmp_le_u32_e32 vcc, s3, v9
	v_cndmask_b32_e32 v9, v9, v11, vcc
	v_cndmask_b32_e32 v8, v8, v10, vcc
	v_add_u32_e32 v10, 1, v8
	v_cmp_le_u32_e32 vcc, s3, v9
	v_cndmask_b32_e32 v8, v8, v10, vcc
	v_mov_b32_e32 v9, 0
.LBB27_164:
	s_or_b64 exec, exec, s[0:1]
	v_cmp_gt_i64_e32 vcc, s[28:29], v[4:5]
	v_mov_b32_e32 v5, 0
	v_mov_b32_e32 v4, 0
	s_and_saveexec_b64 s[0:1], vcc
	s_cbranch_execz .LBB27_172
; %bb.165:
	s_add_i32 s4, s3, -1
	v_and_b32_e32 v10, s4, v0
	v_cmp_lt_i64_e32 vcc, 0, v[8:9]
	s_mov_b64 s[4:5], 0
	v_mov_b32_e32 v5, 0
	v_lshlrev_b32_e32 v15, 3, v10
	v_mov_b32_e32 v4, 0
	s_and_saveexec_b64 s[6:7], vcc
	s_cbranch_execz .LBB27_169
; %bb.166:
	v_mov_b32_e32 v5, 0
	v_mov_b32_e32 v12, v9
	v_lshl_add_u32 v16, v2, 3, v15
	s_lshl_b32 s8, s3, 3
	v_mov_b32_e32 v11, v8
	v_mov_b32_e32 v4, v5
.LBB27_167:                             ; =>This Inner Loop Header: Depth=1
	ds_read_b64 v[19:20], v16
	v_add_co_u32_e32 v11, vcc, -1, v11
	v_addc_co_u32_e32 v12, vcc, -1, v12, vcc
	v_cmp_eq_u64_e32 vcc, 0, v[11:12]
	v_add_u32_e32 v16, s8, v16
	s_or_b64 s[4:5], vcc, s[4:5]
	s_waitcnt lgkmcnt(0)
	v_add_f32_e32 v4, v4, v19
	v_add_f32_e32 v5, v5, v20
	s_andn2_b64 exec, exec, s[4:5]
	s_cbranch_execnz .LBB27_167
; %bb.168:
	s_or_b64 exec, exec, s[4:5]
.LBB27_169:
	s_or_b64 exec, exec, s[6:7]
	v_mad_u64_u32 v[2:3], s[4:5], v8, s3, v[2:3]
	v_mov_b32_e32 v11, 0
	v_mad_u64_u32 v[8:9], s[4:5], v9, s3, v[3:4]
	v_sub_co_u32_e32 v12, vcc, v13, v2
	v_subb_co_u32_e32 v13, vcc, v14, v8, vcc
	v_cmp_gt_i64_e32 vcc, v[12:13], v[10:11]
	s_and_saveexec_b64 s[4:5], vcc
	s_cbranch_execz .LBB27_171
; %bb.170:
	v_lshl_add_u32 v2, v2, 3, v15
	ds_read_b64 v[2:3], v2
	s_waitcnt lgkmcnt(0)
	v_add_f32_e32 v4, v4, v2
	v_add_f32_e32 v5, v5, v3
.LBB27_171:
	s_or_b64 exec, exec, s[4:5]
.LBB27_172:
	s_or_b64 exec, exec, s[0:1]
	v_cmp_gt_i64_e32 vcc, s[28:29], v[0:1]
	s_barrier
	ds_write_b64 v18, v[4:5]
	s_waitcnt lgkmcnt(0)
	s_barrier
	s_and_b64 exec, exec, vcc
	s_cbranch_execz .LBB27_179
; %bb.173:
	v_mul_lo_u32 v1, s3, v0
	v_mov_b32_e32 v8, 0
	v_mov_b32_e32 v5, 0
	v_lshlrev_b32_e32 v1, 3, v1
.LBB27_174:                             ; =>This Inner Loop Header: Depth=1
	ds_read_b64 v[2:3], v1
	s_add_i32 s3, s3, -1
	v_add_u32_e32 v1, 8, v1
	s_cmp_eq_u32 s3, 0
	s_waitcnt lgkmcnt(0)
	v_add_f32_e32 v5, v5, v2
	v_add_f32_e32 v8, v8, v3
	s_cbranch_scc0 .LBB27_174
; %bb.175:
	v_lshlrev_b64 v[1:2], 3, v[6:7]
	v_mov_b32_e32 v3, s15
	v_add_co_u32_e32 v1, vcc, s14, v1
	v_addc_co_u32_e32 v2, vcc, v3, v2, vcc
	global_load_dword v6, v[1:2], off
	s_lshl_b32 s0, s2, 3
	s_addk_i32 s0, 0x2000
	v_lshl_add_u32 v0, v0, 3, s0
	ds_read2_b32 v[3:4], v0 offset1:1
	s_mov_b64 s[0:1], 0
	s_waitcnt lgkmcnt(0)
	v_add_f32_e32 v0, v5, v3
.LBB27_176:                             ; =>This Inner Loop Header: Depth=1
	s_waitcnt vmcnt(0)
	v_add_f32_e32 v5, v6, v0
	global_atomic_cmpswap v3, v[1:2], v[5:6], off glc
	s_waitcnt vmcnt(0)
	v_cmp_eq_u32_e32 vcc, v3, v6
	s_or_b64 s[0:1], vcc, s[0:1]
	v_mov_b32_e32 v6, v3
	s_andn2_b64 exec, exec, s[0:1]
	s_cbranch_execnz .LBB27_176
; %bb.177:
	s_or_b64 exec, exec, s[0:1]
	global_load_dword v5, v[1:2], off offset:4
	v_add_f32_e32 v0, v8, v4
	s_mov_b64 s[0:1], 0
.LBB27_178:                             ; =>This Inner Loop Header: Depth=1
	s_waitcnt vmcnt(0)
	v_add_f32_e32 v4, v5, v0
	global_atomic_cmpswap v3, v[1:2], v[4:5], off offset:4 glc
	s_waitcnt vmcnt(0)
	v_cmp_eq_u32_e32 vcc, v3, v5
	s_or_b64 s[0:1], vcc, s[0:1]
	v_mov_b32_e32 v5, v3
	s_andn2_b64 exec, exec, s[0:1]
	s_cbranch_execnz .LBB27_178
.LBB27_179:
	s_endpgm
	.section	.rodata,"a",@progbits
	.p2align	6, 0x0
	.amdhsa_kernel _ZN9rocsparseL27csrmvn_symm_adaptive_kernelIli21rocsparse_complex_numIfES2_S2_S2_EEvbT_S3_PKS3_NS_24const_host_device_scalarIT4_EES5_PKT0_PKT1_PKT2_S8_PT3_21rocsparse_index_base_b
		.amdhsa_group_segment_fixed_size 8192
		.amdhsa_private_segment_fixed_size 0
		.amdhsa_kernarg_size 352
		.amdhsa_user_sgpr_count 6
		.amdhsa_user_sgpr_private_segment_buffer 1
		.amdhsa_user_sgpr_dispatch_ptr 0
		.amdhsa_user_sgpr_queue_ptr 0
		.amdhsa_user_sgpr_kernarg_segment_ptr 1
		.amdhsa_user_sgpr_dispatch_id 0
		.amdhsa_user_sgpr_flat_scratch_init 0
		.amdhsa_user_sgpr_private_segment_size 0
		.amdhsa_uses_dynamic_stack 0
		.amdhsa_system_sgpr_private_segment_wavefront_offset 0
		.amdhsa_system_sgpr_workgroup_id_x 1
		.amdhsa_system_sgpr_workgroup_id_y 0
		.amdhsa_system_sgpr_workgroup_id_z 0
		.amdhsa_system_sgpr_workgroup_info 0
		.amdhsa_system_vgpr_workitem_id 0
		.amdhsa_next_free_vgpr 29
		.amdhsa_next_free_sgpr 61
		.amdhsa_reserve_vcc 1
		.amdhsa_reserve_flat_scratch 0
		.amdhsa_float_round_mode_32 0
		.amdhsa_float_round_mode_16_64 0
		.amdhsa_float_denorm_mode_32 3
		.amdhsa_float_denorm_mode_16_64 3
		.amdhsa_dx10_clamp 1
		.amdhsa_ieee_mode 1
		.amdhsa_fp16_overflow 0
		.amdhsa_exception_fp_ieee_invalid_op 0
		.amdhsa_exception_fp_denorm_src 0
		.amdhsa_exception_fp_ieee_div_zero 0
		.amdhsa_exception_fp_ieee_overflow 0
		.amdhsa_exception_fp_ieee_underflow 0
		.amdhsa_exception_fp_ieee_inexact 0
		.amdhsa_exception_int_div_zero 0
	.end_amdhsa_kernel
	.section	.text._ZN9rocsparseL27csrmvn_symm_adaptive_kernelIli21rocsparse_complex_numIfES2_S2_S2_EEvbT_S3_PKS3_NS_24const_host_device_scalarIT4_EES5_PKT0_PKT1_PKT2_S8_PT3_21rocsparse_index_base_b,"axG",@progbits,_ZN9rocsparseL27csrmvn_symm_adaptive_kernelIli21rocsparse_complex_numIfES2_S2_S2_EEvbT_S3_PKS3_NS_24const_host_device_scalarIT4_EES5_PKT0_PKT1_PKT2_S8_PT3_21rocsparse_index_base_b,comdat
.Lfunc_end27:
	.size	_ZN9rocsparseL27csrmvn_symm_adaptive_kernelIli21rocsparse_complex_numIfES2_S2_S2_EEvbT_S3_PKS3_NS_24const_host_device_scalarIT4_EES5_PKT0_PKT1_PKT2_S8_PT3_21rocsparse_index_base_b, .Lfunc_end27-_ZN9rocsparseL27csrmvn_symm_adaptive_kernelIli21rocsparse_complex_numIfES2_S2_S2_EEvbT_S3_PKS3_NS_24const_host_device_scalarIT4_EES5_PKT0_PKT1_PKT2_S8_PT3_21rocsparse_index_base_b
                                        ; -- End function
	.set _ZN9rocsparseL27csrmvn_symm_adaptive_kernelIli21rocsparse_complex_numIfES2_S2_S2_EEvbT_S3_PKS3_NS_24const_host_device_scalarIT4_EES5_PKT0_PKT1_PKT2_S8_PT3_21rocsparse_index_base_b.num_vgpr, 23
	.set _ZN9rocsparseL27csrmvn_symm_adaptive_kernelIli21rocsparse_complex_numIfES2_S2_S2_EEvbT_S3_PKS3_NS_24const_host_device_scalarIT4_EES5_PKT0_PKT1_PKT2_S8_PT3_21rocsparse_index_base_b.num_agpr, 0
	.set _ZN9rocsparseL27csrmvn_symm_adaptive_kernelIli21rocsparse_complex_numIfES2_S2_S2_EEvbT_S3_PKS3_NS_24const_host_device_scalarIT4_EES5_PKT0_PKT1_PKT2_S8_PT3_21rocsparse_index_base_b.numbered_sgpr, 52
	.set _ZN9rocsparseL27csrmvn_symm_adaptive_kernelIli21rocsparse_complex_numIfES2_S2_S2_EEvbT_S3_PKS3_NS_24const_host_device_scalarIT4_EES5_PKT0_PKT1_PKT2_S8_PT3_21rocsparse_index_base_b.num_named_barrier, 0
	.set _ZN9rocsparseL27csrmvn_symm_adaptive_kernelIli21rocsparse_complex_numIfES2_S2_S2_EEvbT_S3_PKS3_NS_24const_host_device_scalarIT4_EES5_PKT0_PKT1_PKT2_S8_PT3_21rocsparse_index_base_b.private_seg_size, 0
	.set _ZN9rocsparseL27csrmvn_symm_adaptive_kernelIli21rocsparse_complex_numIfES2_S2_S2_EEvbT_S3_PKS3_NS_24const_host_device_scalarIT4_EES5_PKT0_PKT1_PKT2_S8_PT3_21rocsparse_index_base_b.uses_vcc, 1
	.set _ZN9rocsparseL27csrmvn_symm_adaptive_kernelIli21rocsparse_complex_numIfES2_S2_S2_EEvbT_S3_PKS3_NS_24const_host_device_scalarIT4_EES5_PKT0_PKT1_PKT2_S8_PT3_21rocsparse_index_base_b.uses_flat_scratch, 0
	.set _ZN9rocsparseL27csrmvn_symm_adaptive_kernelIli21rocsparse_complex_numIfES2_S2_S2_EEvbT_S3_PKS3_NS_24const_host_device_scalarIT4_EES5_PKT0_PKT1_PKT2_S8_PT3_21rocsparse_index_base_b.has_dyn_sized_stack, 0
	.set _ZN9rocsparseL27csrmvn_symm_adaptive_kernelIli21rocsparse_complex_numIfES2_S2_S2_EEvbT_S3_PKS3_NS_24const_host_device_scalarIT4_EES5_PKT0_PKT1_PKT2_S8_PT3_21rocsparse_index_base_b.has_recursion, 0
	.set _ZN9rocsparseL27csrmvn_symm_adaptive_kernelIli21rocsparse_complex_numIfES2_S2_S2_EEvbT_S3_PKS3_NS_24const_host_device_scalarIT4_EES5_PKT0_PKT1_PKT2_S8_PT3_21rocsparse_index_base_b.has_indirect_call, 0
	.section	.AMDGPU.csdata,"",@progbits
; Kernel info:
; codeLenInByte = 8816
; TotalNumSgprs: 56
; NumVgprs: 23
; ScratchSize: 0
; MemoryBound: 0
; FloatMode: 240
; IeeeMode: 1
; LDSByteSize: 8192 bytes/workgroup (compile time only)
; SGPRBlocks: 8
; VGPRBlocks: 7
; NumSGPRsForWavesPerEU: 65
; NumVGPRsForWavesPerEU: 29
; Occupancy: 8
; WaveLimiterHint : 1
; COMPUTE_PGM_RSRC2:SCRATCH_EN: 0
; COMPUTE_PGM_RSRC2:USER_SGPR: 6
; COMPUTE_PGM_RSRC2:TRAP_HANDLER: 0
; COMPUTE_PGM_RSRC2:TGID_X_EN: 1
; COMPUTE_PGM_RSRC2:TGID_Y_EN: 0
; COMPUTE_PGM_RSRC2:TGID_Z_EN: 0
; COMPUTE_PGM_RSRC2:TIDIG_COMP_CNT: 0
	.section	.text._ZL33csrmvn_symm_large_adaptive_kernelIli21rocsparse_complex_numIfES1_S1_S1_EvbT_PKS2_N9rocsparse24const_host_device_scalarIT4_EES4_PKT0_PKT1_PKT2_S8_PT3_21rocsparse_index_base_b,"axG",@progbits,_ZL33csrmvn_symm_large_adaptive_kernelIli21rocsparse_complex_numIfES1_S1_S1_EvbT_PKS2_N9rocsparse24const_host_device_scalarIT4_EES4_PKT0_PKT1_PKT2_S8_PT3_21rocsparse_index_base_b,comdat
	.globl	_ZL33csrmvn_symm_large_adaptive_kernelIli21rocsparse_complex_numIfES1_S1_S1_EvbT_PKS2_N9rocsparse24const_host_device_scalarIT4_EES4_PKT0_PKT1_PKT2_S8_PT3_21rocsparse_index_base_b ; -- Begin function _ZL33csrmvn_symm_large_adaptive_kernelIli21rocsparse_complex_numIfES1_S1_S1_EvbT_PKS2_N9rocsparse24const_host_device_scalarIT4_EES4_PKT0_PKT1_PKT2_S8_PT3_21rocsparse_index_base_b
	.p2align	8
	.type	_ZL33csrmvn_symm_large_adaptive_kernelIli21rocsparse_complex_numIfES1_S1_S1_EvbT_PKS2_N9rocsparse24const_host_device_scalarIT4_EES4_PKT0_PKT1_PKT2_S8_PT3_21rocsparse_index_base_b,@function
_ZL33csrmvn_symm_large_adaptive_kernelIli21rocsparse_complex_numIfES1_S1_S1_EvbT_PKS2_N9rocsparse24const_host_device_scalarIT4_EES4_PKT0_PKT1_PKT2_S8_PT3_21rocsparse_index_base_b: ; @_ZL33csrmvn_symm_large_adaptive_kernelIli21rocsparse_complex_numIfES1_S1_S1_EvbT_PKS2_N9rocsparse24const_host_device_scalarIT4_EES4_PKT0_PKT1_PKT2_S8_PT3_21rocsparse_index_base_b
; %bb.0:
	s_load_dwordx2 s[10:11], s[4:5], 0x50
	s_load_dwordx2 s[0:1], s[4:5], 0x18
	s_add_u32 s7, s4, 24
	s_addc_u32 s12, s5, 0
	s_waitcnt lgkmcnt(0)
	s_bitcmp1_b32 s11, 0
	s_cselect_b64 s[8:9], -1, 0
	s_and_b64 s[2:3], s[8:9], exec
	s_cselect_b32 s1, s12, s1
	s_cselect_b32 s0, s7, s0
	v_mov_b32_e32 v1, s0
	v_mov_b32_e32 v2, s1
	flat_load_dwordx2 v[1:2], v[1:2]
	s_waitcnt vmcnt(0) lgkmcnt(0)
	v_cmp_eq_f32_e32 vcc, 0, v1
	v_cmp_eq_f32_e64 s[0:1], 0, v2
	s_and_b64 s[12:13], vcc, s[0:1]
	s_mov_b64 s[0:1], -1
	s_and_saveexec_b64 s[2:3], s[12:13]
	s_cbranch_execz .LBB28_2
; %bb.1:
	s_load_dwordx2 s[0:1], s[4:5], 0x40
	s_add_u32 s7, s4, 64
	s_addc_u32 s11, s5, 0
	s_and_b64 s[8:9], s[8:9], exec
	s_waitcnt lgkmcnt(0)
	s_cselect_b32 s1, s11, s1
	s_cselect_b32 s0, s7, s0
	v_mov_b32_e32 v3, s0
	v_mov_b32_e32 v4, s1
	flat_load_dwordx2 v[3:4], v[3:4]
	s_waitcnt vmcnt(0) lgkmcnt(0)
	v_cmp_neq_f32_e32 vcc, 1.0, v3
	v_cmp_neq_f32_e64 s[0:1], 0, v4
	s_or_b64 s[0:1], vcc, s[0:1]
	s_orn2_b64 s[0:1], s[0:1], exec
.LBB28_2:
	s_or_b64 exec, exec, s[2:3]
	s_and_saveexec_b64 s[2:3], s[0:1]
	s_cbranch_execz .LBB28_43
; %bb.3:
	s_load_dword s7, s[4:5], 0x0
	s_load_dwordx2 s[0:1], s[4:5], 0x10
	s_mov_b32 s2, 0
	s_mov_b32 s3, s2
	v_mov_b32_e32 v4, s3
	s_waitcnt lgkmcnt(0)
	s_bitcmp1_b32 s7, 0
	s_cselect_b64 s[24:25], -1, 0
	s_ashr_i32 s7, s6, 31
	v_mov_b32_e32 v3, s2
	s_lshl_b64 s[2:3], s[6:7], 3
	s_add_u32 s0, s0, s2
	v_lshlrev_b32_e32 v13, 3, v0
	s_addc_u32 s1, s1, s3
	ds_write2st64_b64 v13, v[3:4], v[3:4] offset1:4
	ds_write2st64_b64 v13, v[3:4], v[3:4] offset0:8 offset1:12
	s_waitcnt lgkmcnt(0)
	s_barrier
	s_load_dwordx4 s[20:23], s[0:1], 0x0
	s_load_dwordx8 s[12:19], s[4:5], 0x20
	s_load_dwordx2 s[26:27], s[4:5], 0x48
	v_subrev_co_u32_e64 v14, s[0:1], s10, v0
	s_waitcnt lgkmcnt(0)
	v_mov_b32_e32 v3, s22
	v_mov_b32_e32 v4, s23
	v_cmp_ge_i64_e32 vcc, s[20:21], v[3:4]
	v_mov_b32_e32 v16, 0
	v_subb_co_u32_e64 v15, s[0:1], 0, 0, s[0:1]
	s_cbranch_vccnz .LBB28_31
; %bb.4:
	s_add_u32 s11, s16, 4
	v_mov_b32_e32 v3, s22
	v_cmp_gt_u32_e64 s[0:1], 64, v0
	v_cmp_gt_u32_e64 s[2:3], 16, v0
	;; [unrolled: 1-line block ×3, first 2 shown]
	v_cmp_eq_u32_e64 s[6:7], 0, v0
	s_addc_u32 s33, s17, 0
	v_mov_b32_e32 v4, s23
	s_movk_i32 s40, 0x100
	s_mov_b64 s[28:29], s[20:21]
	s_branch .LBB28_6
.LBB28_5:                               ;   in Loop: Header=BB28_6 Depth=1
	s_or_b64 exec, exec, s[8:9]
	s_add_u32 s28, s28, 1
	s_addc_u32 s29, s29, 0
	v_cmp_ge_i64_e32 vcc, s[28:29], v[3:4]
	s_cbranch_vccnz .LBB28_31
.LBB28_6:                               ; =>This Loop Header: Depth=1
                                        ;     Child Loop BB28_8 Depth 2
                                        ;     Child Loop BB28_20 Depth 2
	;; [unrolled: 1-line block ×5, first 2 shown]
	s_lshl_b64 s[30:31], s[28:29], 3
	s_add_u32 s8, s12, s30
	s_addc_u32 s9, s13, s31
	s_load_dwordx4 s[36:39], s[8:9], 0x0
	v_mov_b32_e32 v8, 0
	v_mov_b32_e32 v7, 0
	s_waitcnt lgkmcnt(0)
	s_sub_u32 s34, s38, s10
	v_mov_b32_e32 v0, s37
	v_add_co_u32_e32 v5, vcc, s36, v14
	s_subb_u32 s35, s39, 0
	v_addc_co_u32_e32 v6, vcc, v0, v15, vcc
	v_cmp_gt_i64_e32 vcc, s[34:35], v[5:6]
	s_and_saveexec_b64 s[36:37], vcc
	s_cbranch_execz .LBB28_10
; %bb.7:                                ;   in Loop: Header=BB28_6 Depth=1
	v_lshlrev_b64 v[7:8], 2, v[5:6]
	v_mov_b32_e32 v0, s15
	v_add_co_u32_e32 v9, vcc, s14, v7
	v_addc_co_u32_e32 v10, vcc, v0, v8, vcc
	v_lshlrev_b64 v[7:8], 3, v[5:6]
	v_mov_b32_e32 v0, s33
	v_add_co_u32_e32 v11, vcc, s11, v7
	v_addc_co_u32_e32 v12, vcc, v0, v8, vcc
	v_mov_b32_e32 v8, 0
	s_mov_b64 s[38:39], 0
	v_mov_b32_e32 v7, v8
.LBB28_8:                               ;   Parent Loop BB28_6 Depth=1
                                        ; =>  This Inner Loop Header: Depth=2
	global_load_dword v0, v[9:10], off
	global_load_dwordx2 v[17:18], v[11:12], off offset:-4
	v_mov_b32_e32 v21, s19
	s_waitcnt vmcnt(1)
	v_subrev_u32_e32 v19, s10, v0
	v_ashrrev_i32_e32 v20, 31, v19
	v_lshlrev_b64 v[19:20], 3, v[19:20]
	s_waitcnt vmcnt(0)
	v_cndmask_b32_e64 v0, v18, -v18, s[24:25]
	v_add_co_u32_e32 v19, vcc, s18, v19
	v_addc_co_u32_e32 v20, vcc, v21, v20, vcc
	global_load_dwordx2 v[19:20], v[19:20], off
	v_add_co_u32_e32 v5, vcc, s40, v5
	v_addc_co_u32_e32 v6, vcc, 0, v6, vcc
	v_add_co_u32_e32 v9, vcc, 0x400, v9
	v_addc_co_u32_e32 v10, vcc, 0, v10, vcc
	v_cmp_le_i64_e64 s[8:9], s[34:35], v[5:6]
	v_add_co_u32_e32 v11, vcc, 0x800, v11
	v_addc_co_u32_e32 v12, vcc, 0, v12, vcc
	s_or_b64 s[38:39], s[8:9], s[38:39]
	s_waitcnt vmcnt(0)
	v_fmac_f32_e32 v7, v17, v19
	v_fmac_f32_e32 v8, v0, v19
	v_fma_f32 v7, -v0, v20, v7
	v_fmac_f32_e32 v8, v17, v20
	s_andn2_b64 exec, exec, s[38:39]
	s_cbranch_execnz .LBB28_8
; %bb.9:                                ;   in Loop: Header=BB28_6 Depth=1
	s_or_b64 exec, exec, s[38:39]
.LBB28_10:                              ;   in Loop: Header=BB28_6 Depth=1
	s_or_b64 exec, exec, s[36:37]
	ds_write_b64 v13, v[7:8]
	s_waitcnt lgkmcnt(0)
	s_barrier
	ds_read2st64_b64 v[5:8], v13 offset1:4
	ds_read2st64_b64 v[9:12], v13 offset0:8 offset1:12
	s_waitcnt lgkmcnt(0)
	v_add_f32_e32 v0, v9, v7
	v_add_f32_e32 v7, v10, v8
	;; [unrolled: 1-line block ×6, first 2 shown]
	ds_write_b64 v13, v[5:6]
	s_waitcnt lgkmcnt(0)
	s_barrier
	s_and_saveexec_b64 s[8:9], s[0:1]
	s_cbranch_execz .LBB28_12
; %bb.11:                               ;   in Loop: Header=BB28_6 Depth=1
	ds_read2st64_b64 v[5:8], v13 offset1:1
	ds_read2st64_b64 v[9:12], v13 offset0:2 offset1:3
	s_waitcnt lgkmcnt(0)
	v_add_f32_e32 v0, v9, v7
	v_add_f32_e32 v7, v10, v8
	v_add_f32_e32 v0, v11, v0
	v_add_f32_e32 v7, v12, v7
	v_add_f32_e32 v5, v0, v5
	v_add_f32_e32 v6, v7, v6
	ds_write_b64 v13, v[5:6]
.LBB28_12:                              ;   in Loop: Header=BB28_6 Depth=1
	s_or_b64 exec, exec, s[8:9]
	s_waitcnt lgkmcnt(0)
	s_barrier
	s_and_saveexec_b64 s[8:9], s[2:3]
	s_cbranch_execz .LBB28_14
; %bb.13:                               ;   in Loop: Header=BB28_6 Depth=1
	ds_read2_b64 v[5:8], v13 offset1:16
	ds_read2_b64 v[9:12], v13 offset0:32 offset1:48
	s_waitcnt lgkmcnt(0)
	v_add_f32_e32 v0, v9, v7
	v_add_f32_e32 v7, v10, v8
	;; [unrolled: 1-line block ×6, first 2 shown]
	ds_write_b64 v13, v[5:6]
.LBB28_14:                              ;   in Loop: Header=BB28_6 Depth=1
	s_or_b64 exec, exec, s[8:9]
	s_waitcnt lgkmcnt(0)
	s_barrier
	s_and_saveexec_b64 s[8:9], s[4:5]
	s_cbranch_execz .LBB28_16
; %bb.15:                               ;   in Loop: Header=BB28_6 Depth=1
	ds_read2_b64 v[5:8], v13 offset1:4
	ds_read2_b64 v[9:12], v13 offset0:8 offset1:12
	s_waitcnt lgkmcnt(0)
	v_add_f32_e32 v0, v9, v7
	v_add_f32_e32 v7, v10, v8
	;; [unrolled: 1-line block ×6, first 2 shown]
	ds_write_b64 v13, v[5:6]
.LBB28_16:                              ;   in Loop: Header=BB28_6 Depth=1
	s_or_b64 exec, exec, s[8:9]
	s_waitcnt lgkmcnt(0)
	s_barrier
	s_and_saveexec_b64 s[8:9], s[6:7]
	s_cbranch_execz .LBB28_18
; %bb.17:                               ;   in Loop: Header=BB28_6 Depth=1
	ds_read_b128 v[5:8], v16 offset:16
	ds_read_b64 v[9:10], v16 offset:8
	ds_read_b64 v[11:12], v13
	s_waitcnt lgkmcnt(1)
	v_add_f32_e32 v0, v5, v9
	v_add_f32_e32 v5, v6, v10
	;; [unrolled: 1-line block ×4, first 2 shown]
	s_waitcnt lgkmcnt(0)
	v_add_f32_e32 v5, v0, v11
	v_add_f32_e32 v6, v6, v12
	ds_write_b64 v13, v[5:6]
.LBB28_18:                              ;   in Loop: Header=BB28_6 Depth=1
	s_or_b64 exec, exec, s[8:9]
	s_waitcnt lgkmcnt(0)
	s_barrier
	s_and_saveexec_b64 s[8:9], s[6:7]
	s_cbranch_execz .LBB28_5
; %bb.19:                               ;   in Loop: Header=BB28_6 Depth=1
	ds_read_b64 v[5:6], v16
	s_mov_b64 s[34:35], exec
	v_bfrev_b32_e32 v0, 1
	s_waitcnt lgkmcnt(0)
	v_mul_f32_e64 v7, v6, -v2
	v_fmac_f32_e32 v7, v1, v5
.LBB28_20:                              ;   Parent Loop BB28_6 Depth=1
                                        ; =>  This Inner Loop Header: Depth=2
	s_ff1_i32_b64 s36, s[34:35]
	v_readlane_b32 s38, v7, s36
	s_lshl_b64 s[36:37], 1, s36
	s_andn2_b64 s[34:35], s[34:35], s[36:37]
	s_cmp_lg_u64 s[34:35], 0
	v_add_f32_e32 v0, s38, v0
	s_cbranch_scc1 .LBB28_20
; %bb.21:                               ;   in Loop: Header=BB28_6 Depth=1
	v_mbcnt_lo_u32_b32 v7, exec_lo, 0
	s_add_u32 s30, s26, s30
	v_mbcnt_hi_u32_b32 v7, exec_hi, v7
	s_addc_u32 s31, s27, s31
	v_cmp_eq_u32_e32 vcc, 0, v7
	s_and_saveexec_b64 s[34:35], vcc
	s_xor_b64 s[34:35], exec, s[34:35]
	s_cbranch_execz .LBB28_25
; %bb.22:                               ;   in Loop: Header=BB28_6 Depth=1
	global_load_dword v8, v16, s[30:31]
	s_mov_b64 s[36:37], 0
.LBB28_23:                              ;   Parent Loop BB28_6 Depth=1
                                        ; =>  This Inner Loop Header: Depth=2
	s_waitcnt vmcnt(0)
	v_add_f32_e32 v7, v8, v0
	global_atomic_cmpswap v7, v16, v[7:8], s[30:31] glc
	s_waitcnt vmcnt(0)
	v_cmp_eq_u32_e32 vcc, v7, v8
	s_or_b64 s[36:37], vcc, s[36:37]
	v_mov_b32_e32 v8, v7
	s_andn2_b64 exec, exec, s[36:37]
	s_cbranch_execnz .LBB28_23
; %bb.24:                               ;   in Loop: Header=BB28_6 Depth=1
	s_or_b64 exec, exec, s[36:37]
.LBB28_25:                              ;   in Loop: Header=BB28_6 Depth=1
	s_or_b64 exec, exec, s[34:35]
	v_mul_f32_e32 v6, v1, v6
	s_mov_b64 s[34:35], exec
	v_fmac_f32_e32 v6, v2, v5
	v_bfrev_b32_e32 v0, 1
.LBB28_26:                              ;   Parent Loop BB28_6 Depth=1
                                        ; =>  This Inner Loop Header: Depth=2
	s_ff1_i32_b64 s36, s[34:35]
	v_readlane_b32 s38, v6, s36
	s_lshl_b64 s[36:37], 1, s36
	s_andn2_b64 s[34:35], s[34:35], s[36:37]
	s_cmp_lg_u64 s[34:35], 0
	v_add_f32_e32 v0, s38, v0
	s_cbranch_scc1 .LBB28_26
; %bb.27:                               ;   in Loop: Header=BB28_6 Depth=1
	v_mbcnt_lo_u32_b32 v5, exec_lo, 0
	v_mbcnt_hi_u32_b32 v5, exec_hi, v5
	v_cmp_eq_u32_e32 vcc, 0, v5
	s_and_saveexec_b64 s[34:35], vcc
	s_xor_b64 s[34:35], exec, s[34:35]
	s_cbranch_execz .LBB28_5
; %bb.28:                               ;   in Loop: Header=BB28_6 Depth=1
	global_load_dword v6, v16, s[30:31] offset:4
	s_mov_b64 s[34:35], 0
.LBB28_29:                              ;   Parent Loop BB28_6 Depth=1
                                        ; =>  This Inner Loop Header: Depth=2
	s_waitcnt vmcnt(0)
	v_add_f32_e32 v5, v6, v0
	global_atomic_cmpswap v5, v16, v[5:6], s[30:31] offset:4 glc
	s_waitcnt vmcnt(0)
	v_cmp_eq_u32_e32 vcc, v5, v6
	s_or_b64 s[34:35], vcc, s[34:35]
	v_mov_b32_e32 v6, v5
	s_andn2_b64 exec, exec, s[34:35]
	s_cbranch_execnz .LBB28_29
; %bb.30:                               ;   in Loop: Header=BB28_6 Depth=1
	s_or_b64 exec, exec, s[34:35]
	s_branch .LBB28_5
.LBB28_31:
	s_lshl_b64 s[0:1], s[20:21], 3
	s_add_u32 s0, s12, s0
	s_addc_u32 s1, s13, s1
	s_lshl_b64 s[2:3], s[22:23], 3
	s_add_u32 s2, s12, s2
	s_addc_u32 s3, s13, s3
	s_load_dwordx2 s[6:7], s[0:1], 0x0
	s_load_dwordx2 s[4:5], s[2:3], 0x0
	s_waitcnt lgkmcnt(0)
	v_mov_b32_e32 v0, s7
	s_sub_u32 s4, s4, s10
	v_add_co_u32_e32 v3, vcc, s6, v14
	s_subb_u32 s5, s5, 0
	v_addc_co_u32_e32 v4, vcc, v0, v15, vcc
	v_cmp_gt_i64_e32 vcc, s[4:5], v[3:4]
	s_and_b64 exec, exec, vcc
	s_cbranch_execz .LBB28_43
; %bb.32:
	s_add_u32 s6, s22, -1
	s_addc_u32 s7, s23, -1
	v_mov_b32_e32 v5, s6
	s_add_u32 s0, s22, -2
	v_mov_b32_e32 v6, s7
	s_addc_u32 s1, s23, -1
	v_cmp_lt_i64_e32 vcc, s[20:21], v[5:6]
	s_cmp_lg_u64 s[20:21], s[0:1]
	s_cselect_b64 s[0:1], -1, 0
	s_and_b64 s[0:1], vcc, s[0:1]
	v_cndmask_b32_e64 v0, 0, 1, s[0:1]
	s_mov_b64 s[8:9], 0
	v_cmp_ne_u32_e64 s[0:1], 1, v0
	v_mov_b32_e32 v0, s13
	v_mov_b32_e32 v11, s15
	s_branch .LBB28_34
.LBB28_33:                              ;   in Loop: Header=BB28_34 Depth=1
	s_or_b64 exec, exec, s[2:3]
	v_add_co_u32_e32 v3, vcc, 0x100, v3
	v_addc_co_u32_e32 v4, vcc, 0, v4, vcc
	v_cmp_le_i64_e32 vcc, s[4:5], v[3:4]
	s_or_b64 s[8:9], vcc, s[8:9]
	s_andn2_b64 exec, exec, s[8:9]
	s_cbranch_execz .LBB28_43
.LBB28_34:                              ; =>This Loop Header: Depth=1
                                        ;     Child Loop BB28_36 Depth 2
                                        ;     Child Loop BB28_40 Depth 2
                                        ;     Child Loop BB28_42 Depth 2
	v_mov_b32_e32 v5, s20
	v_mov_b32_e32 v8, s7
	s_and_b64 vcc, exec, s[0:1]
	v_mov_b32_e32 v6, s21
	v_mov_b32_e32 v7, s6
	s_cbranch_vccnz .LBB28_38
; %bb.35:                               ;   in Loop: Header=BB28_34 Depth=1
	v_mov_b32_e32 v5, s20
	v_mov_b32_e32 v8, s7
	s_mov_b64 s[22:23], 0
	v_mov_b32_e32 v6, s21
	v_mov_b32_e32 v7, s6
.LBB28_36:                              ;   Parent Loop BB28_34 Depth=1
                                        ; =>  This Inner Loop Header: Depth=2
	v_add_co_u32_e32 v9, vcc, v7, v5
	v_addc_co_u32_e32 v10, vcc, v8, v6, vcc
	v_lshrrev_b32_e32 v12, 31, v10
	v_add_co_u32_e32 v9, vcc, v9, v12
	v_addc_co_u32_e32 v10, vcc, 0, v10, vcc
	v_ashrrev_i64 v[9:10], 1, v[9:10]
	v_mov_b32_e32 v14, s13
	v_lshlrev_b64 v[12:13], 3, v[9:10]
	v_add_co_u32_e32 v12, vcc, s12, v12
	v_addc_co_u32_e32 v13, vcc, v14, v13, vcc
	global_load_dwordx2 v[12:13], v[12:13], off
	s_waitcnt vmcnt(0)
	v_subrev_co_u32_e32 v12, vcc, s10, v12
	v_subbrev_co_u32_e32 v13, vcc, 0, v13, vcc
	v_cmp_lt_i64_e32 vcc, v[3:4], v[12:13]
	v_cndmask_b32_e32 v7, v7, v9, vcc
	v_cndmask_b32_e32 v8, v8, v10, vcc
	;; [unrolled: 1-line block ×3, first 2 shown]
	v_add_co_u32_e64 v9, s[2:3], -1, v7
	v_cndmask_b32_e32 v6, v10, v6, vcc
	v_addc_co_u32_e64 v10, s[2:3], -1, v8, s[2:3]
	v_cmp_ge_i64_e32 vcc, v[5:6], v[7:8]
	v_cmp_eq_u64_e64 s[2:3], v[5:6], v[9:10]
	s_or_b64 s[2:3], vcc, s[2:3]
	s_and_b64 s[2:3], exec, s[2:3]
	s_or_b64 s[22:23], s[2:3], s[22:23]
	s_andn2_b64 exec, exec, s[22:23]
	s_cbranch_execnz .LBB28_36
; %bb.37:                               ;   in Loop: Header=BB28_34 Depth=1
	s_or_b64 exec, exec, s[22:23]
.LBB28_38:                              ;   in Loop: Header=BB28_34 Depth=1
	v_lshlrev_b64 v[9:10], 3, v[7:8]
	v_lshlrev_b64 v[12:13], 2, v[3:4]
	v_add_co_u32_e32 v9, vcc, s12, v9
	v_addc_co_u32_e32 v10, vcc, v0, v10, vcc
	global_load_dwordx2 v[9:10], v[9:10], off
	v_add_co_u32_e32 v12, vcc, s14, v12
	v_addc_co_u32_e32 v13, vcc, v11, v13, vcc
	global_load_dword v14, v[12:13], off
	s_waitcnt vmcnt(1)
	v_subrev_co_u32_e32 v12, vcc, s10, v9
	v_subbrev_co_u32_e32 v13, vcc, 0, v10, vcc
	v_cmp_lt_i64_e32 vcc, v[3:4], v[12:13]
	s_waitcnt vmcnt(0)
	v_subrev_u32_e32 v9, s10, v14
	v_cndmask_b32_e32 v6, v8, v6, vcc
	v_cndmask_b32_e32 v5, v7, v5, vcc
	v_ashrrev_i32_e32 v10, 31, v9
	v_cmp_ne_u64_e32 vcc, v[5:6], v[9:10]
	s_and_saveexec_b64 s[2:3], vcc
	s_cbranch_execz .LBB28_33
; %bb.39:                               ;   in Loop: Header=BB28_34 Depth=1
	v_lshlrev_b64 v[7:8], 3, v[3:4]
	v_mov_b32_e32 v13, s17
	v_add_co_u32_e32 v7, vcc, s16, v7
	v_addc_co_u32_e32 v8, vcc, v13, v8, vcc
	v_lshlrev_b64 v[5:6], 3, v[5:6]
	global_load_dwordx2 v[14:15], v[7:8], off
	v_lshlrev_b64 v[9:10], 3, v[9:10]
	v_mov_b32_e32 v7, s19
	v_add_co_u32_e32 v5, vcc, s18, v5
	v_addc_co_u32_e32 v6, vcc, v7, v6, vcc
	v_mov_b32_e32 v12, s27
	global_load_dwordx2 v[7:8], v[5:6], off
	v_add_co_u32_e32 v5, vcc, s26, v9
	v_addc_co_u32_e32 v6, vcc, v12, v10, vcc
	global_load_dword v10, v[5:6], off
	s_mov_b64 s[22:23], 0
	s_waitcnt vmcnt(2)
	v_cndmask_b32_e64 v9, v15, -v15, s[24:25]
	v_mul_f32_e32 v13, v1, v9
	v_mul_f32_e64 v12, v9, -v2
	v_fmac_f32_e32 v13, v2, v14
	v_fmac_f32_e32 v12, v1, v14
	s_waitcnt vmcnt(1)
	v_mul_f32_e64 v14, v8, -v13
	v_fmac_f32_e32 v14, v12, v7
.LBB28_40:                              ;   Parent Loop BB28_34 Depth=1
                                        ; =>  This Inner Loop Header: Depth=2
	s_waitcnt vmcnt(0)
	v_add_f32_e32 v9, v10, v14
	global_atomic_cmpswap v9, v[5:6], v[9:10], off glc
	s_waitcnt vmcnt(0)
	v_cmp_eq_u32_e32 vcc, v9, v10
	s_or_b64 s[22:23], vcc, s[22:23]
	v_mov_b32_e32 v10, v9
	s_andn2_b64 exec, exec, s[22:23]
	s_cbranch_execnz .LBB28_40
; %bb.41:                               ;   in Loop: Header=BB28_34 Depth=1
	s_or_b64 exec, exec, s[22:23]
	global_load_dword v9, v[5:6], off offset:4
	v_mul_f32_e32 v10, v8, v12
	v_fmac_f32_e32 v10, v13, v7
	s_mov_b64 s[22:23], 0
.LBB28_42:                              ;   Parent Loop BB28_34 Depth=1
                                        ; =>  This Inner Loop Header: Depth=2
	s_waitcnt vmcnt(0)
	v_add_f32_e32 v8, v9, v10
	global_atomic_cmpswap v7, v[5:6], v[8:9], off offset:4 glc
	s_waitcnt vmcnt(0)
	v_cmp_eq_u32_e32 vcc, v7, v9
	s_or_b64 s[22:23], vcc, s[22:23]
	v_mov_b32_e32 v9, v7
	s_andn2_b64 exec, exec, s[22:23]
	s_cbranch_execnz .LBB28_42
	s_branch .LBB28_33
.LBB28_43:
	s_endpgm
	.section	.rodata,"a",@progbits
	.p2align	6, 0x0
	.amdhsa_kernel _ZL33csrmvn_symm_large_adaptive_kernelIli21rocsparse_complex_numIfES1_S1_S1_EvbT_PKS2_N9rocsparse24const_host_device_scalarIT4_EES4_PKT0_PKT1_PKT2_S8_PT3_21rocsparse_index_base_b
		.amdhsa_group_segment_fixed_size 8192
		.amdhsa_private_segment_fixed_size 0
		.amdhsa_kernarg_size 88
		.amdhsa_user_sgpr_count 6
		.amdhsa_user_sgpr_private_segment_buffer 1
		.amdhsa_user_sgpr_dispatch_ptr 0
		.amdhsa_user_sgpr_queue_ptr 0
		.amdhsa_user_sgpr_kernarg_segment_ptr 1
		.amdhsa_user_sgpr_dispatch_id 0
		.amdhsa_user_sgpr_flat_scratch_init 0
		.amdhsa_user_sgpr_private_segment_size 0
		.amdhsa_uses_dynamic_stack 0
		.amdhsa_system_sgpr_private_segment_wavefront_offset 0
		.amdhsa_system_sgpr_workgroup_id_x 1
		.amdhsa_system_sgpr_workgroup_id_y 0
		.amdhsa_system_sgpr_workgroup_id_z 0
		.amdhsa_system_sgpr_workgroup_info 0
		.amdhsa_system_vgpr_workitem_id 0
		.amdhsa_next_free_vgpr 29
		.amdhsa_next_free_sgpr 61
		.amdhsa_reserve_vcc 1
		.amdhsa_reserve_flat_scratch 0
		.amdhsa_float_round_mode_32 0
		.amdhsa_float_round_mode_16_64 0
		.amdhsa_float_denorm_mode_32 3
		.amdhsa_float_denorm_mode_16_64 3
		.amdhsa_dx10_clamp 1
		.amdhsa_ieee_mode 1
		.amdhsa_fp16_overflow 0
		.amdhsa_exception_fp_ieee_invalid_op 0
		.amdhsa_exception_fp_denorm_src 0
		.amdhsa_exception_fp_ieee_div_zero 0
		.amdhsa_exception_fp_ieee_overflow 0
		.amdhsa_exception_fp_ieee_underflow 0
		.amdhsa_exception_fp_ieee_inexact 0
		.amdhsa_exception_int_div_zero 0
	.end_amdhsa_kernel
	.section	.text._ZL33csrmvn_symm_large_adaptive_kernelIli21rocsparse_complex_numIfES1_S1_S1_EvbT_PKS2_N9rocsparse24const_host_device_scalarIT4_EES4_PKT0_PKT1_PKT2_S8_PT3_21rocsparse_index_base_b,"axG",@progbits,_ZL33csrmvn_symm_large_adaptive_kernelIli21rocsparse_complex_numIfES1_S1_S1_EvbT_PKS2_N9rocsparse24const_host_device_scalarIT4_EES4_PKT0_PKT1_PKT2_S8_PT3_21rocsparse_index_base_b,comdat
.Lfunc_end28:
	.size	_ZL33csrmvn_symm_large_adaptive_kernelIli21rocsparse_complex_numIfES1_S1_S1_EvbT_PKS2_N9rocsparse24const_host_device_scalarIT4_EES4_PKT0_PKT1_PKT2_S8_PT3_21rocsparse_index_base_b, .Lfunc_end28-_ZL33csrmvn_symm_large_adaptive_kernelIli21rocsparse_complex_numIfES1_S1_S1_EvbT_PKS2_N9rocsparse24const_host_device_scalarIT4_EES4_PKT0_PKT1_PKT2_S8_PT3_21rocsparse_index_base_b
                                        ; -- End function
	.set _ZL33csrmvn_symm_large_adaptive_kernelIli21rocsparse_complex_numIfES1_S1_S1_EvbT_PKS2_N9rocsparse24const_host_device_scalarIT4_EES4_PKT0_PKT1_PKT2_S8_PT3_21rocsparse_index_base_b.num_vgpr, 22
	.set _ZL33csrmvn_symm_large_adaptive_kernelIli21rocsparse_complex_numIfES1_S1_S1_EvbT_PKS2_N9rocsparse24const_host_device_scalarIT4_EES4_PKT0_PKT1_PKT2_S8_PT3_21rocsparse_index_base_b.num_agpr, 0
	.set _ZL33csrmvn_symm_large_adaptive_kernelIli21rocsparse_complex_numIfES1_S1_S1_EvbT_PKS2_N9rocsparse24const_host_device_scalarIT4_EES4_PKT0_PKT1_PKT2_S8_PT3_21rocsparse_index_base_b.numbered_sgpr, 41
	.set _ZL33csrmvn_symm_large_adaptive_kernelIli21rocsparse_complex_numIfES1_S1_S1_EvbT_PKS2_N9rocsparse24const_host_device_scalarIT4_EES4_PKT0_PKT1_PKT2_S8_PT3_21rocsparse_index_base_b.num_named_barrier, 0
	.set _ZL33csrmvn_symm_large_adaptive_kernelIli21rocsparse_complex_numIfES1_S1_S1_EvbT_PKS2_N9rocsparse24const_host_device_scalarIT4_EES4_PKT0_PKT1_PKT2_S8_PT3_21rocsparse_index_base_b.private_seg_size, 0
	.set _ZL33csrmvn_symm_large_adaptive_kernelIli21rocsparse_complex_numIfES1_S1_S1_EvbT_PKS2_N9rocsparse24const_host_device_scalarIT4_EES4_PKT0_PKT1_PKT2_S8_PT3_21rocsparse_index_base_b.uses_vcc, 1
	.set _ZL33csrmvn_symm_large_adaptive_kernelIli21rocsparse_complex_numIfES1_S1_S1_EvbT_PKS2_N9rocsparse24const_host_device_scalarIT4_EES4_PKT0_PKT1_PKT2_S8_PT3_21rocsparse_index_base_b.uses_flat_scratch, 0
	.set _ZL33csrmvn_symm_large_adaptive_kernelIli21rocsparse_complex_numIfES1_S1_S1_EvbT_PKS2_N9rocsparse24const_host_device_scalarIT4_EES4_PKT0_PKT1_PKT2_S8_PT3_21rocsparse_index_base_b.has_dyn_sized_stack, 0
	.set _ZL33csrmvn_symm_large_adaptive_kernelIli21rocsparse_complex_numIfES1_S1_S1_EvbT_PKS2_N9rocsparse24const_host_device_scalarIT4_EES4_PKT0_PKT1_PKT2_S8_PT3_21rocsparse_index_base_b.has_recursion, 0
	.set _ZL33csrmvn_symm_large_adaptive_kernelIli21rocsparse_complex_numIfES1_S1_S1_EvbT_PKS2_N9rocsparse24const_host_device_scalarIT4_EES4_PKT0_PKT1_PKT2_S8_PT3_21rocsparse_index_base_b.has_indirect_call, 0
	.section	.AMDGPU.csdata,"",@progbits
; Kernel info:
; codeLenInByte = 2076
; TotalNumSgprs: 45
; NumVgprs: 22
; ScratchSize: 0
; MemoryBound: 0
; FloatMode: 240
; IeeeMode: 1
; LDSByteSize: 8192 bytes/workgroup (compile time only)
; SGPRBlocks: 8
; VGPRBlocks: 7
; NumSGPRsForWavesPerEU: 65
; NumVGPRsForWavesPerEU: 29
; Occupancy: 8
; WaveLimiterHint : 1
; COMPUTE_PGM_RSRC2:SCRATCH_EN: 0
; COMPUTE_PGM_RSRC2:USER_SGPR: 6
; COMPUTE_PGM_RSRC2:TRAP_HANDLER: 0
; COMPUTE_PGM_RSRC2:TGID_X_EN: 1
; COMPUTE_PGM_RSRC2:TGID_Y_EN: 0
; COMPUTE_PGM_RSRC2:TGID_Z_EN: 0
; COMPUTE_PGM_RSRC2:TIDIG_COMP_CNT: 0
	.section	.text._ZN9rocsparseL22csrmvn_adaptive_kernelIll21rocsparse_complex_numIfES2_S2_S2_EEvbT_PKS3_PjPKT0_NS_24const_host_device_scalarIT4_EES5_S9_PKT1_PKT2_SC_PT3_21rocsparse_index_base_b,"axG",@progbits,_ZN9rocsparseL22csrmvn_adaptive_kernelIll21rocsparse_complex_numIfES2_S2_S2_EEvbT_PKS3_PjPKT0_NS_24const_host_device_scalarIT4_EES5_S9_PKT1_PKT2_SC_PT3_21rocsparse_index_base_b,comdat
	.globl	_ZN9rocsparseL22csrmvn_adaptive_kernelIll21rocsparse_complex_numIfES2_S2_S2_EEvbT_PKS3_PjPKT0_NS_24const_host_device_scalarIT4_EES5_S9_PKT1_PKT2_SC_PT3_21rocsparse_index_base_b ; -- Begin function _ZN9rocsparseL22csrmvn_adaptive_kernelIll21rocsparse_complex_numIfES2_S2_S2_EEvbT_PKS3_PjPKT0_NS_24const_host_device_scalarIT4_EES5_S9_PKT1_PKT2_SC_PT3_21rocsparse_index_base_b
	.p2align	8
	.type	_ZN9rocsparseL22csrmvn_adaptive_kernelIll21rocsparse_complex_numIfES2_S2_S2_EEvbT_PKS3_PjPKT0_NS_24const_host_device_scalarIT4_EES5_S9_PKT1_PKT2_SC_PT3_21rocsparse_index_base_b,@function
_ZN9rocsparseL22csrmvn_adaptive_kernelIll21rocsparse_complex_numIfES2_S2_S2_EEvbT_PKS3_PjPKT0_NS_24const_host_device_scalarIT4_EES5_S9_PKT1_PKT2_SC_PT3_21rocsparse_index_base_b: ; @_ZN9rocsparseL22csrmvn_adaptive_kernelIll21rocsparse_complex_numIfES2_S2_S2_EEvbT_PKS3_PjPKT0_NS_24const_host_device_scalarIT4_EES5_S9_PKT1_PKT2_SC_PT3_21rocsparse_index_base_b
; %bb.0:
	s_load_dwordx2 s[0:1], s[4:5], 0x28
	s_load_dwordx2 s[44:45], s[4:5], 0x60
	s_add_u32 s7, s4, 40
	s_addc_u32 s8, s5, 0
	s_add_u32 s9, s4, 0x50
	s_load_dwordx2 s[2:3], s[4:5], 0x50
	s_addc_u32 s10, s5, 0
	s_waitcnt lgkmcnt(0)
	s_bitcmp1_b32 s45, 0
	s_cselect_b32 s1, s8, s1
	s_cselect_b32 s0, s7, s0
	v_mov_b32_e32 v1, s0
	v_mov_b32_e32 v2, s1
	flat_load_dwordx2 v[1:2], v[1:2]
	s_cselect_b32 s0, s10, s3
	s_cselect_b32 s1, s9, s2
	v_mov_b32_e32 v3, s1
	v_mov_b32_e32 v4, s0
	flat_load_dwordx2 v[5:6], v[3:4]
	s_waitcnt vmcnt(0) lgkmcnt(0)
	v_cmp_eq_f32_e32 vcc, 0, v1
	v_cmp_eq_f32_e64 s[0:1], 0, v2
	s_and_b64 s[8:9], vcc, s[0:1]
	s_mov_b64 s[0:1], -1
	s_and_saveexec_b64 s[2:3], s[8:9]
; %bb.1:
	v_cmp_neq_f32_e32 vcc, 1.0, v5
	v_cmp_neq_f32_e64 s[0:1], 0, v6
	s_or_b64 s[0:1], vcc, s[0:1]
	s_orn2_b64 s[0:1], s[0:1], exec
; %bb.2:
	s_or_b64 exec, exec, s[2:3]
	s_and_saveexec_b64 s[2:3], s[0:1]
	s_cbranch_execz .LBB29_116
; %bb.3:
	s_load_dwordx2 s[2:3], s[4:5], 0x20
	s_load_dword s7, s[4:5], 0x0
	s_load_dwordx2 s[0:1], s[4:5], 0x10
	s_waitcnt lgkmcnt(0)
	s_bitcmp1_b32 s7, 0
	s_cselect_b64 s[46:47], -1, 0
	s_ashr_i32 s7, s6, 31
	s_lshl_b64 s[8:9], s[6:7], 3
	s_add_u32 s0, s0, s8
	s_addc_u32 s1, s1, s9
	s_load_dwordx4 s[36:39], s[0:1], 0x0
	s_load_dwordx2 s[22:23], s[4:5], 0x58
	s_load_dwordx8 s[24:31], s[4:5], 0x30
	s_waitcnt lgkmcnt(0)
	s_sub_u32 s0, s38, s36
	s_subb_u32 s1, s39, s37
	s_add_u32 s2, s2, s8
	s_addc_u32 s3, s3, s9
	s_lshl_b64 s[48:49], s[36:37], 3
	s_add_u32 s42, s24, s48
	s_addc_u32 s43, s25, s49
	s_load_dwordx2 s[34:35], s[2:3], 0x0
	s_load_dwordx2 s[40:41], s[42:43], 0x0
	v_cmp_lt_i64_e64 s[8:9], s[0:1], 2
	s_mov_b64 s[2:3], -1
	s_and_b64 vcc, exec, s[8:9]
	s_cbranch_vccz .LBB29_72
; %bb.4:
	s_cmp_lg_u64 s[0:1], 1
	s_cselect_b64 s[0:1], -1, 0
	s_waitcnt lgkmcnt(0)
	s_cmp_lg_u64 s[34:35], 0
	s_cselect_b64 s[2:3], -1, 0
	s_or_b64 s[0:1], s[0:1], s[2:3]
	s_mov_b64 s[18:19], -1
	s_and_b64 vcc, exec, s[0:1]
	v_cmp_gt_u32_e64 s[0:1], 64, v0
	v_cmp_gt_u32_e64 s[2:3], 32, v0
	;; [unrolled: 1-line block ×6, first 2 shown]
	v_cmp_eq_u32_e64 s[16:17], 0, v0
	s_cbranch_vccnz .LBB29_32
; %bb.5:
	v_subrev_co_u32_e32 v16, vcc, s44, v0
	v_subb_co_u32_e64 v17, s[18:19], 0, 0, vcc
	v_cmp_neq_f32_e32 vcc, 0, v5
	v_cmp_neq_f32_e64 s[20:21], 0, v6
	s_or_b64 s[50:51], vcc, s[20:21]
	s_movk_i32 s18, 0x80
	s_add_u32 s33, s28, 4
	v_mov_b32_e32 v3, s38
	v_mov_b32_e32 v15, 0
	v_lshlrev_b32_e32 v18, 3, v0
	v_cmp_gt_u32_e64 s[18:19], s18, v0
	s_addc_u32 s45, s29, 0
	v_mov_b32_e32 v4, s39
	s_movk_i32 s62, 0x100
	s_mov_b64 s[52:53], s[36:37]
	s_branch .LBB29_8
.LBB29_6:                               ;   in Loop: Header=BB29_8 Depth=1
	s_or_b64 exec, exec, s[56:57]
	s_add_u32 s54, s22, s54
	s_addc_u32 s55, s23, s55
	s_waitcnt lgkmcnt(0)
	global_store_dwordx2 v15, v[7:8], s[54:55]
.LBB29_7:                               ;   in Loop: Header=BB29_8 Depth=1
	s_or_b64 exec, exec, s[20:21]
	s_add_u32 s52, s52, 1
	s_addc_u32 s53, s53, 0
	v_cmp_ge_i64_e32 vcc, s[52:53], v[3:4]
	s_cbranch_vccnz .LBB29_31
.LBB29_8:                               ; =>This Loop Header: Depth=1
                                        ;     Child Loop BB29_10 Depth 2
	s_lshl_b64 s[54:55], s[52:53], 3
	s_add_u32 s20, s24, s54
	s_addc_u32 s21, s25, s55
	s_load_dwordx4 s[64:67], s[20:21], 0x0
	v_mov_b32_e32 v10, 0
	v_mov_b32_e32 v9, 0
	s_waitcnt lgkmcnt(0)
	s_sub_u32 s56, s66, s44
	v_mov_b32_e32 v8, s65
	v_add_co_u32_e32 v7, vcc, s64, v16
	s_subb_u32 s57, s67, 0
	v_addc_co_u32_e32 v8, vcc, v8, v17, vcc
	v_cmp_gt_i64_e32 vcc, s[56:57], v[7:8]
	s_and_saveexec_b64 s[58:59], vcc
	s_cbranch_execz .LBB29_12
; %bb.9:                                ;   in Loop: Header=BB29_8 Depth=1
	v_lshlrev_b64 v[9:10], 3, v[7:8]
	v_mov_b32_e32 v12, s45
	v_add_co_u32_e32 v11, vcc, s33, v9
	v_addc_co_u32_e32 v12, vcc, v12, v10, vcc
	v_mov_b32_e32 v14, s27
	v_add_co_u32_e32 v13, vcc, s26, v9
	v_addc_co_u32_e32 v14, vcc, v14, v10, vcc
	v_mov_b32_e32 v10, 0
	s_mov_b64 s[60:61], 0
	v_mov_b32_e32 v9, v10
.LBB29_10:                              ;   Parent Loop BB29_8 Depth=1
                                        ; =>  This Inner Loop Header: Depth=2
	global_load_dwordx2 v[19:20], v[13:14], off
	global_load_dwordx2 v[21:22], v[11:12], off offset:-4
	v_mov_b32_e32 v23, s31
	s_waitcnt vmcnt(1)
	v_subrev_co_u32_e32 v19, vcc, s44, v19
	v_subbrev_co_u32_e32 v20, vcc, 0, v20, vcc
	v_lshlrev_b64 v[19:20], 3, v[19:20]
	s_waitcnt vmcnt(0)
	v_cndmask_b32_e64 v22, v22, -v22, s[46:47]
	v_add_co_u32_e32 v19, vcc, s30, v19
	v_addc_co_u32_e32 v20, vcc, v23, v20, vcc
	global_load_dwordx2 v[19:20], v[19:20], off
	v_add_co_u32_e32 v7, vcc, s62, v7
	v_addc_co_u32_e32 v8, vcc, 0, v8, vcc
	v_add_co_u32_e32 v11, vcc, 0x800, v11
	v_mul_f32_e64 v23, v22, -v2
	v_mul_f32_e32 v22, v1, v22
	v_addc_co_u32_e32 v12, vcc, 0, v12, vcc
	v_cmp_le_i64_e64 s[20:21], s[56:57], v[7:8]
	v_fmac_f32_e32 v23, v1, v21
	v_fmac_f32_e32 v22, v2, v21
	v_add_co_u32_e32 v13, vcc, 0x800, v13
	v_addc_co_u32_e32 v14, vcc, 0, v14, vcc
	s_or_b64 s[60:61], s[20:21], s[60:61]
	s_waitcnt vmcnt(0)
	v_fmac_f32_e32 v9, v23, v19
	v_fmac_f32_e32 v10, v22, v19
	v_fma_f32 v9, -v22, v20, v9
	v_fmac_f32_e32 v10, v23, v20
	s_andn2_b64 exec, exec, s[60:61]
	s_cbranch_execnz .LBB29_10
; %bb.11:                               ;   in Loop: Header=BB29_8 Depth=1
	s_or_b64 exec, exec, s[60:61]
.LBB29_12:                              ;   in Loop: Header=BB29_8 Depth=1
	s_or_b64 exec, exec, s[58:59]
	ds_write_b64 v18, v[9:10]
	s_waitcnt vmcnt(0) lgkmcnt(0)
	s_barrier
	s_and_saveexec_b64 s[20:21], s[18:19]
	s_cbranch_execz .LBB29_14
; %bb.13:                               ;   in Loop: Header=BB29_8 Depth=1
	ds_read2st64_b64 v[7:10], v18 offset1:2
	s_waitcnt lgkmcnt(0)
	v_add_f32_e32 v7, v9, v7
	v_add_f32_e32 v8, v10, v8
	ds_write_b64 v18, v[7:8]
.LBB29_14:                              ;   in Loop: Header=BB29_8 Depth=1
	s_or_b64 exec, exec, s[20:21]
	s_waitcnt lgkmcnt(0)
	s_barrier
	s_and_saveexec_b64 s[20:21], s[0:1]
	s_cbranch_execz .LBB29_16
; %bb.15:                               ;   in Loop: Header=BB29_8 Depth=1
	ds_read2st64_b64 v[7:10], v18 offset1:1
	s_waitcnt lgkmcnt(0)
	v_add_f32_e32 v7, v9, v7
	v_add_f32_e32 v8, v10, v8
	ds_write_b64 v18, v[7:8]
.LBB29_16:                              ;   in Loop: Header=BB29_8 Depth=1
	s_or_b64 exec, exec, s[20:21]
	s_waitcnt lgkmcnt(0)
	s_barrier
	s_and_saveexec_b64 s[20:21], s[2:3]
	s_cbranch_execz .LBB29_18
; %bb.17:                               ;   in Loop: Header=BB29_8 Depth=1
	ds_read2_b64 v[7:10], v18 offset1:32
	s_waitcnt lgkmcnt(0)
	v_add_f32_e32 v7, v9, v7
	v_add_f32_e32 v8, v10, v8
	ds_write_b64 v18, v[7:8]
.LBB29_18:                              ;   in Loop: Header=BB29_8 Depth=1
	s_or_b64 exec, exec, s[20:21]
	s_waitcnt lgkmcnt(0)
	s_barrier
	s_and_saveexec_b64 s[20:21], s[8:9]
	s_cbranch_execz .LBB29_20
; %bb.19:                               ;   in Loop: Header=BB29_8 Depth=1
	ds_read2_b64 v[7:10], v18 offset1:16
	s_waitcnt lgkmcnt(0)
	v_add_f32_e32 v7, v9, v7
	v_add_f32_e32 v8, v10, v8
	ds_write_b64 v18, v[7:8]
.LBB29_20:                              ;   in Loop: Header=BB29_8 Depth=1
	;; [unrolled: 12-line block ×6, first 2 shown]
	s_or_b64 exec, exec, s[20:21]
	s_waitcnt lgkmcnt(0)
	s_barrier
	s_and_saveexec_b64 s[20:21], s[16:17]
	s_cbranch_execz .LBB29_7
; %bb.29:                               ;   in Loop: Header=BB29_8 Depth=1
	ds_read_b64 v[7:8], v15
	s_and_saveexec_b64 s[56:57], s[50:51]
	s_cbranch_execz .LBB29_6
; %bb.30:                               ;   in Loop: Header=BB29_8 Depth=1
	s_add_u32 s58, s22, s54
	s_addc_u32 s59, s23, s55
	global_load_dwordx2 v[9:10], v15, s[58:59]
	s_waitcnt vmcnt(0) lgkmcnt(0)
	v_fma_f32 v7, v5, v9, v7
	v_fmac_f32_e32 v8, v6, v9
	v_fma_f32 v7, -v6, v10, v7
	v_fmac_f32_e32 v8, v5, v10
	s_branch .LBB29_6
.LBB29_31:
	s_mov_b64 s[18:19], 0
.LBB29_32:
	s_and_b64 vcc, exec, s[18:19]
	s_cbranch_vccz .LBB29_71
; %bb.33:
	s_load_dwordx2 s[8:9], s[4:5], 0x18
	s_sub_u32 s10, s6, s34
	s_subb_u32 s11, s7, s35
	s_lshl_b64 s[0:1], s[6:7], 2
	v_mov_b32_e32 v3, 0
	s_waitcnt lgkmcnt(0)
	s_add_u32 s6, s8, s0
	s_addc_u32 s7, s9, s1
	global_load_dword v13, v3, s[6:7]
	s_cmp_lg_u64 s[34:35], 0
	s_cselect_b64 s[12:13], -1, 0
	s_cmp_eq_u64 s[34:35], 0
	s_cselect_b64 s[2:3], -1, 0
	v_cmp_eq_u32_e64 s[0:1], 0, v0
	s_and_b64 s[14:15], s[0:1], s[2:3]
	v_mov_b32_e32 v4, 0
	s_and_saveexec_b64 s[2:3], s[14:15]
	s_cbranch_execz .LBB29_37
; %bb.34:
	s_add_u32 s16, s22, s48
	s_addc_u32 s17, s23, s49
	v_mov_b32_e32 v10, 0
	global_load_dwordx2 v[7:8], v10, s[16:17]
	s_mov_b64 s[14:15], exec
	v_mbcnt_lo_u32_b32 v3, s14, 0
	v_add_f32_e32 v9, -1.0, v5
	v_mbcnt_hi_u32_b32 v11, s15, v3
	v_cmp_eq_u32_e32 vcc, 0, v11
	s_waitcnt vmcnt(0) expcnt(0) lgkmcnt(0)
	v_mul_f32_e64 v3, v8, -v6
	v_mul_f32_e32 v4, v9, v8
	s_and_saveexec_b64 s[16:17], vcc
	s_cbranch_execz .LBB29_36
; %bb.35:
	s_lshl_b64 s[18:19], s[10:11], 2
	s_add_u32 s18, s8, s18
	s_addc_u32 s19, s9, s19
	s_bcnt1_i32_b64 s14, s[14:15]
	s_and_b32 s14, s14, 1
	v_mov_b32_e32 v8, s14
	global_atomic_xor v10, v8, s[18:19]
.LBB29_36:
	s_or_b64 exec, exec, s[16:17]
	v_fmac_f32_e32 v3, v9, v7
	v_fmac_f32_e32 v4, v6, v7
.LBB29_37:
	s_or_b64 exec, exec, s[2:3]
	s_mul_i32 s2, s35, 0xc00
	s_mul_hi_u32 s3, s34, 0xc00
	s_add_i32 s14, s3, s2
	s_load_dwordx2 s[2:3], s[42:43], 0x8
	s_sub_u32 s16, s40, s44
	s_mul_i32 s15, s34, 0xc00
	s_subb_u32 s17, s41, 0
	s_add_u32 s16, s16, s15
	s_addc_u32 s17, s17, s14
	s_waitcnt lgkmcnt(0)
	s_sub_u32 s2, s2, s44
	v_mov_b32_e32 v8, s17
	v_add_co_u32_e32 v7, vcc, s16, v0
	s_subb_u32 s3, s3, 0
	v_addc_co_u32_e32 v8, vcc, 0, v8, vcc
	v_cmp_gt_i64_e32 vcc, s[2:3], v[7:8]
	s_and_saveexec_b64 s[14:15], vcc
	s_cbranch_execz .LBB29_41
; %bb.38:
	s_add_u32 s16, s16, 0xc00
	v_mov_b32_e32 v10, s3
	s_addc_u32 s17, s17, 0
	v_mov_b32_e32 v9, s2
	v_cmp_lt_i64_e32 vcc, s[16:17], v[9:10]
	v_lshlrev_b64 v[11:12], 3, v[7:8]
	s_and_b64 s[18:19], vcc, exec
	v_mov_b32_e32 v9, s29
	v_add_co_u32_e32 v10, vcc, s28, v11
	v_addc_co_u32_e32 v14, vcc, v9, v12, vcc
	v_add_co_u32_e32 v9, vcc, 4, v10
	v_addc_co_u32_e32 v10, vcc, 0, v14, vcc
	v_mov_b32_e32 v14, s27
	v_add_co_u32_e32 v11, vcc, s26, v11
	s_cselect_b32 s17, s17, s3
	s_cselect_b32 s16, s16, s2
	v_addc_co_u32_e32 v12, vcc, v14, v12, vcc
	s_mov_b64 s[18:19], 0
	v_mov_b32_e32 v14, s31
	s_movk_i32 s20, 0x100
.LBB29_39:                              ; =>This Inner Loop Header: Depth=1
	global_load_dwordx2 v[15:16], v[11:12], off
	global_load_dwordx2 v[17:18], v[9:10], off offset:-4
	s_waitcnt vmcnt(1)
	v_subrev_co_u32_e32 v15, vcc, s44, v15
	v_subbrev_co_u32_e32 v16, vcc, 0, v16, vcc
	v_lshlrev_b64 v[15:16], 3, v[15:16]
	s_waitcnt vmcnt(0)
	v_cndmask_b32_e64 v18, v18, -v18, s[46:47]
	v_add_co_u32_e32 v15, vcc, s30, v15
	v_addc_co_u32_e32 v16, vcc, v14, v16, vcc
	global_load_dwordx2 v[15:16], v[15:16], off
	v_add_co_u32_e32 v7, vcc, s20, v7
	v_addc_co_u32_e32 v8, vcc, 0, v8, vcc
	v_add_co_u32_e32 v9, vcc, 0x800, v9
	v_mul_f32_e64 v19, v18, -v2
	v_mul_f32_e32 v18, v1, v18
	v_addc_co_u32_e32 v10, vcc, 0, v10, vcc
	v_cmp_le_i64_e64 s[2:3], s[16:17], v[7:8]
	v_fmac_f32_e32 v19, v1, v17
	v_fmac_f32_e32 v18, v2, v17
	v_add_co_u32_e32 v11, vcc, 0x800, v11
	v_addc_co_u32_e32 v12, vcc, 0, v12, vcc
	s_or_b64 s[18:19], s[2:3], s[18:19]
	s_waitcnt vmcnt(0)
	v_fmac_f32_e32 v3, v19, v15
	v_fmac_f32_e32 v4, v18, v15
	v_fma_f32 v3, -v18, v16, v3
	v_fmac_f32_e32 v4, v19, v16
	s_andn2_b64 exec, exec, s[18:19]
	s_cbranch_execnz .LBB29_39
; %bb.40:
	s_or_b64 exec, exec, s[18:19]
.LBB29_41:
	s_or_b64 exec, exec, s[14:15]
	s_movk_i32 s2, 0x80
	v_lshlrev_b32_e32 v7, 3, v0
	v_cmp_gt_u32_e32 vcc, s2, v0
	ds_write_b64 v7, v[3:4]
	s_waitcnt vmcnt(0) lgkmcnt(0)
	s_barrier
	s_and_saveexec_b64 s[2:3], vcc
	s_cbranch_execz .LBB29_43
; %bb.42:
	ds_read2st64_b64 v[8:11], v7 offset1:2
	s_waitcnt lgkmcnt(0)
	v_add_f32_e32 v3, v10, v8
	v_add_f32_e32 v4, v11, v9
	ds_write_b64 v7, v[3:4]
.LBB29_43:
	s_or_b64 exec, exec, s[2:3]
	v_cmp_gt_u32_e32 vcc, 64, v0
	s_waitcnt lgkmcnt(0)
	s_barrier
	s_and_saveexec_b64 s[2:3], vcc
	s_cbranch_execz .LBB29_45
; %bb.44:
	ds_read2st64_b64 v[8:11], v7 offset1:1
	s_waitcnt lgkmcnt(0)
	v_add_f32_e32 v3, v10, v8
	v_add_f32_e32 v4, v11, v9
	ds_write_b64 v7, v[3:4]
.LBB29_45:
	s_or_b64 exec, exec, s[2:3]
	v_cmp_gt_u32_e32 vcc, 32, v0
	s_waitcnt lgkmcnt(0)
	s_barrier
	s_and_saveexec_b64 s[2:3], vcc
	s_cbranch_execz .LBB29_47
; %bb.46:
	ds_read2_b64 v[8:11], v7 offset1:32
	s_waitcnt lgkmcnt(0)
	v_add_f32_e32 v3, v10, v8
	v_add_f32_e32 v4, v11, v9
	ds_write_b64 v7, v[3:4]
.LBB29_47:
	s_or_b64 exec, exec, s[2:3]
	v_cmp_gt_u32_e32 vcc, 16, v0
	s_waitcnt lgkmcnt(0)
	s_barrier
	s_and_saveexec_b64 s[2:3], vcc
	s_cbranch_execz .LBB29_49
; %bb.48:
	ds_read2_b64 v[8:11], v7 offset1:16
	s_waitcnt lgkmcnt(0)
	v_add_f32_e32 v3, v10, v8
	v_add_f32_e32 v4, v11, v9
	ds_write_b64 v7, v[3:4]
.LBB29_49:
	s_or_b64 exec, exec, s[2:3]
	v_cmp_gt_u32_e32 vcc, 8, v0
	s_waitcnt lgkmcnt(0)
	s_barrier
	s_and_saveexec_b64 s[2:3], vcc
	s_cbranch_execz .LBB29_51
; %bb.50:
	ds_read2_b64 v[8:11], v7 offset1:8
	s_waitcnt lgkmcnt(0)
	v_add_f32_e32 v3, v10, v8
	v_add_f32_e32 v4, v11, v9
	ds_write_b64 v7, v[3:4]
.LBB29_51:
	s_or_b64 exec, exec, s[2:3]
	v_cmp_gt_u32_e32 vcc, 4, v0
	s_waitcnt lgkmcnt(0)
	s_barrier
	s_and_saveexec_b64 s[2:3], vcc
	s_cbranch_execz .LBB29_53
; %bb.52:
	ds_read2_b64 v[8:11], v7 offset1:4
	s_waitcnt lgkmcnt(0)
	v_add_f32_e32 v3, v10, v8
	v_add_f32_e32 v4, v11, v9
	ds_write_b64 v7, v[3:4]
.LBB29_53:
	s_or_b64 exec, exec, s[2:3]
	v_cmp_gt_u32_e32 vcc, 2, v0
	s_waitcnt lgkmcnt(0)
	s_barrier
	s_and_saveexec_b64 s[2:3], vcc
	s_cbranch_execz .LBB29_55
; %bb.54:
	ds_read2_b64 v[8:11], v7 offset1:2
	s_waitcnt lgkmcnt(0)
	v_add_f32_e32 v3, v10, v8
	v_add_f32_e32 v4, v11, v9
	ds_write_b64 v7, v[3:4]
.LBB29_55:
	s_or_b64 exec, exec, s[2:3]
	s_waitcnt lgkmcnt(0)
	s_barrier
	s_and_saveexec_b64 s[2:3], s[0:1]
	s_cbranch_execz .LBB29_57
; %bb.56:
	v_mov_b32_e32 v11, 0
	ds_read2_b64 v[7:10], v11 offset1:1
	s_waitcnt lgkmcnt(0)
	v_add_f32_e32 v3, v9, v7
	v_add_f32_e32 v4, v10, v8
	ds_write_b64 v11, v[3:4]
.LBB29_57:
	s_or_b64 exec, exec, s[2:3]
	s_waitcnt lgkmcnt(0)
	s_barrier
	s_and_saveexec_b64 s[2:3], s[0:1]
	s_cbranch_execz .LBB29_70
; %bb.58:
	s_andn2_b64 vcc, exec, s[12:13]
	s_cbranch_vccnz .LBB29_64
; %bb.59:
	s_lshl_b64 s[0:1], s[10:11], 2
	s_add_u32 s0, s8, s0
	s_addc_u32 s1, s9, s1
	v_mov_b32_e32 v3, 0
	s_branch .LBB29_61
.LBB29_60:                              ;   in Loop: Header=BB29_61 Depth=1
	s_or_b64 exec, exec, s[8:9]
	s_waitcnt vmcnt(0)
	v_readfirstlane_b32 s8, v4
	v_cmp_eq_u32_e32 vcc, s8, v13
	s_cbranch_vccz .LBB29_63
.LBB29_61:                              ; =>This Inner Loop Header: Depth=1
	v_mbcnt_lo_u32_b32 v4, exec_lo, 0
	v_mbcnt_hi_u32_b32 v4, exec_hi, v4
	v_cmp_eq_u32_e32 vcc, 0, v4
                                        ; implicit-def: $vgpr4
	s_and_saveexec_b64 s[8:9], vcc
	s_cbranch_execz .LBB29_60
; %bb.62:                               ;   in Loop: Header=BB29_61 Depth=1
	global_load_dword v4, v3, s[0:1] glc
	s_branch .LBB29_60
.LBB29_63:
	v_mov_b32_e32 v3, 0
	global_load_ushort v4, v3, s[6:7]
	s_waitcnt vmcnt(0)
	v_xor_b32_e32 v4, 1, v4
	global_store_short v3, v4, s[6:7]
.LBB29_64:
	v_mov_b32_e32 v9, 0
	ds_read_b64 v[3:4], v9
	s_mov_b64 s[8:9], exec
	v_mbcnt_lo_u32_b32 v7, s8, 0
	s_add_u32 s0, s22, s48
	v_mbcnt_hi_u32_b32 v7, s9, v7
	s_addc_u32 s1, s23, s49
	v_cmp_eq_u32_e32 vcc, 0, v7
	s_and_saveexec_b64 s[6:7], vcc
	s_cbranch_execz .LBB29_67
; %bb.65:
	global_load_dword v8, v9, s[0:1]
	s_bcnt1_i32_b64 s8, s[8:9]
	v_cvt_f32_ubyte0_e32 v7, s8
	s_waitcnt lgkmcnt(0)
	v_mul_f32_e32 v3, v3, v7
	s_mov_b64 s[8:9], 0
.LBB29_66:                              ; =>This Inner Loop Header: Depth=1
	s_waitcnt vmcnt(0)
	v_add_f32_e32 v7, v8, v3
	global_atomic_cmpswap v7, v9, v[7:8], s[0:1] glc
	s_waitcnt vmcnt(0)
	v_cmp_eq_u32_e32 vcc, v7, v8
	s_or_b64 s[8:9], vcc, s[8:9]
	v_mov_b32_e32 v8, v7
	s_andn2_b64 exec, exec, s[8:9]
	s_cbranch_execnz .LBB29_66
.LBB29_67:
	s_or_b64 exec, exec, s[6:7]
	s_mov_b64 s[6:7], exec
	s_waitcnt lgkmcnt(0)
	v_mbcnt_lo_u32_b32 v3, s6, 0
	v_mbcnt_hi_u32_b32 v3, s7, v3
	v_cmp_eq_u32_e32 vcc, 0, v3
	s_and_b64 s[8:9], exec, vcc
	s_mov_b64 exec, s[8:9]
	s_cbranch_execz .LBB29_70
; %bb.68:
	v_mov_b32_e32 v3, 0
	global_load_dword v8, v3, s[0:1] offset:4
	s_bcnt1_i32_b64 s6, s[6:7]
	v_cvt_f32_ubyte0_e32 v7, s6
	v_mul_f32_e32 v4, v4, v7
	s_mov_b64 s[6:7], 0
.LBB29_69:                              ; =>This Inner Loop Header: Depth=1
	s_waitcnt vmcnt(0)
	v_add_f32_e32 v7, v8, v4
	global_atomic_cmpswap v7, v3, v[7:8], s[0:1] offset:4 glc
	s_waitcnt vmcnt(0)
	v_cmp_eq_u32_e32 vcc, v7, v8
	s_or_b64 s[6:7], vcc, s[6:7]
	v_mov_b32_e32 v8, v7
	s_andn2_b64 exec, exec, s[6:7]
	s_cbranch_execnz .LBB29_69
.LBB29_70:
	s_or_b64 exec, exec, s[2:3]
.LBB29_71:
	s_mov_b64 s[2:3], 0
.LBB29_72:
	s_andn2_b64 vcc, exec, s[2:3]
	s_cbranch_vccnz .LBB29_116
; %bb.73:
	s_load_dwordx2 s[0:1], s[4:5], 0x8
	v_subrev_co_u32_e32 v3, vcc, s44, v0
	v_subb_co_u32_e64 v4, s[2:3], 0, 0, vcc
	s_waitcnt lgkmcnt(0)
	v_mov_b32_e32 v7, s41
	v_add_co_u32_e32 v3, vcc, s40, v3
	v_addc_co_u32_e32 v4, vcc, v7, v4, vcc
	v_add_co_u32_e32 v7, vcc, 0x300, v3
	v_addc_co_u32_e32 v8, vcc, 0, v4, vcc
	v_cmp_le_i64_e32 vcc, s[0:1], v[7:8]
	v_lshlrev_b32_e32 v15, 3, v0
	s_and_saveexec_b64 s[0:1], vcc
	s_xor_b64 s[2:3], exec, s[0:1]
	s_cbranch_execz .LBB29_78
; %bb.74:
	s_lshl_b64 s[0:1], s[38:39], 3
	s_add_u32 s0, s24, s0
	s_addc_u32 s1, s25, s1
	s_load_dwordx2 s[0:1], s[0:1], 0x0
	s_waitcnt lgkmcnt(0)
	s_sub_u32 s4, s0, s44
	s_subb_u32 s5, s1, 0
	v_cmp_gt_i64_e32 vcc, s[4:5], v[3:4]
	s_and_saveexec_b64 s[6:7], vcc
	s_cbranch_execz .LBB29_77
; %bb.75:
	v_lshlrev_b64 v[9:10], 3, v[3:4]
	v_mov_b32_e32 v8, s27
	v_add_co_u32_e32 v7, vcc, s26, v9
	v_addc_co_u32_e32 v8, vcc, v8, v10, vcc
	v_mov_b32_e32 v11, s29
	v_add_co_u32_e32 v9, vcc, s28, v9
	v_addc_co_u32_e32 v10, vcc, v11, v10, vcc
	v_add_co_u32_e32 v9, vcc, 4, v9
	v_addc_co_u32_e32 v10, vcc, 0, v10, vcc
	s_mov_b64 s[8:9], 0
	v_mov_b32_e32 v11, s31
	s_movk_i32 s10, 0x100
	v_mov_b32_e32 v12, v15
.LBB29_76:                              ; =>This Inner Loop Header: Depth=1
	global_load_dwordx2 v[13:14], v[7:8], off
	global_load_dwordx2 v[16:17], v[9:10], off offset:-4
	s_waitcnt vmcnt(1)
	v_subrev_co_u32_e32 v13, vcc, s44, v13
	v_subbrev_co_u32_e32 v14, vcc, 0, v14, vcc
	v_lshlrev_b64 v[13:14], 3, v[13:14]
	s_waitcnt vmcnt(0)
	v_cndmask_b32_e64 v17, v17, -v17, s[46:47]
	v_add_co_u32_e32 v13, vcc, s30, v13
	v_addc_co_u32_e32 v14, vcc, v11, v14, vcc
	global_load_dwordx2 v[13:14], v[13:14], off
	v_add_co_u32_e32 v3, vcc, s10, v3
	v_addc_co_u32_e32 v4, vcc, 0, v4, vcc
	v_mul_f32_e64 v18, v17, -v2
	v_mul_f32_e32 v19, v1, v17
	v_add_co_u32_e32 v7, vcc, 0x800, v7
	v_fmac_f32_e32 v18, v1, v16
	v_fmac_f32_e32 v19, v2, v16
	v_addc_co_u32_e32 v8, vcc, 0, v8, vcc
	v_cmp_le_i64_e64 s[0:1], s[4:5], v[3:4]
	v_add_co_u32_e32 v9, vcc, 0x800, v9
	v_addc_co_u32_e32 v10, vcc, 0, v10, vcc
	s_or_b64 s[8:9], s[0:1], s[8:9]
	s_waitcnt vmcnt(0)
	v_mul_f32_e64 v16, v14, -v19
	v_mul_f32_e32 v17, v14, v18
	v_fmac_f32_e32 v16, v18, v13
	v_fmac_f32_e32 v17, v19, v13
	ds_write_b64 v12, v[16:17]
	v_add_u32_e32 v12, 0x800, v12
	s_andn2_b64 exec, exec, s[8:9]
	s_cbranch_execnz .LBB29_76
.LBB29_77:
	s_or_b64 exec, exec, s[6:7]
                                        ; implicit-def: $vgpr3_vgpr4
                                        ; implicit-def: $vgpr1_vgpr2
.LBB29_78:
	s_andn2_saveexec_b64 s[0:1], s[2:3]
	s_cbranch_execz .LBB29_80
; %bb.79:
	v_lshlrev_b64 v[3:4], 3, v[3:4]
	v_mov_b32_e32 v8, s27
	v_add_co_u32_e32 v7, vcc, s26, v3
	v_addc_co_u32_e32 v8, vcc, v8, v4, vcc
	global_load_dwordx2 v[9:10], v[7:8], off
	global_load_dwordx2 v[11:12], v[7:8], off offset:2048
	s_movk_i32 s2, 0x1000
	v_add_co_u32_e32 v7, vcc, s2, v7
	v_addc_co_u32_e32 v8, vcc, 0, v8, vcc
	global_load_dwordx2 v[13:14], v[7:8], off
	global_load_dwordx2 v[16:17], v[7:8], off offset:2048
	v_mov_b32_e32 v7, s29
	v_add_co_u32_e32 v3, vcc, s28, v3
	v_addc_co_u32_e32 v4, vcc, v7, v4, vcc
	global_load_dwordx2 v[7:8], v[3:4], off
	global_load_dwordx2 v[18:19], v[3:4], off offset:2048
	v_add_co_u32_e32 v3, vcc, s2, v3
	v_addc_co_u32_e32 v4, vcc, 0, v4, vcc
	global_load_dwordx2 v[20:21], v[3:4], off
	global_load_dwordx2 v[22:23], v[3:4], off offset:2048
	v_mov_b32_e32 v24, s31
	v_mov_b32_e32 v25, s31
	;; [unrolled: 1-line block ×4, first 2 shown]
	s_waitcnt vmcnt(7)
	v_subrev_co_u32_e32 v3, vcc, s44, v9
	v_subbrev_co_u32_e32 v4, vcc, 0, v10, vcc
	s_waitcnt vmcnt(6)
	v_subrev_co_u32_e32 v9, vcc, s44, v11
	v_subbrev_co_u32_e32 v10, vcc, 0, v12, vcc
	;; [unrolled: 3-line block ×3, first 2 shown]
	v_lshlrev_b64 v[3:4], 3, v[3:4]
	s_waitcnt vmcnt(4)
	v_subrev_co_u32_e32 v13, vcc, s44, v16
	v_subbrev_co_u32_e32 v14, vcc, 0, v17, vcc
	v_lshlrev_b64 v[9:10], 3, v[9:10]
	v_add_co_u32_e32 v3, vcc, s30, v3
	v_addc_co_u32_e32 v4, vcc, v24, v4, vcc
	v_lshlrev_b64 v[11:12], 3, v[11:12]
	v_add_co_u32_e32 v9, vcc, s30, v9
	v_addc_co_u32_e32 v10, vcc, v25, v10, vcc
	v_lshlrev_b64 v[13:14], 3, v[13:14]
	global_load_dwordx2 v[16:17], v[3:4], off
	global_load_dwordx2 v[24:25], v[9:10], off
	v_add_co_u32_e32 v3, vcc, s30, v11
	v_addc_co_u32_e32 v4, vcc, v26, v12, vcc
	v_add_co_u32_e32 v9, vcc, s30, v13
	v_addc_co_u32_e32 v10, vcc, v27, v14, vcc
	global_load_dwordx2 v[3:4], v[3:4], off
	s_waitcnt vmcnt(6)
	v_cndmask_b32_e64 v8, v8, -v8, s[46:47]
	global_load_dwordx2 v[9:10], v[9:10], off
	s_waitcnt vmcnt(6)
	v_cndmask_b32_e64 v11, v19, -v19, s[46:47]
	v_mul_f32_e64 v12, v8, -v2
	v_mul_f32_e32 v13, v1, v8
	v_mul_f32_e64 v14, v11, -v2
	v_mul_f32_e32 v11, v1, v11
	s_waitcnt vmcnt(5)
	v_cndmask_b32_e64 v8, v21, -v21, s[46:47]
	s_waitcnt vmcnt(4)
	v_cndmask_b32_e64 v19, v23, -v23, s[46:47]
	v_fmac_f32_e32 v12, v1, v7
	v_fmac_f32_e32 v13, v2, v7
	;; [unrolled: 1-line block ×4, first 2 shown]
	v_mul_f32_e64 v18, v8, -v2
	v_mul_f32_e32 v21, v1, v8
	v_mul_f32_e64 v23, v19, -v2
	v_mul_f32_e32 v19, v1, v19
	v_fmac_f32_e32 v18, v1, v20
	v_fmac_f32_e32 v21, v2, v20
	;; [unrolled: 1-line block ×4, first 2 shown]
	s_waitcnt vmcnt(3)
	v_mul_f32_e64 v1, v17, -v13
	v_mul_f32_e32 v2, v17, v12
	s_waitcnt vmcnt(2)
	v_mul_f32_e64 v7, v25, -v11
	v_mul_f32_e32 v8, v25, v14
	v_fmac_f32_e32 v1, v12, v16
	v_fmac_f32_e32 v2, v13, v16
	;; [unrolled: 1-line block ×4, first 2 shown]
	ds_write2st64_b64 v15, v[1:2], v[7:8] offset1:4
	s_waitcnt vmcnt(1)
	v_mul_f32_e64 v11, v4, -v21
	v_mul_f32_e32 v12, v4, v18
	s_waitcnt vmcnt(0)
	v_mul_f32_e64 v13, v10, -v19
	v_mul_f32_e32 v14, v10, v23
	v_fmac_f32_e32 v11, v18, v3
	v_fmac_f32_e32 v12, v21, v3
	;; [unrolled: 1-line block ×4, first 2 shown]
	ds_write2st64_b64 v15, v[11:12], v[13:14] offset0:8 offset1:12
.LBB29_80:
	s_or_b64 exec, exec, s[0:1]
	v_cmp_lt_i64_e64 s[2:3], s[34:35], 2
	s_mov_b64 s[0:1], -1
	s_and_b64 vcc, exec, s[2:3]
	s_waitcnt vmcnt(0) lgkmcnt(0)
	s_barrier
	s_cbranch_vccz .LBB29_91
; %bb.81:
	v_mov_b32_e32 v1, s37
	v_add_co_u32_e32 v7, vcc, s36, v0
	v_addc_co_u32_e32 v8, vcc, 0, v1, vcc
	v_cmp_gt_i64_e32 vcc, s[38:39], v[7:8]
	s_and_saveexec_b64 s[2:3], vcc
	s_cbranch_execz .LBB29_90
; %bb.82:
	v_cmp_neq_f32_e32 vcc, 0, v5
	v_cmp_neq_f32_e64 s[0:1], 0, v6
	s_or_b64 s[4:5], vcc, s[0:1]
	s_lshl_b32 s0, s40, 3
	s_sub_i32 s10, 0, s0
	s_mov_b64 s[6:7], 0
	v_mov_b32_e32 v16, s25
	v_mov_b32_e32 v17, s23
	s_branch .LBB29_84
.LBB29_83:                              ;   in Loop: Header=BB29_84 Depth=1
	s_or_b64 exec, exec, s[0:1]
	v_add_co_u32_e32 v7, vcc, 0x100, v7
	v_addc_co_u32_e32 v8, vcc, 0, v8, vcc
	v_cmp_le_i64_e32 vcc, s[38:39], v[7:8]
	v_add_co_u32_e64 v1, s[0:1], s22, v9
	v_addc_co_u32_e64 v2, s[0:1], v17, v10, s[0:1]
	s_or_b64 s[6:7], vcc, s[6:7]
	global_store_dwordx2 v[1:2], v[11:12], off
	s_andn2_b64 exec, exec, s[6:7]
	s_cbranch_execz .LBB29_90
.LBB29_84:                              ; =>This Loop Header: Depth=1
                                        ;     Child Loop BB29_86 Depth 2
	v_lshlrev_b64 v[9:10], 3, v[7:8]
	v_mov_b32_e32 v12, 0
	v_add_co_u32_e32 v1, vcc, s24, v9
	v_addc_co_u32_e32 v2, vcc, v16, v10, vcc
	global_load_dwordx4 v[1:4], v[1:2], off
	v_mov_b32_e32 v11, 0
	s_waitcnt vmcnt(0)
	v_cmp_lt_i64_e32 vcc, v[1:2], v[3:4]
	s_and_saveexec_b64 s[0:1], vcc
	s_cbranch_execz .LBB29_88
; %bb.85:                               ;   in Loop: Header=BB29_84 Depth=1
	v_mov_b32_e32 v11, s41
	v_subrev_co_u32_e32 v3, vcc, s40, v3
	v_subb_co_u32_e32 v4, vcc, v4, v11, vcc
	v_subrev_co_u32_e32 v13, vcc, s40, v1
	v_mov_b32_e32 v12, 0
	v_subb_co_u32_e32 v14, vcc, v2, v11, vcc
	v_lshl_add_u32 v1, v1, 3, s10
	s_mov_b64 s[8:9], 0
	v_mov_b32_e32 v11, v12
.LBB29_86:                              ;   Parent Loop BB29_84 Depth=1
                                        ; =>  This Inner Loop Header: Depth=2
	ds_read_b64 v[18:19], v1
	v_add_co_u32_e32 v13, vcc, 1, v13
	v_addc_co_u32_e32 v14, vcc, 0, v14, vcc
	v_cmp_ge_i64_e32 vcc, v[13:14], v[3:4]
	v_add_u32_e32 v1, 8, v1
	s_or_b64 s[8:9], vcc, s[8:9]
	s_waitcnt lgkmcnt(0)
	v_add_f32_e32 v11, v11, v18
	v_add_f32_e32 v12, v12, v19
	s_andn2_b64 exec, exec, s[8:9]
	s_cbranch_execnz .LBB29_86
; %bb.87:                               ;   in Loop: Header=BB29_84 Depth=1
	s_or_b64 exec, exec, s[8:9]
.LBB29_88:                              ;   in Loop: Header=BB29_84 Depth=1
	s_or_b64 exec, exec, s[0:1]
	s_and_saveexec_b64 s[0:1], s[4:5]
	s_cbranch_execz .LBB29_83
; %bb.89:                               ;   in Loop: Header=BB29_84 Depth=1
	v_mov_b32_e32 v2, s23
	v_add_co_u32_e32 v1, vcc, s22, v9
	v_addc_co_u32_e32 v2, vcc, v2, v10, vcc
	global_load_dwordx2 v[1:2], v[1:2], off
	s_waitcnt vmcnt(0)
	v_fmac_f32_e32 v11, v5, v1
	v_fmac_f32_e32 v12, v6, v1
	v_fma_f32 v11, -v6, v2, v11
	v_fmac_f32_e32 v12, v5, v2
	s_branch .LBB29_83
.LBB29_90:
	s_or_b64 exec, exec, s[2:3]
	s_mov_b64 s[0:1], 0
.LBB29_91:
	s_andn2_b64 vcc, exec, s[0:1]
	s_cbranch_vccnz .LBB29_116
; %bb.92:
	s_flbit_i32_b32 s0, s34
	s_min_u32 s0, s0, 32
	s_sub_i32 s0, 31, s0
	v_lshrrev_b32_e32 v9, s0, v0
	v_mov_b32_e32 v2, s37
	v_add_co_u32_e32 v1, vcc, s36, v9
	v_addc_co_u32_e32 v2, vcc, 0, v2, vcc
	s_add_i32 s0, s34, -1
	v_mov_b32_e32 v4, 0
	v_and_b32_e32 v3, s0, v0
	v_cmp_le_i64_e64 s[0:1], s[38:39], v[1:2]
	v_cmp_gt_i64_e32 vcc, s[38:39], v[1:2]
	v_mov_b32_e32 v7, v4
	v_mov_b32_e32 v8, v4
	s_and_saveexec_b64 s[2:3], vcc
	s_cbranch_execz .LBB29_98
; %bb.93:
	v_lshlrev_b32_e32 v0, 3, v9
	global_load_dwordx4 v[7:10], v0, s[42:43]
	v_mov_b32_e32 v11, s41
	v_subrev_co_u32_e32 v12, vcc, s40, v3
	v_subb_co_u32_e32 v13, vcc, 0, v11, vcc
	v_mov_b32_e32 v0, s41
	s_waitcnt vmcnt(0)
	v_subrev_co_u32_e32 v9, vcc, s40, v9
	v_subb_co_u32_e32 v10, vcc, v10, v0, vcc
	v_add_co_u32_e32 v11, vcc, v7, v12
	v_addc_co_u32_e32 v12, vcc, v8, v13, vcc
	v_cmp_lt_i64_e32 vcc, v[11:12], v[9:10]
	v_mov_b32_e32 v8, 0
	v_mov_b32_e32 v7, 0
	s_and_saveexec_b64 s[4:5], vcc
	s_cbranch_execz .LBB29_97
; %bb.94:
	v_mov_b32_e32 v8, 0
	v_lshlrev_b32_e32 v0, 3, v11
	s_lshl_b32 s8, s34, 3
	s_mov_b64 s[6:7], 0
	v_mov_b32_e32 v13, s35
	v_mov_b32_e32 v7, v8
.LBB29_95:                              ; =>This Inner Loop Header: Depth=1
	ds_read_b64 v[16:17], v0
	v_add_co_u32_e32 v11, vcc, s34, v11
	v_addc_co_u32_e32 v12, vcc, v12, v13, vcc
	v_cmp_ge_i64_e32 vcc, v[11:12], v[9:10]
	v_add_u32_e32 v0, s8, v0
	s_or_b64 s[6:7], vcc, s[6:7]
	s_waitcnt lgkmcnt(0)
	v_add_f32_e32 v7, v7, v16
	v_add_f32_e32 v8, v8, v17
	s_andn2_b64 exec, exec, s[6:7]
	s_cbranch_execnz .LBB29_95
; %bb.96:
	s_or_b64 exec, exec, s[6:7]
.LBB29_97:
	s_or_b64 exec, exec, s[4:5]
.LBB29_98:
	s_or_b64 exec, exec, s[2:3]
	v_mov_b32_e32 v9, 0x81
	v_mov_b32_e32 v10, 0
	v_cmp_lt_u64_e32 vcc, s[34:35], v[9:10]
	s_and_b64 vcc, exec, vcc
	s_waitcnt vmcnt(0)
	s_barrier
	ds_write_b64 v15, v[7:8]
	s_waitcnt lgkmcnt(0)
	s_barrier
	s_cbranch_vccnz .LBB29_100
; %bb.99:
	ds_read_b64 v[9:10], v15 offset:1024
	s_waitcnt lgkmcnt(0)
	s_barrier
	v_add_f32_e32 v7, v7, v9
	v_add_f32_e32 v8, v8, v10
	ds_write_b64 v15, v[7:8]
.LBB29_100:
	v_mov_b32_e32 v9, 0x41
	v_mov_b32_e32 v10, 0
	v_cmp_lt_u64_e32 vcc, s[34:35], v[9:10]
	s_waitcnt lgkmcnt(0)
	s_barrier
	s_cbranch_vccnz .LBB29_102
; %bb.101:
	ds_read_b64 v[9:10], v15 offset:512
	s_waitcnt lgkmcnt(0)
	s_barrier
	v_add_f32_e32 v7, v7, v9
	v_add_f32_e32 v8, v8, v10
	ds_write_b64 v15, v[7:8]
.LBB29_102:
	v_cmp_lt_u64_e64 s[2:3], s[34:35], 33
	s_waitcnt lgkmcnt(0)
	s_and_b64 vcc, exec, s[2:3]
	s_barrier
	s_cbranch_vccnz .LBB29_104
; %bb.103:
	ds_read_b64 v[9:10], v15 offset:256
	s_waitcnt lgkmcnt(0)
	s_barrier
	v_add_f32_e32 v7, v7, v9
	v_add_f32_e32 v8, v8, v10
	ds_write_b64 v15, v[7:8]
.LBB29_104:
	v_cmp_lt_u64_e64 s[2:3], s[34:35], 17
	s_waitcnt lgkmcnt(0)
	s_and_b64 vcc, exec, s[2:3]
	;; [unrolled: 13-line block ×4, first 2 shown]
	s_barrier
	s_cbranch_vccnz .LBB29_110
; %bb.109:
	ds_read_b64 v[9:10], v15 offset:32
	s_waitcnt lgkmcnt(0)
	s_barrier
	v_add_f32_e32 v7, v7, v9
	v_add_f32_e32 v8, v8, v10
	ds_write_b64 v15, v[7:8]
.LBB29_110:
	s_cmp_eq_u64 s[34:35], 2
	s_waitcnt lgkmcnt(0)
	s_barrier
	s_cbranch_scc1 .LBB29_112
; %bb.111:
	ds_read_b64 v[9:10], v15 offset:16
	s_waitcnt lgkmcnt(0)
	s_barrier
	v_add_f32_e32 v7, v7, v9
	v_add_f32_e32 v8, v8, v10
	ds_write_b64 v15, v[7:8]
.LBB29_112:
	s_waitcnt lgkmcnt(0)
	s_barrier
	ds_read_b64 v[9:10], v15 offset:8
	v_cmp_eq_u64_e32 vcc, 0, v[3:4]
	s_xor_b64 s[0:1], s[0:1], -1
	s_and_b64 s[0:1], vcc, s[0:1]
	s_waitcnt lgkmcnt(0)
	v_add_f32_e32 v7, v7, v9
	v_add_f32_e32 v8, v8, v10
	s_barrier
	ds_write_b64 v15, v[7:8]
	s_and_b64 exec, exec, s[0:1]
	s_cbranch_execz .LBB29_116
; %bb.113:
	v_cmp_neq_f32_e32 vcc, 0, v5
	v_cmp_neq_f32_e64 s[0:1], 0, v6
	v_lshlrev_b64 v[0:1], 3, v[1:2]
	s_or_b64 s[2:3], vcc, s[0:1]
	s_and_saveexec_b64 s[0:1], s[2:3]
	s_cbranch_execz .LBB29_115
; %bb.114:
	v_mov_b32_e32 v3, s23
	v_add_co_u32_e32 v2, vcc, s22, v0
	v_addc_co_u32_e32 v3, vcc, v3, v1, vcc
	global_load_dwordx2 v[2:3], v[2:3], off
	s_waitcnt vmcnt(0)
	v_fmac_f32_e32 v7, v5, v2
	v_fmac_f32_e32 v8, v6, v2
	v_fma_f32 v7, -v6, v3, v7
	v_fmac_f32_e32 v8, v5, v3
.LBB29_115:
	s_or_b64 exec, exec, s[0:1]
	v_mov_b32_e32 v2, s23
	v_add_co_u32_e32 v0, vcc, s22, v0
	v_addc_co_u32_e32 v1, vcc, v2, v1, vcc
	global_store_dwordx2 v[0:1], v[7:8], off
.LBB29_116:
	s_endpgm
	.section	.rodata,"a",@progbits
	.p2align	6, 0x0
	.amdhsa_kernel _ZN9rocsparseL22csrmvn_adaptive_kernelIll21rocsparse_complex_numIfES2_S2_S2_EEvbT_PKS3_PjPKT0_NS_24const_host_device_scalarIT4_EES5_S9_PKT1_PKT2_SC_PT3_21rocsparse_index_base_b
		.amdhsa_group_segment_fixed_size 8192
		.amdhsa_private_segment_fixed_size 0
		.amdhsa_kernarg_size 104
		.amdhsa_user_sgpr_count 6
		.amdhsa_user_sgpr_private_segment_buffer 1
		.amdhsa_user_sgpr_dispatch_ptr 0
		.amdhsa_user_sgpr_queue_ptr 0
		.amdhsa_user_sgpr_kernarg_segment_ptr 1
		.amdhsa_user_sgpr_dispatch_id 0
		.amdhsa_user_sgpr_flat_scratch_init 0
		.amdhsa_user_sgpr_private_segment_size 0
		.amdhsa_uses_dynamic_stack 0
		.amdhsa_system_sgpr_private_segment_wavefront_offset 0
		.amdhsa_system_sgpr_workgroup_id_x 1
		.amdhsa_system_sgpr_workgroup_id_y 0
		.amdhsa_system_sgpr_workgroup_id_z 0
		.amdhsa_system_sgpr_workgroup_info 0
		.amdhsa_system_vgpr_workitem_id 0
		.amdhsa_next_free_vgpr 29
		.amdhsa_next_free_sgpr 68
		.amdhsa_reserve_vcc 1
		.amdhsa_reserve_flat_scratch 0
		.amdhsa_float_round_mode_32 0
		.amdhsa_float_round_mode_16_64 0
		.amdhsa_float_denorm_mode_32 3
		.amdhsa_float_denorm_mode_16_64 3
		.amdhsa_dx10_clamp 1
		.amdhsa_ieee_mode 1
		.amdhsa_fp16_overflow 0
		.amdhsa_exception_fp_ieee_invalid_op 0
		.amdhsa_exception_fp_denorm_src 0
		.amdhsa_exception_fp_ieee_div_zero 0
		.amdhsa_exception_fp_ieee_overflow 0
		.amdhsa_exception_fp_ieee_underflow 0
		.amdhsa_exception_fp_ieee_inexact 0
		.amdhsa_exception_int_div_zero 0
	.end_amdhsa_kernel
	.section	.text._ZN9rocsparseL22csrmvn_adaptive_kernelIll21rocsparse_complex_numIfES2_S2_S2_EEvbT_PKS3_PjPKT0_NS_24const_host_device_scalarIT4_EES5_S9_PKT1_PKT2_SC_PT3_21rocsparse_index_base_b,"axG",@progbits,_ZN9rocsparseL22csrmvn_adaptive_kernelIll21rocsparse_complex_numIfES2_S2_S2_EEvbT_PKS3_PjPKT0_NS_24const_host_device_scalarIT4_EES5_S9_PKT1_PKT2_SC_PT3_21rocsparse_index_base_b,comdat
.Lfunc_end29:
	.size	_ZN9rocsparseL22csrmvn_adaptive_kernelIll21rocsparse_complex_numIfES2_S2_S2_EEvbT_PKS3_PjPKT0_NS_24const_host_device_scalarIT4_EES5_S9_PKT1_PKT2_SC_PT3_21rocsparse_index_base_b, .Lfunc_end29-_ZN9rocsparseL22csrmvn_adaptive_kernelIll21rocsparse_complex_numIfES2_S2_S2_EEvbT_PKS3_PjPKT0_NS_24const_host_device_scalarIT4_EES5_S9_PKT1_PKT2_SC_PT3_21rocsparse_index_base_b
                                        ; -- End function
	.set _ZN9rocsparseL22csrmvn_adaptive_kernelIll21rocsparse_complex_numIfES2_S2_S2_EEvbT_PKS3_PjPKT0_NS_24const_host_device_scalarIT4_EES5_S9_PKT1_PKT2_SC_PT3_21rocsparse_index_base_b.num_vgpr, 28
	.set _ZN9rocsparseL22csrmvn_adaptive_kernelIll21rocsparse_complex_numIfES2_S2_S2_EEvbT_PKS3_PjPKT0_NS_24const_host_device_scalarIT4_EES5_S9_PKT1_PKT2_SC_PT3_21rocsparse_index_base_b.num_agpr, 0
	.set _ZN9rocsparseL22csrmvn_adaptive_kernelIll21rocsparse_complex_numIfES2_S2_S2_EEvbT_PKS3_PjPKT0_NS_24const_host_device_scalarIT4_EES5_S9_PKT1_PKT2_SC_PT3_21rocsparse_index_base_b.numbered_sgpr, 68
	.set _ZN9rocsparseL22csrmvn_adaptive_kernelIll21rocsparse_complex_numIfES2_S2_S2_EEvbT_PKS3_PjPKT0_NS_24const_host_device_scalarIT4_EES5_S9_PKT1_PKT2_SC_PT3_21rocsparse_index_base_b.num_named_barrier, 0
	.set _ZN9rocsparseL22csrmvn_adaptive_kernelIll21rocsparse_complex_numIfES2_S2_S2_EEvbT_PKS3_PjPKT0_NS_24const_host_device_scalarIT4_EES5_S9_PKT1_PKT2_SC_PT3_21rocsparse_index_base_b.private_seg_size, 0
	.set _ZN9rocsparseL22csrmvn_adaptive_kernelIll21rocsparse_complex_numIfES2_S2_S2_EEvbT_PKS3_PjPKT0_NS_24const_host_device_scalarIT4_EES5_S9_PKT1_PKT2_SC_PT3_21rocsparse_index_base_b.uses_vcc, 1
	.set _ZN9rocsparseL22csrmvn_adaptive_kernelIll21rocsparse_complex_numIfES2_S2_S2_EEvbT_PKS3_PjPKT0_NS_24const_host_device_scalarIT4_EES5_S9_PKT1_PKT2_SC_PT3_21rocsparse_index_base_b.uses_flat_scratch, 0
	.set _ZN9rocsparseL22csrmvn_adaptive_kernelIll21rocsparse_complex_numIfES2_S2_S2_EEvbT_PKS3_PjPKT0_NS_24const_host_device_scalarIT4_EES5_S9_PKT1_PKT2_SC_PT3_21rocsparse_index_base_b.has_dyn_sized_stack, 0
	.set _ZN9rocsparseL22csrmvn_adaptive_kernelIll21rocsparse_complex_numIfES2_S2_S2_EEvbT_PKS3_PjPKT0_NS_24const_host_device_scalarIT4_EES5_S9_PKT1_PKT2_SC_PT3_21rocsparse_index_base_b.has_recursion, 0
	.set _ZN9rocsparseL22csrmvn_adaptive_kernelIll21rocsparse_complex_numIfES2_S2_S2_EEvbT_PKS3_PjPKT0_NS_24const_host_device_scalarIT4_EES5_S9_PKT1_PKT2_SC_PT3_21rocsparse_index_base_b.has_indirect_call, 0
	.section	.AMDGPU.csdata,"",@progbits
; Kernel info:
; codeLenInByte = 4676
; TotalNumSgprs: 72
; NumVgprs: 28
; ScratchSize: 0
; MemoryBound: 0
; FloatMode: 240
; IeeeMode: 1
; LDSByteSize: 8192 bytes/workgroup (compile time only)
; SGPRBlocks: 8
; VGPRBlocks: 7
; NumSGPRsForWavesPerEU: 72
; NumVGPRsForWavesPerEU: 29
; Occupancy: 8
; WaveLimiterHint : 1
; COMPUTE_PGM_RSRC2:SCRATCH_EN: 0
; COMPUTE_PGM_RSRC2:USER_SGPR: 6
; COMPUTE_PGM_RSRC2:TRAP_HANDLER: 0
; COMPUTE_PGM_RSRC2:TGID_X_EN: 1
; COMPUTE_PGM_RSRC2:TGID_Y_EN: 0
; COMPUTE_PGM_RSRC2:TGID_Z_EN: 0
; COMPUTE_PGM_RSRC2:TIDIG_COMP_CNT: 0
	.section	.text._ZN9rocsparseL22partial_scale_y_kernelIl21rocsparse_complex_numIfES2_EEvT_S3_S3_NS_24const_host_device_scalarIT1_EEPT0_b,"axG",@progbits,_ZN9rocsparseL22partial_scale_y_kernelIl21rocsparse_complex_numIfES2_EEvT_S3_S3_NS_24const_host_device_scalarIT1_EEPT0_b,comdat
	.globl	_ZN9rocsparseL22partial_scale_y_kernelIl21rocsparse_complex_numIfES2_EEvT_S3_S3_NS_24const_host_device_scalarIT1_EEPT0_b ; -- Begin function _ZN9rocsparseL22partial_scale_y_kernelIl21rocsparse_complex_numIfES2_EEvT_S3_S3_NS_24const_host_device_scalarIT1_EEPT0_b
	.p2align	8
	.type	_ZN9rocsparseL22partial_scale_y_kernelIl21rocsparse_complex_numIfES2_EEvT_S3_S3_NS_24const_host_device_scalarIT1_EEPT0_b,@function
_ZN9rocsparseL22partial_scale_y_kernelIl21rocsparse_complex_numIfES2_EEvT_S3_S3_NS_24const_host_device_scalarIT1_EEPT0_b: ; @_ZN9rocsparseL22partial_scale_y_kernelIl21rocsparse_complex_numIfES2_EEvT_S3_S3_NS_24const_host_device_scalarIT1_EEPT0_b
; %bb.0:
	s_load_dword s0, s[4:5], 0x28
	s_load_dwordx8 s[8:15], s[4:5], 0x0
	s_add_u32 s1, s4, 24
	s_addc_u32 s2, s5, 0
	s_waitcnt lgkmcnt(0)
	s_bitcmp1_b32 s0, 0
	s_cselect_b32 s0, s2, s15
	s_cselect_b32 s1, s1, s14
	v_mov_b32_e32 v1, s1
	v_mov_b32_e32 v2, s0
	flat_load_dwordx2 v[1:2], v[1:2]
	s_waitcnt vmcnt(0) lgkmcnt(0)
	v_cmp_neq_f32_e32 vcc, 1.0, v1
	v_cmp_neq_f32_e64 s[0:1], 0, v2
	s_or_b64 s[0:1], vcc, s[0:1]
	s_and_saveexec_b64 s[2:3], s[0:1]
	s_cbranch_execz .LBB30_13
; %bb.1:
	s_add_u32 s0, s10, s8
	s_addc_u32 s1, s11, s9
	s_sub_u32 s0, s0, s12
	v_lshl_or_b32 v3, s6, 8, v0
	v_mov_b32_e32 v4, 0
	s_subb_u32 s1, s1, s13
	v_cmp_gt_i64_e32 vcc, s[0:1], v[3:4]
	s_and_b64 exec, exec, vcc
	s_cbranch_execz .LBB30_13
; %bb.2:
	s_load_dwordx2 s[4:5], s[4:5], 0x20
	v_cmp_le_i64_e32 vcc, s[10:11], v[3:4]
	v_cmp_neq_f32_e64 s[0:1], 0, v1
	v_cmp_neq_f32_e64 s[2:3], 0, v2
	s_or_b64 s[0:1], s[0:1], s[2:3]
	s_and_saveexec_b64 s[2:3], vcc
	s_xor_b64 s[2:3], exec, s[2:3]
	s_cbranch_execz .LBB30_8
; %bb.3:
	v_mov_b32_e32 v0, s11
	v_subrev_co_u32_e32 v3, vcc, s10, v3
	v_subb_co_u32_e32 v4, vcc, 0, v0, vcc
	s_lshl_b64 s[6:7], s[12:13], 3
	s_waitcnt lgkmcnt(0)
	s_add_u32 s6, s4, s6
	v_lshlrev_b64 v[3:4], 3, v[3:4]
	s_addc_u32 s7, s5, s7
	v_mov_b32_e32 v0, s7
	v_add_co_u32_e32 v3, vcc, s6, v3
	v_addc_co_u32_e32 v4, vcc, v0, v4, vcc
	s_and_saveexec_b64 s[6:7], s[0:1]
	s_xor_b64 s[6:7], exec, s[6:7]
	s_cbranch_execz .LBB30_5
; %bb.4:
	global_load_dwordx2 v[5:6], v[3:4], off
	s_waitcnt vmcnt(0)
	v_mul_f32_e64 v7, v2, -v6
	v_mul_f32_e32 v8, v2, v5
	v_fmac_f32_e32 v7, v5, v1
	v_fmac_f32_e32 v8, v6, v1
	global_store_dwordx2 v[3:4], v[7:8], off
                                        ; implicit-def: $vgpr3_vgpr4
.LBB30_5:
	s_andn2_saveexec_b64 s[6:7], s[6:7]
	s_cbranch_execz .LBB30_7
; %bb.6:
	v_mov_b32_e32 v0, 0
	v_mov_b32_e32 v1, v0
	global_store_dwordx2 v[3:4], v[0:1], off
.LBB30_7:
	s_or_b64 exec, exec, s[6:7]
                                        ; implicit-def: $vgpr3_vgpr4
                                        ; implicit-def: $vgpr1_vgpr2
.LBB30_8:
	s_andn2_saveexec_b64 s[2:3], s[2:3]
	s_cbranch_execz .LBB30_13
; %bb.9:
	v_lshlrev_b64 v[3:4], 3, v[3:4]
	s_waitcnt lgkmcnt(0)
	v_mov_b32_e32 v0, s5
	v_add_co_u32_e32 v3, vcc, s4, v3
	v_addc_co_u32_e32 v4, vcc, v0, v4, vcc
	s_and_saveexec_b64 s[2:3], s[0:1]
	s_xor_b64 s[0:1], exec, s[2:3]
	s_cbranch_execz .LBB30_11
; %bb.10:
	global_load_dwordx2 v[5:6], v[3:4], off
	s_waitcnt vmcnt(0)
	v_mul_f32_e64 v7, v2, -v6
	v_mul_f32_e32 v8, v2, v5
	v_fmac_f32_e32 v7, v5, v1
	v_fmac_f32_e32 v8, v6, v1
	global_store_dwordx2 v[3:4], v[7:8], off
                                        ; implicit-def: $vgpr3_vgpr4
.LBB30_11:
	s_andn2_saveexec_b64 s[0:1], s[0:1]
	s_cbranch_execz .LBB30_13
; %bb.12:
	v_mov_b32_e32 v0, 0
	v_mov_b32_e32 v1, v0
	global_store_dwordx2 v[3:4], v[0:1], off
.LBB30_13:
	s_endpgm
	.section	.rodata,"a",@progbits
	.p2align	6, 0x0
	.amdhsa_kernel _ZN9rocsparseL22partial_scale_y_kernelIl21rocsparse_complex_numIfES2_EEvT_S3_S3_NS_24const_host_device_scalarIT1_EEPT0_b
		.amdhsa_group_segment_fixed_size 0
		.amdhsa_private_segment_fixed_size 0
		.amdhsa_kernarg_size 44
		.amdhsa_user_sgpr_count 6
		.amdhsa_user_sgpr_private_segment_buffer 1
		.amdhsa_user_sgpr_dispatch_ptr 0
		.amdhsa_user_sgpr_queue_ptr 0
		.amdhsa_user_sgpr_kernarg_segment_ptr 1
		.amdhsa_user_sgpr_dispatch_id 0
		.amdhsa_user_sgpr_flat_scratch_init 0
		.amdhsa_user_sgpr_private_segment_size 0
		.amdhsa_uses_dynamic_stack 0
		.amdhsa_system_sgpr_private_segment_wavefront_offset 0
		.amdhsa_system_sgpr_workgroup_id_x 1
		.amdhsa_system_sgpr_workgroup_id_y 0
		.amdhsa_system_sgpr_workgroup_id_z 0
		.amdhsa_system_sgpr_workgroup_info 0
		.amdhsa_system_vgpr_workitem_id 0
		.amdhsa_next_free_vgpr 9
		.amdhsa_next_free_sgpr 16
		.amdhsa_reserve_vcc 1
		.amdhsa_reserve_flat_scratch 0
		.amdhsa_float_round_mode_32 0
		.amdhsa_float_round_mode_16_64 0
		.amdhsa_float_denorm_mode_32 3
		.amdhsa_float_denorm_mode_16_64 3
		.amdhsa_dx10_clamp 1
		.amdhsa_ieee_mode 1
		.amdhsa_fp16_overflow 0
		.amdhsa_exception_fp_ieee_invalid_op 0
		.amdhsa_exception_fp_denorm_src 0
		.amdhsa_exception_fp_ieee_div_zero 0
		.amdhsa_exception_fp_ieee_overflow 0
		.amdhsa_exception_fp_ieee_underflow 0
		.amdhsa_exception_fp_ieee_inexact 0
		.amdhsa_exception_int_div_zero 0
	.end_amdhsa_kernel
	.section	.text._ZN9rocsparseL22partial_scale_y_kernelIl21rocsparse_complex_numIfES2_EEvT_S3_S3_NS_24const_host_device_scalarIT1_EEPT0_b,"axG",@progbits,_ZN9rocsparseL22partial_scale_y_kernelIl21rocsparse_complex_numIfES2_EEvT_S3_S3_NS_24const_host_device_scalarIT1_EEPT0_b,comdat
.Lfunc_end30:
	.size	_ZN9rocsparseL22partial_scale_y_kernelIl21rocsparse_complex_numIfES2_EEvT_S3_S3_NS_24const_host_device_scalarIT1_EEPT0_b, .Lfunc_end30-_ZN9rocsparseL22partial_scale_y_kernelIl21rocsparse_complex_numIfES2_EEvT_S3_S3_NS_24const_host_device_scalarIT1_EEPT0_b
                                        ; -- End function
	.set _ZN9rocsparseL22partial_scale_y_kernelIl21rocsparse_complex_numIfES2_EEvT_S3_S3_NS_24const_host_device_scalarIT1_EEPT0_b.num_vgpr, 9
	.set _ZN9rocsparseL22partial_scale_y_kernelIl21rocsparse_complex_numIfES2_EEvT_S3_S3_NS_24const_host_device_scalarIT1_EEPT0_b.num_agpr, 0
	.set _ZN9rocsparseL22partial_scale_y_kernelIl21rocsparse_complex_numIfES2_EEvT_S3_S3_NS_24const_host_device_scalarIT1_EEPT0_b.numbered_sgpr, 16
	.set _ZN9rocsparseL22partial_scale_y_kernelIl21rocsparse_complex_numIfES2_EEvT_S3_S3_NS_24const_host_device_scalarIT1_EEPT0_b.num_named_barrier, 0
	.set _ZN9rocsparseL22partial_scale_y_kernelIl21rocsparse_complex_numIfES2_EEvT_S3_S3_NS_24const_host_device_scalarIT1_EEPT0_b.private_seg_size, 0
	.set _ZN9rocsparseL22partial_scale_y_kernelIl21rocsparse_complex_numIfES2_EEvT_S3_S3_NS_24const_host_device_scalarIT1_EEPT0_b.uses_vcc, 1
	.set _ZN9rocsparseL22partial_scale_y_kernelIl21rocsparse_complex_numIfES2_EEvT_S3_S3_NS_24const_host_device_scalarIT1_EEPT0_b.uses_flat_scratch, 0
	.set _ZN9rocsparseL22partial_scale_y_kernelIl21rocsparse_complex_numIfES2_EEvT_S3_S3_NS_24const_host_device_scalarIT1_EEPT0_b.has_dyn_sized_stack, 0
	.set _ZN9rocsparseL22partial_scale_y_kernelIl21rocsparse_complex_numIfES2_EEvT_S3_S3_NS_24const_host_device_scalarIT1_EEPT0_b.has_recursion, 0
	.set _ZN9rocsparseL22partial_scale_y_kernelIl21rocsparse_complex_numIfES2_EEvT_S3_S3_NS_24const_host_device_scalarIT1_EEPT0_b.has_indirect_call, 0
	.section	.AMDGPU.csdata,"",@progbits
; Kernel info:
; codeLenInByte = 408
; TotalNumSgprs: 20
; NumVgprs: 9
; ScratchSize: 0
; MemoryBound: 0
; FloatMode: 240
; IeeeMode: 1
; LDSByteSize: 0 bytes/workgroup (compile time only)
; SGPRBlocks: 2
; VGPRBlocks: 2
; NumSGPRsForWavesPerEU: 20
; NumVGPRsForWavesPerEU: 9
; Occupancy: 10
; WaveLimiterHint : 0
; COMPUTE_PGM_RSRC2:SCRATCH_EN: 0
; COMPUTE_PGM_RSRC2:USER_SGPR: 6
; COMPUTE_PGM_RSRC2:TRAP_HANDLER: 0
; COMPUTE_PGM_RSRC2:TGID_X_EN: 1
; COMPUTE_PGM_RSRC2:TGID_Y_EN: 0
; COMPUTE_PGM_RSRC2:TGID_Z_EN: 0
; COMPUTE_PGM_RSRC2:TIDIG_COMP_CNT: 0
	.section	.text._ZN9rocsparseL27csrmvn_symm_adaptive_kernelIll21rocsparse_complex_numIfES2_S2_S2_EEvbT_S3_PKS3_NS_24const_host_device_scalarIT4_EES5_PKT0_PKT1_PKT2_S8_PT3_21rocsparse_index_base_b,"axG",@progbits,_ZN9rocsparseL27csrmvn_symm_adaptive_kernelIll21rocsparse_complex_numIfES2_S2_S2_EEvbT_S3_PKS3_NS_24const_host_device_scalarIT4_EES5_PKT0_PKT1_PKT2_S8_PT3_21rocsparse_index_base_b,comdat
	.globl	_ZN9rocsparseL27csrmvn_symm_adaptive_kernelIll21rocsparse_complex_numIfES2_S2_S2_EEvbT_S3_PKS3_NS_24const_host_device_scalarIT4_EES5_PKT0_PKT1_PKT2_S8_PT3_21rocsparse_index_base_b ; -- Begin function _ZN9rocsparseL27csrmvn_symm_adaptive_kernelIll21rocsparse_complex_numIfES2_S2_S2_EEvbT_S3_PKS3_NS_24const_host_device_scalarIT4_EES5_PKT0_PKT1_PKT2_S8_PT3_21rocsparse_index_base_b
	.p2align	8
	.type	_ZN9rocsparseL27csrmvn_symm_adaptive_kernelIll21rocsparse_complex_numIfES2_S2_S2_EEvbT_S3_PKS3_NS_24const_host_device_scalarIT4_EES5_PKT0_PKT1_PKT2_S8_PT3_21rocsparse_index_base_b,@function
_ZN9rocsparseL27csrmvn_symm_adaptive_kernelIll21rocsparse_complex_numIfES2_S2_S2_EEvbT_S3_PKS3_NS_24const_host_device_scalarIT4_EES5_PKT0_PKT1_PKT2_S8_PT3_21rocsparse_index_base_b: ; @_ZN9rocsparseL27csrmvn_symm_adaptive_kernelIll21rocsparse_complex_numIfES2_S2_S2_EEvbT_S3_PKS3_NS_24const_host_device_scalarIT4_EES5_PKT0_PKT1_PKT2_S8_PT3_21rocsparse_index_base_b
; %bb.0:
	s_load_dwordx2 s[30:31], s[4:5], 0x58
	s_load_dwordx2 s[0:1], s[4:5], 0x20
	s_add_u32 s7, s4, 32
	s_addc_u32 s10, s5, 0
	s_waitcnt lgkmcnt(0)
	s_bitcmp1_b32 s31, 0
	s_cselect_b64 s[8:9], -1, 0
	s_and_b64 s[2:3], s[8:9], exec
	s_cselect_b32 s1, s10, s1
	s_cselect_b32 s0, s7, s0
	v_mov_b32_e32 v1, s0
	v_mov_b32_e32 v2, s1
	flat_load_dwordx2 v[6:7], v[1:2]
	s_waitcnt vmcnt(0) lgkmcnt(0)
	v_cmp_eq_f32_e32 vcc, 0, v6
	v_cmp_eq_f32_e64 s[0:1], 0, v7
	s_and_b64 s[10:11], vcc, s[0:1]
	s_mov_b64 s[0:1], -1
	s_and_saveexec_b64 s[2:3], s[10:11]
	s_cbranch_execz .LBB31_2
; %bb.1:
	s_load_dwordx2 s[0:1], s[4:5], 0x48
	s_add_u32 s7, s4, 0x48
	s_addc_u32 s10, s5, 0
	s_and_b64 s[8:9], s[8:9], exec
	s_waitcnt lgkmcnt(0)
	s_cselect_b32 s1, s10, s1
	s_cselect_b32 s0, s7, s0
	v_mov_b32_e32 v1, s0
	v_mov_b32_e32 v2, s1
	flat_load_dwordx2 v[1:2], v[1:2]
	s_waitcnt vmcnt(0) lgkmcnt(0)
	v_cmp_neq_f32_e32 vcc, 1.0, v1
	v_cmp_neq_f32_e64 s[0:1], 0, v2
	s_or_b64 s[0:1], vcc, s[0:1]
	s_orn2_b64 s[0:1], s[0:1], exec
.LBB31_2:
	s_or_b64 exec, exec, s[2:3]
	s_and_saveexec_b64 s[2:3], s[0:1]
	s_cbranch_execz .LBB31_179
; %bb.3:
	s_load_dword s7, s[4:5], 0x0
	s_load_dwordx2 s[0:1], s[4:5], 0x18
	s_mov_b32 s2, 0
	s_mov_b32 s3, s2
	v_mov_b32_e32 v1, s2
	s_waitcnt lgkmcnt(0)
	s_bitcmp1_b32 s7, 0
	s_cselect_b64 s[38:39], -1, 0
	s_ashr_i32 s7, s6, 31
	v_mov_b32_e32 v2, s3
	s_lshl_b64 s[2:3], s[6:7], 3
	s_add_u32 s0, s0, s2
	v_lshlrev_b32_e32 v18, 3, v0
	s_addc_u32 s1, s1, s3
	ds_write2st64_b64 v18, v[1:2], v[1:2] offset1:4
	ds_write2st64_b64 v18, v[1:2], v[1:2] offset0:8 offset1:12
	s_waitcnt lgkmcnt(0)
	s_barrier
	s_load_dwordx4 s[24:27], s[0:1], 0x0
	s_load_dwordx8 s[16:23], s[4:5], 0x28
	s_load_dwordx2 s[14:15], s[4:5], 0x50
	s_mov_b64 s[0:1], -1
	s_waitcnt lgkmcnt(0)
	s_sub_u32 s28, s26, s24
	s_subb_u32 s29, s27, s25
	v_cmp_gt_i64_e64 s[2:3], s[28:29], 2
	s_and_b64 vcc, exec, s[2:3]
	s_cbranch_vccnz .LBB31_47
; %bb.4:
	v_mov_b32_e32 v1, s24
	v_mov_b32_e32 v2, s25
	v_cmp_le_i64_e32 vcc, s[26:27], v[1:2]
	v_subrev_co_u32_e64 v5, s[0:1], s30, v0
	v_mov_b32_e32 v15, 0
	v_subb_co_u32_e64 v14, s[0:1], 0, 0, s[0:1]
	s_cbranch_vccnz .LBB31_34
; %bb.5:
	s_movk_i32 s31, 0x100
	s_add_u32 s33, s20, 4
	v_mov_b32_e32 v1, s26
	v_cmp_gt_u32_e64 s[0:1], s31, v0
	v_cmp_gt_u32_e64 s[2:3], 64, v0
	;; [unrolled: 1-line block ×4, first 2 shown]
	v_cmp_eq_u32_e64 s[10:11], 0, v0
	s_addc_u32 s46, s21, 0
	v_mov_b32_e32 v2, s27
	s_mov_b64 s[34:35], s[24:25]
	s_branch .LBB31_7
.LBB31_6:                               ;   in Loop: Header=BB31_7 Depth=1
	s_or_b64 exec, exec, s[12:13]
	s_add_u32 s34, s34, 1
	s_addc_u32 s35, s35, 0
	v_cmp_ge_i64_e32 vcc, s[34:35], v[1:2]
	s_cbranch_vccnz .LBB31_34
.LBB31_7:                               ; =>This Loop Header: Depth=1
                                        ;     Child Loop BB31_9 Depth 2
                                        ;     Child Loop BB31_23 Depth 2
	;; [unrolled: 1-line block ×5, first 2 shown]
	s_lshl_b64 s[36:37], s[34:35], 3
	s_add_u32 s12, s16, s36
	s_addc_u32 s13, s17, s37
	s_load_dwordx4 s[48:51], s[12:13], 0x0
	v_mov_b32_e32 v9, 0
	v_mov_b32_e32 v8, 0
	s_waitcnt lgkmcnt(0)
	s_sub_u32 s40, s50, s30
	v_mov_b32_e32 v4, s49
	v_add_co_u32_e32 v3, vcc, s48, v5
	s_subb_u32 s41, s51, 0
	v_addc_co_u32_e32 v4, vcc, v4, v14, vcc
	v_cmp_gt_i64_e32 vcc, s[40:41], v[3:4]
	s_and_saveexec_b64 s[42:43], vcc
	s_cbranch_execz .LBB31_11
; %bb.8:                                ;   in Loop: Header=BB31_7 Depth=1
	v_lshlrev_b64 v[8:9], 3, v[3:4]
	v_mov_b32_e32 v11, s19
	v_add_co_u32_e32 v10, vcc, s18, v8
	v_addc_co_u32_e32 v11, vcc, v11, v9, vcc
	v_mov_b32_e32 v13, s46
	v_add_co_u32_e32 v12, vcc, s33, v8
	v_addc_co_u32_e32 v13, vcc, v13, v9, vcc
	v_mov_b32_e32 v9, 0
	s_mov_b64 s[44:45], 0
	v_mov_b32_e32 v8, v9
.LBB31_9:                               ;   Parent Loop BB31_7 Depth=1
                                        ; =>  This Inner Loop Header: Depth=2
	global_load_dwordx2 v[16:17], v[10:11], off
	global_load_dwordx2 v[19:20], v[12:13], off offset:-4
	v_mov_b32_e32 v21, s23
	s_waitcnt vmcnt(1)
	v_subrev_co_u32_e32 v16, vcc, s30, v16
	v_subbrev_co_u32_e32 v17, vcc, 0, v17, vcc
	v_lshlrev_b64 v[16:17], 3, v[16:17]
	s_waitcnt vmcnt(0)
	v_cndmask_b32_e64 v20, v20, -v20, s[38:39]
	v_add_co_u32_e32 v16, vcc, s22, v16
	v_addc_co_u32_e32 v17, vcc, v21, v17, vcc
	global_load_dwordx2 v[16:17], v[16:17], off
	v_add_co_u32_e32 v3, vcc, s31, v3
	v_addc_co_u32_e32 v4, vcc, 0, v4, vcc
	v_add_co_u32_e32 v10, vcc, 0x800, v10
	v_addc_co_u32_e32 v11, vcc, 0, v11, vcc
	v_cmp_le_i64_e64 s[12:13], s[40:41], v[3:4]
	v_add_co_u32_e32 v12, vcc, 0x800, v12
	v_addc_co_u32_e32 v13, vcc, 0, v13, vcc
	s_or_b64 s[44:45], s[12:13], s[44:45]
	s_waitcnt vmcnt(0)
	v_fmac_f32_e32 v8, v19, v16
	v_fmac_f32_e32 v9, v20, v16
	v_fma_f32 v8, -v20, v17, v8
	v_fmac_f32_e32 v9, v19, v17
	s_andn2_b64 exec, exec, s[44:45]
	s_cbranch_execnz .LBB31_9
; %bb.10:                               ;   in Loop: Header=BB31_7 Depth=1
	s_or_b64 exec, exec, s[44:45]
.LBB31_11:                              ;   in Loop: Header=BB31_7 Depth=1
	s_or_b64 exec, exec, s[42:43]
	ds_write_b64 v18, v[8:9]
	s_waitcnt lgkmcnt(0)
	s_barrier
	s_and_saveexec_b64 s[12:13], s[0:1]
	s_cbranch_execz .LBB31_13
; %bb.12:                               ;   in Loop: Header=BB31_7 Depth=1
	ds_read2st64_b64 v[8:11], v18 offset1:4
	ds_read2st64_b64 v[19:22], v18 offset0:8 offset1:12
	s_waitcnt lgkmcnt(0)
	v_add_f32_e32 v3, v19, v10
	v_add_f32_e32 v4, v20, v11
	;; [unrolled: 1-line block ×6, first 2 shown]
	ds_write_b64 v18, v[3:4]
.LBB31_13:                              ;   in Loop: Header=BB31_7 Depth=1
	s_or_b64 exec, exec, s[12:13]
	s_waitcnt lgkmcnt(0)
	s_barrier
	s_and_saveexec_b64 s[12:13], s[2:3]
	s_cbranch_execz .LBB31_15
; %bb.14:                               ;   in Loop: Header=BB31_7 Depth=1
	ds_read2st64_b64 v[8:11], v18 offset1:1
	ds_read2st64_b64 v[19:22], v18 offset0:2 offset1:3
	s_waitcnt lgkmcnt(0)
	v_add_f32_e32 v3, v19, v10
	v_add_f32_e32 v4, v20, v11
	v_add_f32_e32 v3, v21, v3
	v_add_f32_e32 v4, v22, v4
	v_add_f32_e32 v3, v3, v8
	v_add_f32_e32 v4, v4, v9
	ds_write_b64 v18, v[3:4]
.LBB31_15:                              ;   in Loop: Header=BB31_7 Depth=1
	s_or_b64 exec, exec, s[12:13]
	s_waitcnt lgkmcnt(0)
	s_barrier
	s_and_saveexec_b64 s[12:13], s[6:7]
	s_cbranch_execz .LBB31_17
; %bb.16:                               ;   in Loop: Header=BB31_7 Depth=1
	ds_read2_b64 v[8:11], v18 offset1:16
	ds_read2_b64 v[19:22], v18 offset0:32 offset1:48
	s_waitcnt lgkmcnt(0)
	v_add_f32_e32 v3, v19, v10
	v_add_f32_e32 v4, v20, v11
	;; [unrolled: 1-line block ×6, first 2 shown]
	ds_write_b64 v18, v[3:4]
.LBB31_17:                              ;   in Loop: Header=BB31_7 Depth=1
	s_or_b64 exec, exec, s[12:13]
	s_waitcnt lgkmcnt(0)
	s_barrier
	s_and_saveexec_b64 s[12:13], s[8:9]
	s_cbranch_execz .LBB31_19
; %bb.18:                               ;   in Loop: Header=BB31_7 Depth=1
	ds_read2_b64 v[8:11], v18 offset1:4
	ds_read2_b64 v[19:22], v18 offset0:8 offset1:12
	s_waitcnt lgkmcnt(0)
	v_add_f32_e32 v3, v19, v10
	v_add_f32_e32 v4, v20, v11
	;; [unrolled: 1-line block ×6, first 2 shown]
	ds_write_b64 v18, v[3:4]
.LBB31_19:                              ;   in Loop: Header=BB31_7 Depth=1
	s_or_b64 exec, exec, s[12:13]
	s_waitcnt lgkmcnt(0)
	s_barrier
	s_and_saveexec_b64 s[12:13], s[10:11]
	s_cbranch_execz .LBB31_21
; %bb.20:                               ;   in Loop: Header=BB31_7 Depth=1
	ds_read_b128 v[8:11], v15 offset:16
	ds_read_b64 v[3:4], v15 offset:8
	ds_read_b64 v[12:13], v18
	s_waitcnt lgkmcnt(1)
	v_add_f32_e32 v3, v8, v3
	v_add_f32_e32 v4, v9, v4
	;; [unrolled: 1-line block ×4, first 2 shown]
	s_waitcnt lgkmcnt(0)
	v_add_f32_e32 v3, v3, v12
	v_add_f32_e32 v4, v4, v13
	ds_write_b64 v18, v[3:4]
.LBB31_21:                              ;   in Loop: Header=BB31_7 Depth=1
	s_or_b64 exec, exec, s[12:13]
	s_waitcnt lgkmcnt(0)
	s_barrier
	s_and_saveexec_b64 s[12:13], s[10:11]
	s_cbranch_execz .LBB31_6
; %bb.22:                               ;   in Loop: Header=BB31_7 Depth=1
	ds_read_b64 v[3:4], v15
	s_mov_b64 s[40:41], exec
	v_bfrev_b32_e32 v10, 1
	s_waitcnt lgkmcnt(0)
	v_mul_f32_e64 v8, v4, -v7
	v_fmac_f32_e32 v8, v6, v3
.LBB31_23:                              ;   Parent Loop BB31_7 Depth=1
                                        ; =>  This Inner Loop Header: Depth=2
	s_ff1_i32_b64 s42, s[40:41]
	v_readlane_b32 s44, v8, s42
	s_lshl_b64 s[42:43], 1, s42
	s_andn2_b64 s[40:41], s[40:41], s[42:43]
	s_cmp_lg_u64 s[40:41], 0
	v_add_f32_e32 v10, s44, v10
	s_cbranch_scc1 .LBB31_23
; %bb.24:                               ;   in Loop: Header=BB31_7 Depth=1
	v_mbcnt_lo_u32_b32 v8, exec_lo, 0
	s_add_u32 s36, s14, s36
	v_mbcnt_hi_u32_b32 v8, exec_hi, v8
	s_addc_u32 s37, s15, s37
	v_cmp_eq_u32_e32 vcc, 0, v8
	s_and_saveexec_b64 s[40:41], vcc
	s_xor_b64 s[40:41], exec, s[40:41]
	s_cbranch_execz .LBB31_28
; %bb.25:                               ;   in Loop: Header=BB31_7 Depth=1
	global_load_dword v9, v15, s[36:37]
	s_mov_b64 s[42:43], 0
.LBB31_26:                              ;   Parent Loop BB31_7 Depth=1
                                        ; =>  This Inner Loop Header: Depth=2
	s_waitcnt vmcnt(0)
	v_add_f32_e32 v8, v9, v10
	global_atomic_cmpswap v8, v15, v[8:9], s[36:37] glc
	s_waitcnt vmcnt(0)
	v_cmp_eq_u32_e32 vcc, v8, v9
	s_or_b64 s[42:43], vcc, s[42:43]
	v_mov_b32_e32 v9, v8
	s_andn2_b64 exec, exec, s[42:43]
	s_cbranch_execnz .LBB31_26
; %bb.27:                               ;   in Loop: Header=BB31_7 Depth=1
	s_or_b64 exec, exec, s[42:43]
.LBB31_28:                              ;   in Loop: Header=BB31_7 Depth=1
	s_or_b64 exec, exec, s[40:41]
	v_mul_f32_e32 v4, v6, v4
	s_mov_b64 s[40:41], exec
	v_fmac_f32_e32 v4, v7, v3
	v_bfrev_b32_e32 v8, 1
.LBB31_29:                              ;   Parent Loop BB31_7 Depth=1
                                        ; =>  This Inner Loop Header: Depth=2
	s_ff1_i32_b64 s42, s[40:41]
	v_readlane_b32 s44, v4, s42
	s_lshl_b64 s[42:43], 1, s42
	s_andn2_b64 s[40:41], s[40:41], s[42:43]
	s_cmp_lg_u64 s[40:41], 0
	v_add_f32_e32 v8, s44, v8
	s_cbranch_scc1 .LBB31_29
; %bb.30:                               ;   in Loop: Header=BB31_7 Depth=1
	v_mbcnt_lo_u32_b32 v3, exec_lo, 0
	v_mbcnt_hi_u32_b32 v3, exec_hi, v3
	v_cmp_eq_u32_e32 vcc, 0, v3
	s_and_saveexec_b64 s[40:41], vcc
	s_xor_b64 s[40:41], exec, s[40:41]
	s_cbranch_execz .LBB31_6
; %bb.31:                               ;   in Loop: Header=BB31_7 Depth=1
	global_load_dword v4, v15, s[36:37] offset:4
	s_mov_b64 s[40:41], 0
.LBB31_32:                              ;   Parent Loop BB31_7 Depth=1
                                        ; =>  This Inner Loop Header: Depth=2
	s_waitcnt vmcnt(0)
	v_add_f32_e32 v3, v4, v8
	global_atomic_cmpswap v3, v15, v[3:4], s[36:37] offset:4 glc
	s_waitcnt vmcnt(0)
	v_cmp_eq_u32_e32 vcc, v3, v4
	s_or_b64 s[40:41], vcc, s[40:41]
	v_mov_b32_e32 v4, v3
	s_andn2_b64 exec, exec, s[40:41]
	s_cbranch_execnz .LBB31_32
; %bb.33:                               ;   in Loop: Header=BB31_7 Depth=1
	s_or_b64 exec, exec, s[40:41]
	s_branch .LBB31_6
.LBB31_34:
	s_lshl_b64 s[0:1], s[24:25], 3
	s_add_u32 s0, s16, s0
	s_addc_u32 s1, s17, s1
	s_lshl_b64 s[2:3], s[26:27], 3
	s_add_u32 s2, s16, s2
	s_addc_u32 s3, s17, s3
	s_load_dwordx2 s[8:9], s[0:1], 0x0
	s_load_dwordx2 s[6:7], s[2:3], 0x0
	s_waitcnt lgkmcnt(0)
	v_mov_b32_e32 v2, s9
	s_sub_u32 s6, s6, s30
	v_add_co_u32_e32 v1, vcc, s8, v5
	s_subb_u32 s7, s7, 0
	v_addc_co_u32_e32 v2, vcc, v2, v14, vcc
	v_cmp_gt_i64_e32 vcc, s[6:7], v[1:2]
	s_and_saveexec_b64 s[8:9], vcc
	s_cbranch_execz .LBB31_46
; %bb.35:
	s_add_u32 s10, s26, -1
	s_addc_u32 s11, s27, -1
	v_mov_b32_e32 v3, s10
	s_add_u32 s0, s26, -2
	v_mov_b32_e32 v4, s11
	s_addc_u32 s1, s27, -1
	v_cmp_lt_i64_e32 vcc, s[24:25], v[3:4]
	s_cmp_lg_u64 s[24:25], s[0:1]
	s_cselect_b64 s[0:1], -1, 0
	s_and_b64 s[0:1], vcc, s[0:1]
	v_cndmask_b32_e64 v3, 0, 1, s[0:1]
	s_mov_b64 s[12:13], 0
	v_cmp_ne_u32_e64 s[0:1], 1, v3
	v_mov_b32_e32 v5, s17
	v_mov_b32_e32 v12, s19
	s_branch .LBB31_37
.LBB31_36:                              ;   in Loop: Header=BB31_37 Depth=1
	s_or_b64 exec, exec, s[2:3]
	v_add_co_u32_e32 v1, vcc, 0x100, v1
	v_addc_co_u32_e32 v2, vcc, 0, v2, vcc
	v_cmp_le_i64_e32 vcc, s[6:7], v[1:2]
	s_or_b64 s[12:13], vcc, s[12:13]
	s_andn2_b64 exec, exec, s[12:13]
	s_cbranch_execz .LBB31_46
.LBB31_37:                              ; =>This Loop Header: Depth=1
                                        ;     Child Loop BB31_39 Depth 2
                                        ;     Child Loop BB31_43 Depth 2
	;; [unrolled: 1-line block ×3, first 2 shown]
	v_mov_b32_e32 v3, s24
	v_mov_b32_e32 v8, s10
	s_and_b64 vcc, exec, s[0:1]
	v_mov_b32_e32 v4, s25
	v_mov_b32_e32 v9, s11
	s_cbranch_vccnz .LBB31_41
; %bb.38:                               ;   in Loop: Header=BB31_37 Depth=1
	v_mov_b32_e32 v3, s24
	v_mov_b32_e32 v8, s10
	s_mov_b64 s[34:35], 0
	v_mov_b32_e32 v4, s25
	v_mov_b32_e32 v9, s11
.LBB31_39:                              ;   Parent Loop BB31_37 Depth=1
                                        ; =>  This Inner Loop Header: Depth=2
	v_add_co_u32_e32 v10, vcc, v8, v3
	v_addc_co_u32_e32 v11, vcc, v9, v4, vcc
	v_lshrrev_b32_e32 v13, 31, v11
	v_add_co_u32_e32 v10, vcc, v10, v13
	v_addc_co_u32_e32 v11, vcc, 0, v11, vcc
	v_ashrrev_i64 v[10:11], 1, v[10:11]
	v_mov_b32_e32 v15, s17
	v_lshlrev_b64 v[13:14], 3, v[10:11]
	v_add_co_u32_e32 v13, vcc, s16, v13
	v_addc_co_u32_e32 v14, vcc, v15, v14, vcc
	global_load_dwordx2 v[13:14], v[13:14], off
	s_waitcnt vmcnt(0)
	v_subrev_co_u32_e32 v13, vcc, s30, v13
	v_subbrev_co_u32_e32 v14, vcc, 0, v14, vcc
	v_cmp_lt_i64_e32 vcc, v[1:2], v[13:14]
	v_cndmask_b32_e32 v8, v8, v10, vcc
	v_cndmask_b32_e32 v9, v9, v11, vcc
	;; [unrolled: 1-line block ×3, first 2 shown]
	v_add_co_u32_e64 v10, s[2:3], -1, v8
	v_cndmask_b32_e32 v4, v11, v4, vcc
	v_addc_co_u32_e64 v11, s[2:3], -1, v9, s[2:3]
	v_cmp_ge_i64_e32 vcc, v[3:4], v[8:9]
	v_cmp_eq_u64_e64 s[2:3], v[3:4], v[10:11]
	s_or_b64 s[2:3], vcc, s[2:3]
	s_and_b64 s[2:3], exec, s[2:3]
	s_or_b64 s[34:35], s[2:3], s[34:35]
	s_andn2_b64 exec, exec, s[34:35]
	s_cbranch_execnz .LBB31_39
; %bb.40:                               ;   in Loop: Header=BB31_37 Depth=1
	s_or_b64 exec, exec, s[34:35]
.LBB31_41:                              ;   in Loop: Header=BB31_37 Depth=1
	v_lshlrev_b64 v[10:11], 3, v[8:9]
	v_add_co_u32_e32 v10, vcc, s16, v10
	v_addc_co_u32_e32 v11, vcc, v5, v11, vcc
	global_load_dwordx2 v[13:14], v[10:11], off
	v_lshlrev_b64 v[10:11], 3, v[1:2]
	v_add_co_u32_e32 v15, vcc, s18, v10
	v_addc_co_u32_e32 v16, vcc, v12, v11, vcc
	global_load_dwordx2 v[15:16], v[15:16], off
	s_waitcnt vmcnt(1)
	v_subrev_co_u32_e32 v13, vcc, s30, v13
	v_subbrev_co_u32_e32 v14, vcc, 0, v14, vcc
	v_cmp_lt_i64_e32 vcc, v[1:2], v[13:14]
	v_cndmask_b32_e32 v4, v9, v4, vcc
	v_cndmask_b32_e32 v3, v8, v3, vcc
	s_waitcnt vmcnt(0)
	v_subrev_co_u32_e32 v8, vcc, s30, v15
	v_subbrev_co_u32_e32 v9, vcc, 0, v16, vcc
	v_cmp_ne_u64_e32 vcc, v[8:9], v[3:4]
	s_and_saveexec_b64 s[2:3], vcc
	s_cbranch_execz .LBB31_36
; %bb.42:                               ;   in Loop: Header=BB31_37 Depth=1
	v_lshlrev_b64 v[13:14], 3, v[8:9]
	v_mov_b32_e32 v9, s21
	v_add_co_u32_e32 v8, vcc, s20, v10
	v_addc_co_u32_e32 v9, vcc, v9, v11, vcc
	v_lshlrev_b64 v[3:4], 3, v[3:4]
	global_load_dwordx2 v[15:16], v[8:9], off
	v_mov_b32_e32 v8, s23
	v_add_co_u32_e32 v3, vcc, s22, v3
	v_addc_co_u32_e32 v4, vcc, v8, v4, vcc
	v_mov_b32_e32 v17, s15
	global_load_dwordx2 v[8:9], v[3:4], off
	v_add_co_u32_e32 v3, vcc, s14, v13
	v_addc_co_u32_e32 v4, vcc, v17, v14, vcc
	global_load_dword v11, v[3:4], off
	s_mov_b64 s[34:35], 0
	s_waitcnt vmcnt(2)
	v_cndmask_b32_e64 v10, v16, -v16, s[38:39]
	v_mul_f32_e32 v14, v6, v10
	v_mul_f32_e64 v13, v10, -v7
	v_fmac_f32_e32 v14, v7, v15
	v_fmac_f32_e32 v13, v6, v15
	s_waitcnt vmcnt(1)
	v_mul_f32_e64 v15, v9, -v14
	v_fmac_f32_e32 v15, v13, v8
.LBB31_43:                              ;   Parent Loop BB31_37 Depth=1
                                        ; =>  This Inner Loop Header: Depth=2
	s_waitcnt vmcnt(0)
	v_add_f32_e32 v10, v11, v15
	global_atomic_cmpswap v10, v[3:4], v[10:11], off glc
	s_waitcnt vmcnt(0)
	v_cmp_eq_u32_e32 vcc, v10, v11
	s_or_b64 s[34:35], vcc, s[34:35]
	v_mov_b32_e32 v11, v10
	s_andn2_b64 exec, exec, s[34:35]
	s_cbranch_execnz .LBB31_43
; %bb.44:                               ;   in Loop: Header=BB31_37 Depth=1
	s_or_b64 exec, exec, s[34:35]
	global_load_dword v10, v[3:4], off offset:4
	v_mul_f32_e32 v11, v9, v13
	v_fmac_f32_e32 v11, v14, v8
	s_mov_b64 s[34:35], 0
.LBB31_45:                              ;   Parent Loop BB31_37 Depth=1
                                        ; =>  This Inner Loop Header: Depth=2
	s_waitcnt vmcnt(0)
	v_add_f32_e32 v9, v10, v11
	global_atomic_cmpswap v8, v[3:4], v[9:10], off offset:4 glc
	s_waitcnt vmcnt(0)
	v_cmp_eq_u32_e32 vcc, v8, v10
	s_or_b64 s[34:35], vcc, s[34:35]
	v_mov_b32_e32 v10, v8
	s_andn2_b64 exec, exec, s[34:35]
	s_cbranch_execnz .LBB31_45
	s_branch .LBB31_36
.LBB31_46:
	s_or_b64 exec, exec, s[8:9]
	s_mov_b64 s[0:1], 0
.LBB31_47:
	s_and_b64 vcc, exec, s[0:1]
	s_cbranch_vccz .LBB31_179
; %bb.48:
	s_load_dword s0, s[4:5], 0x6c
	v_mov_b32_e32 v1, s28
	s_mov_b32 s13, 0
	v_mov_b32_e32 v2, s29
	s_mov_b64 s[36:37], 0
	s_waitcnt lgkmcnt(0)
	s_and_b32 s12, s0, 0xffff
	v_cmp_lt_u64_e32 vcc, s[12:13], v[1:2]
	s_cbranch_vccnz .LBB31_50
; %bb.49:
	v_cvt_f32_u32_e32 v1, s28
	s_sub_i32 s0, 0, s28
	v_rcp_iflag_f32_e32 v1, v1
	v_mul_f32_e32 v1, 0x4f7ffffe, v1
	v_cvt_u32_f32_e32 v1, v1
	v_readfirstlane_b32 s1, v1
	s_mul_i32 s0, s0, s1
	s_mul_hi_u32 s0, s1, s0
	s_add_i32 s1, s1, s0
	s_mul_hi_u32 s0, s12, s1
	s_mul_i32 s2, s0, s28
	s_sub_i32 s2, s12, s2
	s_add_i32 s1, s0, 1
	s_sub_i32 s3, s2, s28
	s_cmp_ge_u32 s2, s28
	s_cselect_b32 s0, s1, s0
	s_cselect_b32 s2, s3, s2
	s_add_i32 s1, s0, 1
	s_cmp_ge_u32 s2, s28
	s_cselect_b32 s36, s1, s0
.LBB31_50:
	s_lshl_b64 s[0:1], s[24:25], 3
	s_add_u32 s34, s16, s0
	s_addc_u32 s35, s17, s1
	s_load_dwordx2 s[6:7], s[34:35], 0x0
	s_load_dwordx4 s[8:11], s[4:5], 0x8
	v_subrev_co_u32_e32 v1, vcc, s30, v0
	v_subb_co_u32_e64 v2, s[0:1], 0, 0, vcc
	s_waitcnt lgkmcnt(0)
	v_mov_b32_e32 v3, s7
	v_add_co_u32_e32 v4, vcc, s6, v1
	v_addc_co_u32_e32 v5, vcc, v3, v2, vcc
	v_add_co_u32_e32 v2, vcc, 0x300, v4
	v_addc_co_u32_e32 v3, vcc, 0, v5, vcc
	v_cmp_le_i64_e64 s[0:1], s[8:9], v[2:3]
	v_mov_b32_e32 v1, 0
	s_and_saveexec_b64 s[2:3], s[0:1]
	s_xor_b64 s[2:3], exec, s[2:3]
	s_cbranch_execnz .LBB31_53
; %bb.51:
	s_or_saveexec_b64 s[2:3], s[2:3]
	v_lshlrev_b64 v[8:9], 3, v[4:5]
	s_xor_b64 exec, exec, s[2:3]
	s_cbranch_execnz .LBB31_57
.LBB31_52:
	s_or_b64 exec, exec, s[2:3]
	v_cmp_gt_i64_e32 vcc, s[10:11], v[0:1]
	s_and_saveexec_b64 s[2:3], vcc
	s_cbranch_execnz .LBB31_58
	s_branch .LBB31_60
.LBB31_53:
	s_lshl_b64 s[4:5], s[26:27], 3
	s_add_u32 s4, s16, s4
	s_addc_u32 s5, s17, s5
	s_load_dwordx2 s[4:5], s[4:5], 0x0
	s_waitcnt lgkmcnt(0)
	s_sub_u32 s4, s4, s6
	s_subb_u32 s5, s5, s7
	v_cmp_gt_i64_e32 vcc, s[4:5], v[0:1]
	s_and_saveexec_b64 s[8:9], vcc
	s_cbranch_execz .LBB31_56
; %bb.54:
	v_lshlrev_b64 v[8:9], 3, v[4:5]
	v_mov_b32_e32 v10, s21
	v_add_co_u32_e32 v8, vcc, s20, v8
	v_addc_co_u32_e32 v9, vcc, v10, v9, vcc
	v_add_co_u32_e32 v8, vcc, 4, v8
	v_mov_b32_e32 v11, v1
	v_addc_co_u32_e32 v9, vcc, 0, v9, vcc
	s_mov_b64 s[40:41], 0
	v_mov_b32_e32 v12, v18
	v_mov_b32_e32 v10, v0
.LBB31_55:                              ; =>This Inner Loop Header: Depth=1
	global_load_dwordx2 v[13:14], v[8:9], off offset:-4
	v_add_co_u32_e32 v8, vcc, 0x800, v8
	v_addc_co_u32_e32 v9, vcc, 0, v9, vcc
	v_add_co_u32_e32 v10, vcc, 0x100, v10
	v_addc_co_u32_e32 v11, vcc, 0, v11, vcc
	v_cmp_le_i64_e32 vcc, s[4:5], v[10:11]
	s_or_b64 s[40:41], vcc, s[40:41]
	s_waitcnt vmcnt(0)
	v_cndmask_b32_e64 v15, v14, -v14, s[38:39]
	v_mul_f32_e64 v14, v15, -v7
	v_mul_f32_e32 v15, v6, v15
	v_fmac_f32_e32 v14, v6, v13
	v_fmac_f32_e32 v15, v7, v13
	ds_write_b64 v12, v[14:15]
	v_add_u32_e32 v12, 0x800, v12
	s_andn2_b64 exec, exec, s[40:41]
	s_cbranch_execnz .LBB31_55
.LBB31_56:
	s_or_b64 exec, exec, s[8:9]
                                        ; implicit-def: $vgpr6_vgpr7
	s_or_saveexec_b64 s[2:3], s[2:3]
	v_lshlrev_b64 v[8:9], 3, v[4:5]
	s_xor_b64 exec, exec, s[2:3]
	s_cbranch_execz .LBB31_52
.LBB31_57:
	v_mov_b32_e32 v11, s21
	v_add_co_u32_e32 v10, vcc, s20, v8
	v_addc_co_u32_e32 v11, vcc, v11, v9, vcc
	s_movk_i32 s4, 0x1000
	global_load_dwordx2 v[12:13], v[10:11], off
	global_load_dwordx2 v[14:15], v[10:11], off offset:2048
	v_add_co_u32_e32 v10, vcc, s4, v10
	v_addc_co_u32_e32 v11, vcc, 0, v11, vcc
	global_load_dwordx2 v[16:17], v[10:11], off
	global_load_dwordx2 v[19:20], v[10:11], off offset:2048
	s_waitcnt vmcnt(3)
	v_cndmask_b32_e64 v11, v13, -v13, s[38:39]
	s_waitcnt vmcnt(2)
	v_cndmask_b32_e64 v13, v15, -v15, s[38:39]
	v_mul_f32_e64 v10, v11, -v7
	v_mul_f32_e32 v11, v6, v11
	v_mul_f32_e64 v21, v13, -v7
	v_mul_f32_e32 v22, v6, v13
	s_waitcnt vmcnt(1)
	v_cndmask_b32_e64 v13, v17, -v17, s[38:39]
	s_waitcnt vmcnt(0)
	v_cndmask_b32_e64 v15, v20, -v20, s[38:39]
	v_fmac_f32_e32 v10, v6, v12
	v_fmac_f32_e32 v11, v7, v12
	v_fmac_f32_e32 v21, v6, v14
	v_fmac_f32_e32 v22, v7, v14
	v_mul_f32_e64 v12, v13, -v7
	v_mul_f32_e32 v13, v6, v13
	v_mul_f32_e64 v14, v15, -v7
	v_mul_f32_e32 v15, v6, v15
	v_fmac_f32_e32 v12, v6, v16
	v_fmac_f32_e32 v13, v7, v16
	;; [unrolled: 1-line block ×4, first 2 shown]
	ds_write2st64_b64 v18, v[10:11], v[21:22] offset1:4
	ds_write2st64_b64 v18, v[12:13], v[14:15] offset0:8 offset1:12
	s_or_b64 exec, exec, s[2:3]
	v_cmp_gt_i64_e32 vcc, s[10:11], v[0:1]
	s_and_saveexec_b64 s[2:3], vcc
	s_cbranch_execz .LBB31_60
.LBB31_58:
	v_mov_b32_e32 v6, 0x2000
	v_lshl_add_u32 v10, v0, 3, v6
	v_mov_b32_e32 v7, v1
	s_mov_b64 s[4:5], 0
	v_mov_b32_e32 v11, 0
	v_mov_b32_e32 v6, v0
.LBB31_59:                              ; =>This Inner Loop Header: Depth=1
	v_add_co_u32_e32 v6, vcc, 0x100, v6
	v_addc_co_u32_e32 v7, vcc, 0, v7, vcc
	v_cmp_le_i64_e32 vcc, s[10:11], v[6:7]
	ds_write2_b32 v10, v11, v11 offset1:1
	s_or_b64 s[4:5], vcc, s[4:5]
	v_add_u32_e32 v10, 0x800, v10
	s_andn2_b64 exec, exec, s[4:5]
	s_cbranch_execnz .LBB31_59
.LBB31_60:
	s_or_b64 exec, exec, s[2:3]
	v_mov_b32_e32 v6, s10
	v_mov_b32_e32 v7, s11
	s_sub_u32 s4, s26, s10
	v_cmp_ge_i64_e32 vcc, s[26:27], v[6:7]
	s_subb_u32 s5, s27, s11
	s_and_b64 s[2:3], vcc, exec
	s_cselect_b32 s9, s5, 0
	s_cselect_b32 s8, s4, 0
	s_waitcnt lgkmcnt(0)
	s_barrier
	s_and_saveexec_b64 s[2:3], s[0:1]
	s_xor_b64 s[20:21], exec, s[2:3]
	s_cbranch_execz .LBB31_81
; %bb.61:
	s_lshl_b64 s[0:1], s[26:27], 3
	s_add_u32 s0, s16, s0
	s_addc_u32 s1, s17, s1
	s_load_dwordx2 s[0:1], s[0:1], 0x0
	s_waitcnt lgkmcnt(0)
	s_sub_u32 s38, s0, s6
	s_subb_u32 s39, s1, s7
	v_cmp_gt_i64_e32 vcc, s[38:39], v[0:1]
	s_and_saveexec_b64 s[40:41], vcc
	s_cbranch_execz .LBB31_80
; %bb.62:
	s_add_u32 s42, s26, -1
	s_addc_u32 s43, s27, -1
	s_add_u32 s2, s26, -2
	s_addc_u32 s3, s27, -1
	s_cmp_lg_u64 s[24:25], s[2:3]
	s_cselect_b64 s[2:3], -1, 0
	s_sub_u32 s44, s0, s30
	v_cndmask_b32_e64 v2, 0, 1, s[2:3]
	s_subb_u32 s45, s1, 0
	s_mov_b64 s[46:47], 0
	v_cmp_ne_u32_e64 s[0:1], 1, v2
	v_mov_b32_e32 v14, s17
	v_mov_b32_e32 v15, s19
	;; [unrolled: 1-line block ×4, first 2 shown]
	s_mov_b64 s[48:49], 0
	s_branch .LBB31_65
.LBB31_63:                              ;   in Loop: Header=BB31_65 Depth=1
	s_or_b64 exec, exec, s[2:3]
.LBB31_64:                              ;   in Loop: Header=BB31_65 Depth=1
	s_or_b64 exec, exec, s[4:5]
	v_lshlrev_b64 v[2:3], 3, v[2:3]
	v_lshlrev_b32_e32 v9, 3, v19
	v_add_co_u32_e32 v2, vcc, s22, v2
	v_addc_co_u32_e32 v3, vcc, v16, v3, vcc
	global_load_dwordx2 v[2:3], v[2:3], off
	s_add_u32 s48, s48, 0x100
	ds_read_b32 v10, v9 offset:4
	s_addc_u32 s49, s49, 0
	v_mov_b32_e32 v8, s49
	v_add_co_u32_e32 v7, vcc, s48, v0
	v_addc_co_u32_e32 v8, vcc, 0, v8, vcc
	v_cmp_le_i64_e32 vcc, s[38:39], v[7:8]
	s_or_b64 s[46:47], vcc, s[46:47]
	s_waitcnt vmcnt(0) lgkmcnt(0)
	v_mul_f32_e64 v7, v3, -v10
	v_mul_f32_e32 v8, v3, v6
	v_fmac_f32_e32 v7, v6, v2
	v_fmac_f32_e32 v8, v10, v2
	ds_write_b64 v9, v[7:8]
	s_andn2_b64 exec, exec, s[46:47]
	s_cbranch_execz .LBB31_80
.LBB31_65:                              ; =>This Loop Header: Depth=1
                                        ;     Child Loop BB31_67 Depth 2
                                        ;     Child Loop BB31_74 Depth 2
	;; [unrolled: 1-line block ×3, first 2 shown]
	v_mov_b32_e32 v2, s49
	v_add_co_u32_e32 v6, vcc, s48, v4
	v_addc_co_u32_e32 v7, vcc, v2, v5, vcc
	v_mov_b32_e32 v8, s24
	v_mov_b32_e32 v10, s42
	s_and_b64 vcc, exec, s[0:1]
	v_mov_b32_e32 v9, s25
	v_mov_b32_e32 v11, s43
	s_cbranch_vccnz .LBB31_69
; %bb.66:                               ;   in Loop: Header=BB31_65 Depth=1
	v_mov_b32_e32 v8, s24
	v_mov_b32_e32 v10, s42
	s_mov_b64 s[4:5], 0
	v_mov_b32_e32 v9, s25
	v_mov_b32_e32 v11, s43
.LBB31_67:                              ;   Parent Loop BB31_65 Depth=1
                                        ; =>  This Inner Loop Header: Depth=2
	v_add_co_u32_e32 v2, vcc, v10, v8
	v_addc_co_u32_e32 v3, vcc, v11, v9, vcc
	v_lshrrev_b32_e32 v12, 31, v3
	v_add_co_u32_e32 v2, vcc, v2, v12
	v_addc_co_u32_e32 v3, vcc, 0, v3, vcc
	v_ashrrev_i64 v[2:3], 1, v[2:3]
	v_mov_b32_e32 v19, s17
	v_lshlrev_b64 v[12:13], 3, v[2:3]
	v_add_co_u32_e32 v12, vcc, s16, v12
	v_addc_co_u32_e32 v13, vcc, v19, v13, vcc
	global_load_dwordx2 v[12:13], v[12:13], off
	s_waitcnt vmcnt(0)
	v_subrev_co_u32_e32 v12, vcc, s30, v12
	v_subbrev_co_u32_e32 v13, vcc, 0, v13, vcc
	v_cmp_lt_i64_e32 vcc, v[6:7], v[12:13]
	v_cndmask_b32_e32 v10, v10, v2, vcc
	v_cndmask_b32_e32 v11, v11, v3, vcc
	;; [unrolled: 1-line block ×3, first 2 shown]
	v_add_co_u32_e64 v2, s[2:3], -1, v10
	v_cndmask_b32_e32 v9, v3, v9, vcc
	v_addc_co_u32_e64 v3, s[2:3], -1, v11, s[2:3]
	v_cmp_ge_i64_e32 vcc, v[8:9], v[10:11]
	v_cmp_eq_u64_e64 s[2:3], v[8:9], v[2:3]
	s_or_b64 s[2:3], vcc, s[2:3]
	s_and_b64 s[2:3], exec, s[2:3]
	s_or_b64 s[4:5], s[2:3], s[4:5]
	s_andn2_b64 exec, exec, s[4:5]
	s_cbranch_execnz .LBB31_67
; %bb.68:                               ;   in Loop: Header=BB31_65 Depth=1
	s_or_b64 exec, exec, s[4:5]
.LBB31_69:                              ;   in Loop: Header=BB31_65 Depth=1
	v_lshlrev_b64 v[2:3], 3, v[10:11]
	v_lshlrev_b64 v[12:13], 3, v[6:7]
	v_add_co_u32_e32 v2, vcc, s16, v2
	v_addc_co_u32_e32 v3, vcc, v14, v3, vcc
	global_load_dwordx2 v[2:3], v[2:3], off
	v_add_co_u32_e32 v12, vcc, s18, v12
	v_addc_co_u32_e32 v13, vcc, v15, v13, vcc
	global_load_dwordx2 v[12:13], v[12:13], off
	v_cmp_le_i64_e32 vcc, s[44:45], v[6:7]
	s_waitcnt vmcnt(1)
	v_subrev_co_u32_e64 v19, s[2:3], s30, v2
	v_subbrev_co_u32_e64 v20, s[2:3], 0, v3, s[2:3]
	s_waitcnt vmcnt(0)
	v_subrev_co_u32_e64 v2, s[2:3], s30, v12
	v_subbrev_co_u32_e64 v3, s[2:3], 0, v13, s[2:3]
	v_cmp_lt_i64_e64 s[2:3], v[6:7], v[19:20]
	v_add_co_u32_e64 v19, s[4:5], s48, v0
	v_cndmask_b32_e64 v9, v11, v9, s[2:3]
	v_cndmask_b32_e64 v8, v10, v8, s[2:3]
	v_cmp_eq_u64_e64 s[2:3], v[2:3], v[8:9]
	v_lshlrev_b32_e32 v12, 3, v19
	s_or_b64 s[2:3], s[2:3], vcc
                                        ; implicit-def: $vgpr6
	s_and_saveexec_b64 s[4:5], s[2:3]
	s_xor_b64 s[2:3], exec, s[4:5]
; %bb.70:                               ;   in Loop: Header=BB31_65 Depth=1
	ds_read_b32 v6, v12
                                        ; implicit-def: $vgpr12
                                        ; implicit-def: $vgpr8_vgpr9
; %bb.71:                               ;   in Loop: Header=BB31_65 Depth=1
	s_andn2_saveexec_b64 s[4:5], s[2:3]
	s_cbranch_execz .LBB31_64
; %bb.72:                               ;   in Loop: Header=BB31_65 Depth=1
	v_cmp_gt_i64_e32 vcc, s[8:9], v[2:3]
	v_cmp_le_i64_e64 s[2:3], s[26:27], v[2:3]
	v_lshlrev_b64 v[7:8], 3, v[8:9]
	s_or_b64 s[2:3], vcc, s[2:3]
                                        ; implicit-def: $vgpr6
	s_and_saveexec_b64 s[50:51], s[2:3]
	s_xor_b64 s[2:3], exec, s[50:51]
	s_cbranch_execz .LBB31_78
; %bb.73:                               ;   in Loop: Header=BB31_65 Depth=1
	v_lshlrev_b64 v[20:21], 3, v[2:3]
	v_mov_b32_e32 v10, s23
	s_waitcnt lgkmcnt(0)
	v_add_co_u32_e32 v6, vcc, s22, v7
	v_addc_co_u32_e32 v7, vcc, v10, v8, vcc
	v_mov_b32_e32 v9, s15
	global_load_dwordx2 v[10:11], v[6:7], off
	v_add_co_u32_e32 v8, vcc, s14, v20
	v_addc_co_u32_e32 v9, vcc, v9, v21, vcc
	global_load_dword v13, v[8:9], off
	ds_read_b64 v[6:7], v12
	s_mov_b64 s[50:51], 0
	s_waitcnt vmcnt(1) lgkmcnt(0)
	v_mul_f32_e64 v20, v11, -v7
	v_fmac_f32_e32 v20, v6, v10
.LBB31_74:                              ;   Parent Loop BB31_65 Depth=1
                                        ; =>  This Inner Loop Header: Depth=2
	s_waitcnt vmcnt(0)
	v_add_f32_e32 v12, v13, v20
	global_atomic_cmpswap v12, v[8:9], v[12:13], off glc
	s_waitcnt vmcnt(0)
	v_cmp_eq_u32_e32 vcc, v12, v13
	s_or_b64 s[50:51], vcc, s[50:51]
	v_mov_b32_e32 v13, v12
	s_andn2_b64 exec, exec, s[50:51]
	s_cbranch_execnz .LBB31_74
; %bb.75:                               ;   in Loop: Header=BB31_65 Depth=1
	s_or_b64 exec, exec, s[50:51]
	global_load_dword v12, v[8:9], off offset:4
	v_mul_f32_e32 v13, v11, v6
	v_fmac_f32_e32 v13, v7, v10
	s_mov_b64 s[50:51], 0
.LBB31_76:                              ;   Parent Loop BB31_65 Depth=1
                                        ; =>  This Inner Loop Header: Depth=2
	s_waitcnt vmcnt(0)
	v_add_f32_e32 v11, v12, v13
	global_atomic_cmpswap v7, v[8:9], v[11:12], off offset:4 glc
	s_waitcnt vmcnt(0)
	v_cmp_eq_u32_e32 vcc, v7, v12
	s_or_b64 s[50:51], vcc, s[50:51]
	v_mov_b32_e32 v12, v7
	s_andn2_b64 exec, exec, s[50:51]
	s_cbranch_execnz .LBB31_76
; %bb.77:                               ;   in Loop: Header=BB31_65 Depth=1
	s_or_b64 exec, exec, s[50:51]
                                        ; implicit-def: $vgpr7_vgpr8
                                        ; implicit-def: $vgpr12
.LBB31_78:                              ;   in Loop: Header=BB31_65 Depth=1
	s_andn2_saveexec_b64 s[2:3], s[2:3]
	s_cbranch_execz .LBB31_63
; %bb.79:                               ;   in Loop: Header=BB31_65 Depth=1
	s_waitcnt lgkmcnt(0)
	v_add_co_u32_e32 v6, vcc, s22, v7
	v_addc_co_u32_e32 v7, vcc, v16, v8, vcc
	global_load_dwordx2 v[8:9], v[6:7], off
	ds_read_b64 v[6:7], v12
	v_subrev_u32_e32 v10, s8, v2
	v_lshl_add_u32 v10, v10, 3, v17
	s_waitcnt vmcnt(0) lgkmcnt(0)
	v_mul_f32_e64 v11, v9, -v7
	v_mul_f32_e32 v9, v9, v6
	v_fmac_f32_e32 v11, v6, v8
	v_fmac_f32_e32 v9, v7, v8
	ds_add_f32 v10, v11
	ds_add_f32 v10, v9 offset:4
	s_branch .LBB31_63
.LBB31_80:
	s_or_b64 exec, exec, s[40:41]
                                        ; implicit-def: $vgpr2_vgpr3
                                        ; implicit-def: $vgpr4
                                        ; implicit-def: $vgpr8_vgpr9
.LBB31_81:
	s_andn2_saveexec_b64 s[4:5], s[20:21]
	s_cbranch_execz .LBB31_139
; %bb.82:
	s_add_u32 s20, s26, -1
	s_addc_u32 s21, s27, -1
	s_add_u32 s0, s26, -2
	s_addc_u32 s1, s27, -1
	s_cmp_lg_u64 s[24:25], s[0:1]
	v_mov_b32_e32 v10, s24
	v_mov_b32_e32 v12, s20
	s_cselect_b64 s[2:3], -1, 0
	s_cmp_eq_u64 s[24:25], s[0:1]
	v_mov_b32_e32 v11, s25
	v_mov_b32_e32 v13, s21
	s_cbranch_scc1 .LBB31_86
; %bb.83:
	v_mov_b32_e32 v10, s24
	v_mov_b32_e32 v12, s20
	s_mov_b64 s[38:39], 0
	v_mov_b32_e32 v11, s25
	v_mov_b32_e32 v13, s21
	;; [unrolled: 1-line block ×3, first 2 shown]
.LBB31_84:                              ; =>This Inner Loop Header: Depth=1
	v_add_co_u32_e32 v7, vcc, v12, v10
	v_addc_co_u32_e32 v15, vcc, v13, v11, vcc
	v_lshrrev_b32_e32 v14, 31, v15
	v_add_co_u32_e32 v14, vcc, v7, v14
	v_addc_co_u32_e32 v15, vcc, 0, v15, vcc
	v_ashrrev_i64 v[14:15], 1, v[14:15]
	v_lshlrev_b64 v[16:17], 3, v[14:15]
	v_add_co_u32_e32 v16, vcc, s16, v16
	v_addc_co_u32_e32 v17, vcc, v6, v17, vcc
	global_load_dwordx2 v[16:17], v[16:17], off
	s_waitcnt vmcnt(0)
	v_subrev_co_u32_e32 v16, vcc, s30, v16
	v_subbrev_co_u32_e32 v17, vcc, 0, v17, vcc
	v_cmp_lt_i64_e32 vcc, v[4:5], v[16:17]
	v_cndmask_b32_e32 v12, v12, v14, vcc
	v_cndmask_b32_e32 v13, v13, v15, vcc
	v_cndmask_b32_e32 v10, v14, v10, vcc
	v_add_co_u32_e64 v14, s[0:1], -1, v12
	v_cndmask_b32_e32 v11, v15, v11, vcc
	v_addc_co_u32_e64 v15, s[0:1], -1, v13, s[0:1]
	v_cmp_ge_i64_e32 vcc, v[10:11], v[12:13]
	v_cmp_eq_u64_e64 s[0:1], v[10:11], v[14:15]
	s_or_b64 s[0:1], vcc, s[0:1]
	s_and_b64 s[0:1], exec, s[0:1]
	s_or_b64 s[38:39], s[0:1], s[38:39]
	s_andn2_b64 exec, exec, s[38:39]
	s_cbranch_execnz .LBB31_84
; %bb.85:
	s_or_b64 exec, exec, s[38:39]
.LBB31_86:
	v_lshlrev_b64 v[6:7], 3, v[12:13]
	v_mov_b32_e32 v14, s17
	v_add_co_u32_e32 v6, vcc, s16, v6
	v_addc_co_u32_e32 v7, vcc, v14, v7, vcc
	global_load_dwordx2 v[14:15], v[6:7], off
	v_mov_b32_e32 v7, s19
	v_add_co_u32_e32 v6, vcc, s18, v8
	v_addc_co_u32_e32 v7, vcc, v7, v9, vcc
	global_load_dwordx2 v[8:9], v[6:7], off
	s_lshl_b64 s[0:1], s[26:27], 3
	s_add_u32 s18, s16, s0
	s_addc_u32 s19, s17, s1
	s_waitcnt vmcnt(1)
	v_subrev_co_u32_e32 v14, vcc, s30, v14
	v_subbrev_co_u32_e32 v15, vcc, 0, v15, vcc
	v_cmp_lt_i64_e32 vcc, v[4:5], v[14:15]
	v_cndmask_b32_e32 v11, v13, v11, vcc
	v_cndmask_b32_e32 v10, v12, v10, vcc
	s_waitcnt vmcnt(0)
	v_subrev_co_u32_e32 v8, vcc, s30, v8
	v_subbrev_co_u32_e32 v9, vcc, 0, v9, vcc
	v_cmp_ne_u64_e32 vcc, v[8:9], v[10:11]
	s_and_saveexec_b64 s[38:39], vcc
	s_cbranch_execz .LBB31_96
; %bb.87:
	s_load_dwordx2 s[0:1], s[18:19], 0x0
	s_waitcnt lgkmcnt(0)
	s_sub_u32 s0, s0, s30
	s_subb_u32 s1, s1, 0
	v_cmp_gt_i64_e32 vcc, s[0:1], v[4:5]
	s_and_b64 exec, exec, vcc
	s_cbranch_execz .LBB31_96
; %bb.88:
	v_cmp_gt_i64_e32 vcc, s[8:9], v[8:9]
	v_cmp_le_i64_e64 s[0:1], s[26:27], v[8:9]
	v_lshlrev_b64 v[10:11], 3, v[10:11]
	s_or_b64 s[0:1], vcc, s[0:1]
	s_and_saveexec_b64 s[40:41], s[0:1]
	s_xor_b64 s[0:1], exec, s[40:41]
	s_cbranch_execz .LBB31_94
; %bb.89:
	v_lshlrev_b64 v[14:15], 3, v[8:9]
	v_mov_b32_e32 v12, s23
	v_add_co_u32_e32 v10, vcc, s22, v10
	v_addc_co_u32_e32 v11, vcc, v12, v11, vcc
	v_mov_b32_e32 v16, s15
	global_load_dwordx2 v[12:13], v[10:11], off
	v_add_co_u32_e32 v10, vcc, s14, v14
	v_addc_co_u32_e32 v11, vcc, v16, v15, vcc
	global_load_dword v17, v[10:11], off
	ds_read_b64 v[14:15], v18
	s_mov_b64 s[40:41], 0
	s_waitcnt vmcnt(1) lgkmcnt(0)
	v_mul_f32_e64 v19, v13, -v15
	v_fmac_f32_e32 v19, v14, v12
.LBB31_90:                              ; =>This Inner Loop Header: Depth=1
	s_waitcnt vmcnt(0)
	v_add_f32_e32 v16, v17, v19
	global_atomic_cmpswap v16, v[10:11], v[16:17], off glc
	s_waitcnt vmcnt(0)
	v_cmp_eq_u32_e32 vcc, v16, v17
	s_or_b64 s[40:41], vcc, s[40:41]
	v_mov_b32_e32 v17, v16
	s_andn2_b64 exec, exec, s[40:41]
	s_cbranch_execnz .LBB31_90
; %bb.91:
	s_or_b64 exec, exec, s[40:41]
	global_load_dword v16, v[10:11], off offset:4
	v_mul_f32_e32 v13, v13, v14
	v_fmac_f32_e32 v13, v15, v12
	s_mov_b64 s[40:41], 0
.LBB31_92:                              ; =>This Inner Loop Header: Depth=1
	s_waitcnt vmcnt(0)
	v_add_f32_e32 v15, v16, v13
	global_atomic_cmpswap v12, v[10:11], v[15:16], off offset:4 glc
	s_waitcnt vmcnt(0)
	v_cmp_eq_u32_e32 vcc, v12, v16
	s_or_b64 s[40:41], vcc, s[40:41]
	v_mov_b32_e32 v16, v12
	s_andn2_b64 exec, exec, s[40:41]
	s_cbranch_execnz .LBB31_92
; %bb.93:
	s_or_b64 exec, exec, s[40:41]
                                        ; implicit-def: $vgpr10_vgpr11
.LBB31_94:
	s_andn2_saveexec_b64 s[0:1], s[0:1]
	s_cbranch_execz .LBB31_96
; %bb.95:
	v_mov_b32_e32 v12, s23
	v_add_co_u32_e32 v10, vcc, s22, v10
	v_addc_co_u32_e32 v11, vcc, v12, v11, vcc
	global_load_dwordx2 v[10:11], v[10:11], off
	ds_read_b64 v[12:13], v18
	v_subrev_u32_e32 v14, s8, v8
	v_mov_b32_e32 v15, 0x2000
	v_lshl_add_u32 v14, v14, 3, v15
	s_waitcnt vmcnt(0) lgkmcnt(0)
	v_mul_f32_e64 v15, v11, -v13
	v_mul_f32_e32 v11, v11, v12
	v_fmac_f32_e32 v15, v12, v10
	v_fmac_f32_e32 v11, v13, v10
	ds_add_f32 v14, v15
	ds_add_f32 v14, v11 offset:4
.LBB31_96:
	s_or_b64 exec, exec, s[38:39]
	v_lshlrev_b64 v[8:9], 3, v[8:9]
	v_mov_b32_e32 v10, s23
	v_add_co_u32_e32 v8, vcc, s22, v8
	v_addc_co_u32_e32 v9, vcc, v10, v9, vcc
	global_load_dwordx2 v[12:13], v[8:9], off
	ds_read_b64 v[14:15], v18
	v_cndmask_b32_e64 v16, 0, 1, s[2:3]
	v_add_co_u32_e32 v10, vcc, 0x100, v4
	v_cmp_ne_u32_e64 s[0:1], 1, v16
	v_mov_b32_e32 v8, s24
	v_addc_co_u32_e32 v11, vcc, 0, v5, vcc
	v_mov_b32_e32 v9, s25
	s_andn2_b64 vcc, exec, s[2:3]
	s_waitcnt vmcnt(0) lgkmcnt(0)
	v_mul_f32_e64 v16, v13, -v15
	v_mul_f32_e32 v17, v13, v14
	v_fmac_f32_e32 v16, v14, v12
	v_fmac_f32_e32 v17, v15, v12
	v_mov_b32_e32 v12, s20
	v_mov_b32_e32 v13, s21
	ds_write_b64 v18, v[16:17]
	s_cbranch_vccnz .LBB31_100
; %bb.97:
	v_mov_b32_e32 v8, s24
	v_mov_b32_e32 v12, s20
	s_mov_b64 s[38:39], 0
	v_mov_b32_e32 v9, s25
	v_mov_b32_e32 v13, s21
	;; [unrolled: 1-line block ×3, first 2 shown]
.LBB31_98:                              ; =>This Inner Loop Header: Depth=1
	v_add_co_u32_e32 v15, vcc, v12, v8
	v_addc_co_u32_e32 v16, vcc, v13, v9, vcc
	v_lshrrev_b32_e32 v17, 31, v16
	v_add_co_u32_e32 v15, vcc, v15, v17
	v_addc_co_u32_e32 v16, vcc, 0, v16, vcc
	v_ashrrev_i64 v[15:16], 1, v[15:16]
	v_lshlrev_b64 v[19:20], 3, v[15:16]
	v_add_co_u32_e32 v19, vcc, s16, v19
	v_addc_co_u32_e32 v20, vcc, v14, v20, vcc
	global_load_dwordx2 v[19:20], v[19:20], off
	s_waitcnt vmcnt(0)
	v_subrev_co_u32_e32 v19, vcc, s30, v19
	v_subbrev_co_u32_e32 v20, vcc, 0, v20, vcc
	v_cmp_lt_i64_e32 vcc, v[10:11], v[19:20]
	v_cndmask_b32_e32 v12, v12, v15, vcc
	v_cndmask_b32_e32 v13, v13, v16, vcc
	;; [unrolled: 1-line block ×3, first 2 shown]
	v_add_co_u32_e64 v15, s[2:3], -1, v12
	v_cndmask_b32_e32 v9, v16, v9, vcc
	v_addc_co_u32_e64 v16, s[2:3], -1, v13, s[2:3]
	v_cmp_ge_i64_e32 vcc, v[8:9], v[12:13]
	v_cmp_eq_u64_e64 s[2:3], v[8:9], v[15:16]
	s_or_b64 s[2:3], vcc, s[2:3]
	s_and_b64 s[2:3], exec, s[2:3]
	s_or_b64 s[38:39], s[2:3], s[38:39]
	s_andn2_b64 exec, exec, s[38:39]
	s_cbranch_execnz .LBB31_98
; %bb.99:
	s_or_b64 exec, exec, s[38:39]
.LBB31_100:
	v_lshlrev_b64 v[14:15], 3, v[12:13]
	v_mov_b32_e32 v16, s17
	v_add_co_u32_e32 v14, vcc, s16, v14
	v_addc_co_u32_e32 v15, vcc, v16, v15, vcc
	global_load_dwordx2 v[16:17], v[14:15], off
	global_load_dwordx2 v[19:20], v[6:7], off offset:2048
	s_waitcnt vmcnt(1)
	v_subrev_co_u32_e32 v14, vcc, s30, v16
	v_subbrev_co_u32_e32 v15, vcc, 0, v17, vcc
	v_cmp_lt_i64_e32 vcc, v[10:11], v[14:15]
	v_cndmask_b32_e32 v13, v13, v9, vcc
	v_cndmask_b32_e32 v12, v12, v8, vcc
	s_waitcnt vmcnt(0)
	v_subrev_co_u32_e32 v8, vcc, s30, v19
	v_subbrev_co_u32_e32 v9, vcc, 0, v20, vcc
	v_cmp_ne_u64_e32 vcc, v[8:9], v[12:13]
	s_and_saveexec_b64 s[38:39], vcc
	s_cbranch_execz .LBB31_110
; %bb.101:
	s_load_dwordx2 s[2:3], s[18:19], 0x0
	s_waitcnt lgkmcnt(0)
	s_sub_u32 s2, s2, s30
	s_subb_u32 s3, s3, 0
	v_cmp_gt_i64_e32 vcc, s[2:3], v[10:11]
	s_and_b64 exec, exec, vcc
	s_cbranch_execz .LBB31_110
; %bb.102:
	v_cmp_gt_i64_e32 vcc, s[8:9], v[8:9]
	v_cmp_le_i64_e64 s[2:3], s[26:27], v[8:9]
	v_lshlrev_b64 v[10:11], 3, v[12:13]
	s_or_b64 s[2:3], vcc, s[2:3]
	s_and_saveexec_b64 s[40:41], s[2:3]
	s_xor_b64 s[2:3], exec, s[40:41]
	s_cbranch_execz .LBB31_108
; %bb.103:
	v_lshlrev_b64 v[14:15], 3, v[8:9]
	v_mov_b32_e32 v12, s23
	v_add_co_u32_e32 v10, vcc, s22, v10
	v_addc_co_u32_e32 v11, vcc, v12, v11, vcc
	v_mov_b32_e32 v16, s15
	global_load_dwordx2 v[12:13], v[10:11], off
	v_add_co_u32_e32 v10, vcc, s14, v14
	v_addc_co_u32_e32 v11, vcc, v16, v15, vcc
	global_load_dword v17, v[10:11], off
	ds_read_b64 v[14:15], v18 offset:2048
	s_mov_b64 s[40:41], 0
	s_waitcnt vmcnt(1) lgkmcnt(0)
	v_mul_f32_e64 v19, v13, -v15
	v_fmac_f32_e32 v19, v14, v12
.LBB31_104:                             ; =>This Inner Loop Header: Depth=1
	s_waitcnt vmcnt(0)
	v_add_f32_e32 v16, v17, v19
	global_atomic_cmpswap v16, v[10:11], v[16:17], off glc
	s_waitcnt vmcnt(0)
	v_cmp_eq_u32_e32 vcc, v16, v17
	s_or_b64 s[40:41], vcc, s[40:41]
	v_mov_b32_e32 v17, v16
	s_andn2_b64 exec, exec, s[40:41]
	s_cbranch_execnz .LBB31_104
; %bb.105:
	s_or_b64 exec, exec, s[40:41]
	global_load_dword v16, v[10:11], off offset:4
	v_mul_f32_e32 v13, v13, v14
	v_fmac_f32_e32 v13, v15, v12
	s_mov_b64 s[40:41], 0
.LBB31_106:                             ; =>This Inner Loop Header: Depth=1
	s_waitcnt vmcnt(0)
	v_add_f32_e32 v15, v16, v13
	global_atomic_cmpswap v12, v[10:11], v[15:16], off offset:4 glc
	s_waitcnt vmcnt(0)
	v_cmp_eq_u32_e32 vcc, v12, v16
	s_or_b64 s[40:41], vcc, s[40:41]
	v_mov_b32_e32 v16, v12
	s_andn2_b64 exec, exec, s[40:41]
	s_cbranch_execnz .LBB31_106
; %bb.107:
	s_or_b64 exec, exec, s[40:41]
                                        ; implicit-def: $vgpr10_vgpr11
.LBB31_108:
	s_andn2_saveexec_b64 s[2:3], s[2:3]
	s_cbranch_execz .LBB31_110
; %bb.109:
	v_mov_b32_e32 v12, s23
	v_add_co_u32_e32 v10, vcc, s22, v10
	v_addc_co_u32_e32 v11, vcc, v12, v11, vcc
	global_load_dwordx2 v[10:11], v[10:11], off
	ds_read_b64 v[12:13], v18 offset:2048
	v_subrev_u32_e32 v14, s8, v8
	v_mov_b32_e32 v15, 0x2000
	v_lshl_add_u32 v14, v14, 3, v15
	s_waitcnt vmcnt(0) lgkmcnt(0)
	v_mul_f32_e64 v15, v11, -v13
	v_mul_f32_e32 v11, v11, v12
	v_fmac_f32_e32 v15, v12, v10
	v_fmac_f32_e32 v11, v13, v10
	ds_add_f32 v14, v15
	ds_add_f32 v14, v11 offset:4
.LBB31_110:
	s_or_b64 exec, exec, s[38:39]
	v_lshlrev_b64 v[8:9], 3, v[8:9]
	v_mov_b32_e32 v10, s23
	v_add_co_u32_e32 v8, vcc, s22, v8
	v_addc_co_u32_e32 v9, vcc, v10, v9, vcc
	global_load_dwordx2 v[12:13], v[8:9], off
	ds_read_b64 v[14:15], v18 offset:2048
	v_add_co_u32_e32 v8, vcc, 0x200, v4
	v_addc_co_u32_e32 v9, vcc, 0, v5, vcc
	v_mov_b32_e32 v10, s24
	v_mov_b32_e32 v11, s25
	s_and_b64 vcc, exec, s[0:1]
	s_waitcnt vmcnt(0) lgkmcnt(0)
	v_mul_f32_e64 v4, v13, -v15
	v_mul_f32_e32 v5, v13, v14
	v_fmac_f32_e32 v4, v14, v12
	v_fmac_f32_e32 v5, v15, v12
	ds_write_b64 v18, v[4:5] offset:2048
	v_mov_b32_e32 v4, s20
	v_mov_b32_e32 v5, s21
	s_cbranch_vccnz .LBB31_114
; %bb.111:
	v_mov_b32_e32 v10, s24
	v_mov_b32_e32 v4, s20
	s_mov_b64 s[38:39], 0
	v_mov_b32_e32 v11, s25
	v_mov_b32_e32 v5, s21
	v_mov_b32_e32 v12, s17
.LBB31_112:                             ; =>This Inner Loop Header: Depth=1
	v_add_co_u32_e32 v13, vcc, v4, v10
	v_addc_co_u32_e32 v14, vcc, v5, v11, vcc
	v_lshrrev_b32_e32 v15, 31, v14
	v_add_co_u32_e32 v13, vcc, v13, v15
	v_addc_co_u32_e32 v14, vcc, 0, v14, vcc
	v_ashrrev_i64 v[13:14], 1, v[13:14]
	v_lshlrev_b64 v[15:16], 3, v[13:14]
	v_add_co_u32_e32 v15, vcc, s16, v15
	v_addc_co_u32_e32 v16, vcc, v12, v16, vcc
	global_load_dwordx2 v[15:16], v[15:16], off
	s_waitcnt vmcnt(0)
	v_subrev_co_u32_e32 v15, vcc, s30, v15
	v_subbrev_co_u32_e32 v16, vcc, 0, v16, vcc
	v_cmp_lt_i64_e32 vcc, v[8:9], v[15:16]
	v_cndmask_b32_e32 v4, v4, v13, vcc
	v_cndmask_b32_e32 v5, v5, v14, vcc
	;; [unrolled: 1-line block ×3, first 2 shown]
	v_add_co_u32_e64 v13, s[2:3], -1, v4
	v_cndmask_b32_e32 v11, v14, v11, vcc
	v_addc_co_u32_e64 v14, s[2:3], -1, v5, s[2:3]
	v_cmp_ge_i64_e32 vcc, v[10:11], v[4:5]
	v_cmp_eq_u64_e64 s[2:3], v[10:11], v[13:14]
	s_or_b64 s[2:3], vcc, s[2:3]
	s_and_b64 s[2:3], exec, s[2:3]
	s_or_b64 s[38:39], s[2:3], s[38:39]
	s_andn2_b64 exec, exec, s[38:39]
	s_cbranch_execnz .LBB31_112
; %bb.113:
	s_or_b64 exec, exec, s[38:39]
.LBB31_114:
	v_lshlrev_b64 v[12:13], 3, v[4:5]
	v_mov_b32_e32 v14, s17
	v_add_co_u32_e32 v12, vcc, s16, v12
	v_addc_co_u32_e32 v13, vcc, v14, v13, vcc
	global_load_dwordx2 v[12:13], v[12:13], off
	v_add_co_u32_e32 v14, vcc, 0x1000, v6
	v_addc_co_u32_e32 v15, vcc, 0, v7, vcc
	global_load_dwordx2 v[14:15], v[14:15], off
	s_waitcnt vmcnt(1)
	v_subrev_co_u32_e32 v12, vcc, s30, v12
	v_subbrev_co_u32_e32 v13, vcc, 0, v13, vcc
	v_cmp_lt_i64_e32 vcc, v[8:9], v[12:13]
	v_cndmask_b32_e32 v11, v5, v11, vcc
	v_cndmask_b32_e32 v10, v4, v10, vcc
	s_waitcnt vmcnt(0)
	v_subrev_co_u32_e32 v4, vcc, s30, v14
	v_subbrev_co_u32_e32 v5, vcc, 0, v15, vcc
	v_cmp_ne_u64_e32 vcc, v[4:5], v[10:11]
	s_and_saveexec_b64 s[38:39], vcc
	s_cbranch_execz .LBB31_124
; %bb.115:
	s_load_dwordx2 s[2:3], s[18:19], 0x0
	s_waitcnt lgkmcnt(0)
	s_sub_u32 s2, s2, s30
	s_subb_u32 s3, s3, 0
	v_cmp_gt_i64_e32 vcc, s[2:3], v[8:9]
	s_and_b64 exec, exec, vcc
	s_cbranch_execz .LBB31_124
; %bb.116:
	v_cmp_gt_i64_e32 vcc, s[8:9], v[4:5]
	v_cmp_le_i64_e64 s[2:3], s[26:27], v[4:5]
	v_lshlrev_b64 v[8:9], 3, v[10:11]
	s_or_b64 s[2:3], vcc, s[2:3]
	s_and_saveexec_b64 s[40:41], s[2:3]
	s_xor_b64 s[2:3], exec, s[40:41]
	s_cbranch_execz .LBB31_122
; %bb.117:
	v_lshlrev_b64 v[12:13], 3, v[4:5]
	v_mov_b32_e32 v10, s23
	v_add_co_u32_e32 v8, vcc, s22, v8
	v_addc_co_u32_e32 v9, vcc, v10, v9, vcc
	v_mov_b32_e32 v14, s15
	global_load_dwordx2 v[10:11], v[8:9], off
	v_add_co_u32_e32 v8, vcc, s14, v12
	v_addc_co_u32_e32 v9, vcc, v14, v13, vcc
	global_load_dword v15, v[8:9], off
	ds_read_b64 v[12:13], v18 offset:4096
	s_mov_b64 s[40:41], 0
	s_waitcnt vmcnt(1) lgkmcnt(0)
	v_mul_f32_e64 v16, v11, -v13
	v_fmac_f32_e32 v16, v12, v10
.LBB31_118:                             ; =>This Inner Loop Header: Depth=1
	s_waitcnt vmcnt(0)
	v_add_f32_e32 v14, v15, v16
	global_atomic_cmpswap v14, v[8:9], v[14:15], off glc
	s_waitcnt vmcnt(0)
	v_cmp_eq_u32_e32 vcc, v14, v15
	s_or_b64 s[40:41], vcc, s[40:41]
	v_mov_b32_e32 v15, v14
	s_andn2_b64 exec, exec, s[40:41]
	s_cbranch_execnz .LBB31_118
; %bb.119:
	s_or_b64 exec, exec, s[40:41]
	global_load_dword v14, v[8:9], off offset:4
	v_mul_f32_e32 v11, v11, v12
	v_fmac_f32_e32 v11, v13, v10
	s_mov_b64 s[40:41], 0
.LBB31_120:                             ; =>This Inner Loop Header: Depth=1
	s_waitcnt vmcnt(0)
	v_add_f32_e32 v13, v14, v11
	global_atomic_cmpswap v10, v[8:9], v[13:14], off offset:4 glc
	s_waitcnt vmcnt(0)
	v_cmp_eq_u32_e32 vcc, v10, v14
	s_or_b64 s[40:41], vcc, s[40:41]
	v_mov_b32_e32 v14, v10
	s_andn2_b64 exec, exec, s[40:41]
	s_cbranch_execnz .LBB31_120
; %bb.121:
	s_or_b64 exec, exec, s[40:41]
                                        ; implicit-def: $vgpr8_vgpr9
.LBB31_122:
	s_andn2_saveexec_b64 s[2:3], s[2:3]
	s_cbranch_execz .LBB31_124
; %bb.123:
	v_mov_b32_e32 v10, s23
	v_add_co_u32_e32 v8, vcc, s22, v8
	v_addc_co_u32_e32 v9, vcc, v10, v9, vcc
	global_load_dwordx2 v[8:9], v[8:9], off
	ds_read_b64 v[10:11], v18 offset:4096
	v_subrev_u32_e32 v12, s8, v4
	v_mov_b32_e32 v13, 0x2000
	v_lshl_add_u32 v12, v12, 3, v13
	s_waitcnt vmcnt(0) lgkmcnt(0)
	v_mul_f32_e64 v13, v9, -v11
	v_mul_f32_e32 v9, v9, v10
	v_fmac_f32_e32 v13, v10, v8
	v_fmac_f32_e32 v9, v11, v8
	ds_add_f32 v12, v13
	ds_add_f32 v12, v9 offset:4
.LBB31_124:
	s_or_b64 exec, exec, s[38:39]
	v_lshlrev_b64 v[4:5], 3, v[4:5]
	v_mov_b32_e32 v8, s23
	v_add_co_u32_e32 v4, vcc, s22, v4
	v_addc_co_u32_e32 v5, vcc, v8, v5, vcc
	global_load_dwordx2 v[8:9], v[4:5], off
	ds_read_b64 v[10:11], v18 offset:4096
	v_mov_b32_e32 v4, s24
	s_and_b64 vcc, exec, s[0:1]
	v_mov_b32_e32 v5, s25
	s_waitcnt vmcnt(0) lgkmcnt(0)
	v_mul_f32_e64 v12, v9, -v11
	v_mul_f32_e32 v13, v9, v10
	v_fmac_f32_e32 v12, v10, v8
	v_fmac_f32_e32 v13, v11, v8
	v_mov_b32_e32 v8, s20
	v_mov_b32_e32 v9, s21
	ds_write_b64 v18, v[12:13] offset:4096
	s_cbranch_vccnz .LBB31_128
; %bb.125:
	v_mov_b32_e32 v4, s24
	v_mov_b32_e32 v8, s20
	s_mov_b64 s[2:3], 0
	v_mov_b32_e32 v5, s25
	v_mov_b32_e32 v9, s21
	;; [unrolled: 1-line block ×3, first 2 shown]
.LBB31_126:                             ; =>This Inner Loop Header: Depth=1
	v_add_co_u32_e32 v11, vcc, v8, v4
	v_addc_co_u32_e32 v12, vcc, v9, v5, vcc
	v_lshrrev_b32_e32 v13, 31, v12
	v_add_co_u32_e32 v11, vcc, v11, v13
	v_addc_co_u32_e32 v12, vcc, 0, v12, vcc
	v_ashrrev_i64 v[11:12], 1, v[11:12]
	v_lshlrev_b64 v[13:14], 3, v[11:12]
	v_add_co_u32_e32 v13, vcc, s16, v13
	v_addc_co_u32_e32 v14, vcc, v10, v14, vcc
	global_load_dwordx2 v[13:14], v[13:14], off
	s_waitcnt vmcnt(0)
	v_subrev_co_u32_e32 v13, vcc, s30, v13
	v_subbrev_co_u32_e32 v14, vcc, 0, v14, vcc
	v_cmp_lt_i64_e32 vcc, v[2:3], v[13:14]
	v_cndmask_b32_e32 v8, v8, v11, vcc
	v_cndmask_b32_e32 v9, v9, v12, vcc
	;; [unrolled: 1-line block ×3, first 2 shown]
	v_add_co_u32_e64 v11, s[0:1], -1, v8
	v_cndmask_b32_e32 v5, v12, v5, vcc
	v_addc_co_u32_e64 v12, s[0:1], -1, v9, s[0:1]
	v_cmp_ge_i64_e32 vcc, v[4:5], v[8:9]
	v_cmp_eq_u64_e64 s[0:1], v[4:5], v[11:12]
	s_or_b64 s[0:1], vcc, s[0:1]
	s_and_b64 s[0:1], exec, s[0:1]
	s_or_b64 s[2:3], s[0:1], s[2:3]
	s_andn2_b64 exec, exec, s[2:3]
	s_cbranch_execnz .LBB31_126
; %bb.127:
	s_or_b64 exec, exec, s[2:3]
.LBB31_128:
	v_lshlrev_b64 v[10:11], 3, v[8:9]
	v_mov_b32_e32 v12, s17
	v_add_co_u32_e32 v10, vcc, s16, v10
	v_addc_co_u32_e32 v11, vcc, v12, v11, vcc
	global_load_dwordx2 v[10:11], v[10:11], off
	v_add_co_u32_e32 v6, vcc, 0x1000, v6
	v_addc_co_u32_e32 v7, vcc, 0, v7, vcc
	global_load_dwordx2 v[12:13], v[6:7], off offset:2048
	s_waitcnt vmcnt(1)
	v_subrev_co_u32_e32 v6, vcc, s30, v10
	v_subbrev_co_u32_e32 v7, vcc, 0, v11, vcc
	v_cmp_lt_i64_e32 vcc, v[2:3], v[6:7]
	v_cndmask_b32_e32 v7, v9, v5, vcc
	v_cndmask_b32_e32 v6, v8, v4, vcc
	s_waitcnt vmcnt(0)
	v_subrev_co_u32_e32 v4, vcc, s30, v12
	v_subbrev_co_u32_e32 v5, vcc, 0, v13, vcc
	v_cmp_ne_u64_e32 vcc, v[4:5], v[6:7]
	s_and_saveexec_b64 s[2:3], vcc
	s_cbranch_execz .LBB31_138
; %bb.129:
	s_load_dwordx2 s[0:1], s[18:19], 0x0
	s_waitcnt lgkmcnt(0)
	s_sub_u32 s0, s0, s30
	s_subb_u32 s1, s1, 0
	v_cmp_gt_i64_e32 vcc, s[0:1], v[2:3]
	s_and_b64 exec, exec, vcc
	s_cbranch_execz .LBB31_138
; %bb.130:
	v_cmp_gt_i64_e32 vcc, s[8:9], v[4:5]
	v_cmp_le_i64_e64 s[0:1], s[26:27], v[4:5]
	v_lshlrev_b64 v[2:3], 3, v[6:7]
	s_or_b64 s[0:1], vcc, s[0:1]
	s_and_saveexec_b64 s[18:19], s[0:1]
	s_xor_b64 s[0:1], exec, s[18:19]
	s_cbranch_execz .LBB31_136
; %bb.131:
	v_lshlrev_b64 v[8:9], 3, v[4:5]
	v_mov_b32_e32 v6, s23
	v_add_co_u32_e32 v2, vcc, s22, v2
	v_addc_co_u32_e32 v3, vcc, v6, v3, vcc
	v_mov_b32_e32 v10, s15
	global_load_dwordx2 v[6:7], v[2:3], off
	v_add_co_u32_e32 v2, vcc, s14, v8
	v_addc_co_u32_e32 v3, vcc, v10, v9, vcc
	global_load_dword v11, v[2:3], off
	ds_read_b64 v[8:9], v18 offset:6144
	s_mov_b64 s[18:19], 0
	s_waitcnt vmcnt(1) lgkmcnt(0)
	v_mul_f32_e64 v12, v7, -v9
	v_fmac_f32_e32 v12, v8, v6
.LBB31_132:                             ; =>This Inner Loop Header: Depth=1
	s_waitcnt vmcnt(0)
	v_add_f32_e32 v10, v11, v12
	global_atomic_cmpswap v10, v[2:3], v[10:11], off glc
	s_waitcnt vmcnt(0)
	v_cmp_eq_u32_e32 vcc, v10, v11
	s_or_b64 s[18:19], vcc, s[18:19]
	v_mov_b32_e32 v11, v10
	s_andn2_b64 exec, exec, s[18:19]
	s_cbranch_execnz .LBB31_132
; %bb.133:
	s_or_b64 exec, exec, s[18:19]
	global_load_dword v10, v[2:3], off offset:4
	v_mul_f32_e32 v7, v7, v8
	v_fmac_f32_e32 v7, v9, v6
	s_mov_b64 s[18:19], 0
.LBB31_134:                             ; =>This Inner Loop Header: Depth=1
	s_waitcnt vmcnt(0)
	v_add_f32_e32 v9, v10, v7
	global_atomic_cmpswap v6, v[2:3], v[9:10], off offset:4 glc
	s_waitcnt vmcnt(0)
	v_cmp_eq_u32_e32 vcc, v6, v10
	s_or_b64 s[18:19], vcc, s[18:19]
	v_mov_b32_e32 v10, v6
	s_andn2_b64 exec, exec, s[18:19]
	s_cbranch_execnz .LBB31_134
; %bb.135:
	s_or_b64 exec, exec, s[18:19]
                                        ; implicit-def: $vgpr2_vgpr3
.LBB31_136:
	s_andn2_saveexec_b64 s[0:1], s[0:1]
	s_cbranch_execz .LBB31_138
; %bb.137:
	v_mov_b32_e32 v6, s23
	v_add_co_u32_e32 v2, vcc, s22, v2
	v_addc_co_u32_e32 v3, vcc, v6, v3, vcc
	global_load_dwordx2 v[2:3], v[2:3], off
	ds_read_b64 v[6:7], v18 offset:6144
	v_subrev_u32_e32 v8, s8, v4
	v_mov_b32_e32 v9, 0x2000
	v_lshl_add_u32 v8, v8, 3, v9
	s_waitcnt vmcnt(0) lgkmcnt(0)
	v_mul_f32_e64 v9, v3, -v7
	v_mul_f32_e32 v3, v3, v6
	v_fmac_f32_e32 v9, v6, v2
	v_fmac_f32_e32 v3, v7, v2
	ds_add_f32 v8, v9
	ds_add_f32 v8, v3 offset:4
.LBB31_138:
	s_or_b64 exec, exec, s[2:3]
	v_lshlrev_b64 v[2:3], 3, v[4:5]
	v_mov_b32_e32 v4, s23
	v_add_co_u32_e32 v2, vcc, s22, v2
	v_addc_co_u32_e32 v3, vcc, v4, v3, vcc
	global_load_dwordx2 v[2:3], v[2:3], off
	ds_read_b64 v[4:5], v18 offset:6144
	s_waitcnt vmcnt(0) lgkmcnt(0)
	v_mul_f32_e64 v6, v3, -v5
	v_mul_f32_e32 v7, v3, v4
	v_fmac_f32_e32 v6, v4, v2
	v_fmac_f32_e32 v7, v5, v2
	ds_write_b64 v18, v[6:7] offset:6144
.LBB31_139:
	s_or_b64 exec, exec, s[4:5]
	v_mov_b32_e32 v2, s10
	v_mov_b32_e32 v3, s11
	v_cmp_lt_i64_e32 vcc, s[26:27], v[2:3]
	s_waitcnt lgkmcnt(0)
	s_and_b64 s[0:1], vcc, exec
	s_cselect_b32 s10, s26, s10
	s_cselect_b32 s0, s27, s11
	s_sub_u32 s2, s10, s28
	s_subb_u32 s3, s0, s29
	v_cmp_gt_i64_e32 vcc, s[2:3], v[0:1]
	s_barrier
	s_and_saveexec_b64 s[0:1], vcc
	s_cbranch_execz .LBB31_146
; %bb.140:
	s_lshl_b64 s[4:5], s[8:9], 3
	s_add_u32 s11, s14, s4
	s_addc_u32 s8, s15, s5
	v_mov_b32_e32 v3, v1
	s_mov_b64 s[4:5], 0
	v_mov_b32_e32 v10, s8
	v_mov_b32_e32 v11, 0x2000
	v_mov_b32_e32 v2, v0
.LBB31_141:                             ; =>This Loop Header: Depth=1
                                        ;     Child Loop BB31_142 Depth 2
                                        ;     Child Loop BB31_144 Depth 2
	v_lshlrev_b64 v[4:5], 3, v[2:3]
	v_lshl_add_u32 v6, v2, 3, v11
	v_add_co_u32_e32 v4, vcc, s11, v4
	v_addc_co_u32_e32 v5, vcc, v10, v5, vcc
	global_load_dword v9, v[4:5], off
	ds_read2_b32 v[6:7], v6 offset1:1
	s_mov_b64 s[8:9], 0
.LBB31_142:                             ;   Parent Loop BB31_141 Depth=1
                                        ; =>  This Inner Loop Header: Depth=2
	s_waitcnt vmcnt(0) lgkmcnt(0)
	v_add_f32_e32 v8, v9, v6
	global_atomic_cmpswap v8, v[4:5], v[8:9], off glc
	s_waitcnt vmcnt(0)
	v_cmp_eq_u32_e32 vcc, v8, v9
	s_or_b64 s[8:9], vcc, s[8:9]
	v_mov_b32_e32 v9, v8
	s_andn2_b64 exec, exec, s[8:9]
	s_cbranch_execnz .LBB31_142
; %bb.143:                              ;   in Loop: Header=BB31_141 Depth=1
	s_or_b64 exec, exec, s[8:9]
	global_load_dword v9, v[4:5], off offset:4
	s_mov_b64 s[8:9], 0
.LBB31_144:                             ;   Parent Loop BB31_141 Depth=1
                                        ; =>  This Inner Loop Header: Depth=2
	s_waitcnt vmcnt(0)
	v_add_f32_e32 v8, v9, v7
	global_atomic_cmpswap v6, v[4:5], v[8:9], off offset:4 glc
	s_waitcnt vmcnt(0)
	v_cmp_eq_u32_e32 vcc, v6, v9
	s_or_b64 s[8:9], vcc, s[8:9]
	v_mov_b32_e32 v9, v6
	s_andn2_b64 exec, exec, s[8:9]
	s_cbranch_execnz .LBB31_144
; %bb.145:                              ;   in Loop: Header=BB31_141 Depth=1
	s_or_b64 exec, exec, s[8:9]
	v_add_co_u32_e32 v2, vcc, 0x100, v2
	v_addc_co_u32_e32 v3, vcc, 0, v3, vcc
	v_cmp_le_i64_e32 vcc, s[2:3], v[2:3]
	s_or_b64 s[4:5], vcc, s[4:5]
	s_andn2_b64 exec, exec, s[4:5]
	s_cbranch_execnz .LBB31_141
.LBB31_146:
	s_or_b64 exec, exec, s[0:1]
	s_add_i32 s0, s36, -1
	s_ashr_i32 s1, s0, 1
	s_or_b32 s0, s1, s0
	s_ashr_i32 s1, s0, 2
	s_or_b32 s0, s1, s0
	;; [unrolled: 2-line block ×5, first 2 shown]
	s_add_i32 s0, s0, 1
	s_ashr_i32 s3, s0, 1
	v_mov_b32_e32 v2, s25
	v_add_co_u32_e32 v6, vcc, s24, v0
	v_addc_co_u32_e32 v7, vcc, 0, v2, vcc
	s_cmp_gt_i32 s3, 1
	s_mov_b64 s[0:1], -1
	s_barrier
	s_cbranch_scc1 .LBB31_159
; %bb.147:
	v_cmp_gt_i64_e32 vcc, s[26:27], v[6:7]
	s_and_saveexec_b64 s[0:1], vcc
	s_cbranch_execz .LBB31_158
; %bb.148:
	s_sub_i32 s4, s10, s26
	s_lshl_b32 s4, s4, 3
	s_add_i32 s13, s4, 0x2000
	s_lshl_b32 s4, s6, 3
	v_mov_b32_e32 v9, v7
	s_sub_i32 s18, 0, s4
	s_mov_b64 s[4:5], 0
	v_mov_b32_e32 v14, s17
	v_mov_b32_e32 v15, s15
	;; [unrolled: 1-line block ×3, first 2 shown]
.LBB31_149:                             ; =>This Loop Header: Depth=1
                                        ;     Child Loop BB31_151 Depth 2
                                        ;     Child Loop BB31_154 Depth 2
                                        ;     Child Loop BB31_156 Depth 2
	v_lshlrev_b64 v[10:11], 3, v[8:9]
	v_mov_b32_e32 v16, 0
	v_add_co_u32_e32 v2, vcc, s16, v10
	v_addc_co_u32_e32 v3, vcc, v14, v11, vcc
	global_load_dwordx4 v[2:5], v[2:3], off
	v_mov_b32_e32 v17, 0
	s_waitcnt vmcnt(0)
	v_cmp_lt_i64_e32 vcc, v[2:3], v[4:5]
	s_and_saveexec_b64 s[8:9], vcc
	s_cbranch_execz .LBB31_153
; %bb.150:                              ;   in Loop: Header=BB31_149 Depth=1
	v_mov_b32_e32 v12, s7
	v_subrev_co_u32_e32 v4, vcc, s6, v4
	v_subb_co_u32_e32 v5, vcc, v5, v12, vcc
	v_mov_b32_e32 v13, s7
	v_subrev_co_u32_e32 v12, vcc, s6, v2
	v_subb_co_u32_e32 v13, vcc, v3, v13, vcc
	v_lshl_add_u32 v2, v2, 3, s18
	v_mov_b32_e32 v16, 0
	s_mov_b64 s[10:11], 0
	v_mov_b32_e32 v17, 0
.LBB31_151:                             ;   Parent Loop BB31_149 Depth=1
                                        ; =>  This Inner Loop Header: Depth=2
	ds_read_b64 v[19:20], v2
	v_add_co_u32_e32 v12, vcc, 1, v12
	v_addc_co_u32_e32 v13, vcc, 0, v13, vcc
	v_cmp_ge_i64_e32 vcc, v[12:13], v[4:5]
	v_add_u32_e32 v2, 8, v2
	s_or_b64 s[10:11], vcc, s[10:11]
	s_waitcnt lgkmcnt(0)
	v_add_f32_e32 v17, v17, v19
	v_add_f32_e32 v16, v16, v20
	s_andn2_b64 exec, exec, s[10:11]
	s_cbranch_execnz .LBB31_151
; %bb.152:                              ;   in Loop: Header=BB31_149 Depth=1
	s_or_b64 exec, exec, s[10:11]
.LBB31_153:                             ;   in Loop: Header=BB31_149 Depth=1
	s_or_b64 exec, exec, s[8:9]
	v_add_co_u32_e32 v2, vcc, s14, v10
	v_addc_co_u32_e32 v3, vcc, v15, v11, vcc
	global_load_dword v11, v[2:3], off
	v_lshl_add_u32 v4, v8, 3, s13
	ds_read2_b32 v[4:5], v4 offset1:1
	s_mov_b64 s[8:9], 0
	s_waitcnt lgkmcnt(0)
	v_add_f32_e32 v4, v17, v4
.LBB31_154:                             ;   Parent Loop BB31_149 Depth=1
                                        ; =>  This Inner Loop Header: Depth=2
	s_waitcnt vmcnt(0)
	v_add_f32_e32 v10, v11, v4
	global_atomic_cmpswap v10, v[2:3], v[10:11], off glc
	s_waitcnt vmcnt(0)
	v_cmp_eq_u32_e32 vcc, v10, v11
	s_or_b64 s[8:9], vcc, s[8:9]
	v_mov_b32_e32 v11, v10
	s_andn2_b64 exec, exec, s[8:9]
	s_cbranch_execnz .LBB31_154
; %bb.155:                              ;   in Loop: Header=BB31_149 Depth=1
	s_or_b64 exec, exec, s[8:9]
	global_load_dword v11, v[2:3], off offset:4
	v_add_f32_e32 v4, v16, v5
	s_mov_b64 s[8:9], 0
.LBB31_156:                             ;   Parent Loop BB31_149 Depth=1
                                        ; =>  This Inner Loop Header: Depth=2
	s_waitcnt vmcnt(0)
	v_add_f32_e32 v10, v11, v4
	global_atomic_cmpswap v5, v[2:3], v[10:11], off offset:4 glc
	s_waitcnt vmcnt(0)
	v_cmp_eq_u32_e32 vcc, v5, v11
	s_or_b64 s[8:9], vcc, s[8:9]
	v_mov_b32_e32 v11, v5
	s_andn2_b64 exec, exec, s[8:9]
	s_cbranch_execnz .LBB31_156
; %bb.157:                              ;   in Loop: Header=BB31_149 Depth=1
	s_or_b64 exec, exec, s[8:9]
	v_add_co_u32_e32 v8, vcc, s12, v8
	v_addc_co_u32_e32 v9, vcc, 0, v9, vcc
	v_cmp_le_i64_e32 vcc, s[26:27], v[8:9]
	s_or_b64 s[4:5], vcc, s[4:5]
	s_andn2_b64 exec, exec, s[4:5]
	s_cbranch_execnz .LBB31_149
.LBB31_158:
	s_or_b64 exec, exec, s[0:1]
	s_mov_b64 s[0:1], 0
.LBB31_159:
	s_andn2_b64 vcc, exec, s[0:1]
	s_cbranch_vccnz .LBB31_179
; %bb.160:
	v_cvt_f32_u32_e32 v2, s3
	s_sub_i32 s8, 0, s3
	v_mov_b32_e32 v5, 0
	v_mov_b32_e32 v8, s35
	v_rcp_iflag_f32_e32 v2, v2
	v_mov_b32_e32 v12, s7
	v_mul_f32_e32 v2, 0x4f7ffffe, v2
	v_cvt_u32_f32_e32 v2, v2
	v_mul_lo_u32 v3, s8, v2
	v_mul_hi_u32 v3, v2, v3
	v_add_u32_e32 v2, v2, v3
	v_mul_hi_u32 v2, v0, v2
	v_mul_lo_u32 v3, v2, s3
	v_add_u32_e32 v4, 1, v2
	v_sub_u32_e32 v3, v0, v3
	v_cmp_le_u32_e32 vcc, s3, v3
	v_cndmask_b32_e32 v2, v2, v4, vcc
	v_subrev_u32_e32 v4, s3, v3
	v_cndmask_b32_e32 v3, v3, v4, vcc
	v_add_u32_e32 v4, 1, v2
	v_cmp_le_u32_e32 vcc, s3, v3
	v_cndmask_b32_e32 v4, v2, v4, vcc
	v_lshlrev_b64 v[2:3], 3, v[4:5]
	v_add_co_u32_e32 v2, vcc, s34, v2
	v_addc_co_u32_e32 v3, vcc, v8, v3, vcc
	global_load_dwordx4 v[8:11], v[2:3], off
	v_mov_b32_e32 v3, s7
	s_waitcnt vmcnt(0)
	v_subrev_co_u32_e32 v2, vcc, s6, v8
	v_subb_co_u32_e32 v3, vcc, v9, v3, vcc
	v_subrev_co_u32_e32 v13, vcc, s6, v10
	v_subb_co_u32_e32 v14, vcc, v11, v12, vcc
	v_sub_co_u32_e32 v11, vcc, v13, v2
	v_subb_co_u32_e32 v10, vcc, v14, v3, vcc
	v_mov_b32_e32 v9, v5
	v_cmp_ne_u64_e32 vcc, 0, v[9:10]
                                        ; implicit-def: $vgpr8_vgpr9
	s_and_saveexec_b64 s[0:1], vcc
	s_xor_b64 s[4:5], exec, s[0:1]
	s_cbranch_execz .LBB31_162
; %bb.161:
	s_add_u32 s0, s3, 0
	s_addc_u32 s1, 0, 0
	s_xor_b64 s[6:7], s[0:1], 0
	v_cvt_f32_u32_e32 v8, s6
	v_cvt_f32_u32_e32 v9, s7
	s_sub_u32 s9, 0, s6
	s_subb_u32 s10, 0, s7
	v_ashrrev_i32_e32 v12, 31, v10
	v_madmk_f32 v8, v9, 0x4f800000, v8
	v_rcp_f32_e32 v8, v8
	v_mul_f32_e32 v8, 0x5f7ffffc, v8
	v_mul_f32_e32 v9, 0x2f800000, v8
	v_trunc_f32_e32 v9, v9
	v_madmk_f32 v8, v9, 0xcf800000, v8
	v_cvt_u32_f32_e32 v9, v9
	v_cvt_u32_f32_e32 v8, v8
	v_readfirstlane_b32 s11, v9
	v_readfirstlane_b32 s0, v8
	s_mul_i32 s1, s9, s11
	s_mul_hi_u32 s13, s9, s0
	s_mul_i32 s12, s10, s0
	s_add_i32 s1, s13, s1
	s_mul_i32 s16, s9, s0
	s_add_i32 s1, s1, s12
	s_mul_i32 s13, s0, s1
	s_mul_hi_u32 s17, s0, s16
	s_mul_hi_u32 s12, s0, s1
	s_add_u32 s13, s17, s13
	s_addc_u32 s12, 0, s12
	s_mul_hi_u32 s18, s11, s16
	s_mul_i32 s16, s11, s16
	s_add_u32 s13, s13, s16
	s_mul_hi_u32 s17, s11, s1
	s_addc_u32 s12, s12, s18
	s_addc_u32 s13, s17, 0
	s_mul_i32 s1, s11, s1
	s_add_u32 s1, s12, s1
	s_addc_u32 s12, 0, s13
	s_add_u32 s13, s0, s1
	s_cselect_b64 s[0:1], -1, 0
	s_cmp_lg_u64 s[0:1], 0
	s_addc_u32 s11, s11, s12
	s_mul_i32 s0, s9, s11
	s_mul_hi_u32 s1, s9, s13
	s_add_i32 s0, s1, s0
	s_mul_i32 s10, s10, s13
	s_add_i32 s0, s0, s10
	s_mul_i32 s9, s9, s13
	s_mul_hi_u32 s10, s11, s9
	s_mul_i32 s12, s11, s9
	s_mul_i32 s17, s13, s0
	s_mul_hi_u32 s9, s13, s9
	s_mul_hi_u32 s16, s13, s0
	s_add_u32 s9, s9, s17
	s_addc_u32 s16, 0, s16
	s_add_u32 s9, s9, s12
	s_mul_hi_u32 s1, s11, s0
	s_addc_u32 s9, s16, s10
	s_addc_u32 s1, s1, 0
	s_mul_i32 s0, s11, s0
	s_add_u32 s0, s9, s0
	s_addc_u32 s9, 0, s1
	s_add_u32 s10, s13, s0
	s_cselect_b64 s[0:1], -1, 0
	s_cmp_lg_u64 s[0:1], 0
	v_add_co_u32_e32 v8, vcc, v11, v12
	s_addc_u32 s9, s11, s9
	v_xor_b32_e32 v15, v8, v12
	v_mad_u64_u32 v[8:9], s[0:1], v15, s9, 0
	v_mul_hi_u32 v11, v15, s10
	v_addc_co_u32_e32 v10, vcc, v10, v12, vcc
	v_xor_b32_e32 v16, v10, v12
	v_add_co_u32_e32 v17, vcc, v11, v8
	v_addc_co_u32_e32 v19, vcc, 0, v9, vcc
	v_mad_u64_u32 v[8:9], s[0:1], v16, s10, 0
	v_mad_u64_u32 v[10:11], s[0:1], v16, s9, 0
	v_add_co_u32_e32 v8, vcc, v17, v8
	v_addc_co_u32_e32 v8, vcc, v19, v9, vcc
	v_addc_co_u32_e32 v9, vcc, 0, v11, vcc
	v_add_co_u32_e32 v10, vcc, v8, v10
	v_addc_co_u32_e32 v11, vcc, 0, v9, vcc
	v_mul_lo_u32 v17, s7, v10
	v_mul_lo_u32 v19, s6, v11
	v_mad_u64_u32 v[8:9], s[0:1], s6, v10, 0
	v_add3_u32 v9, v9, v19, v17
	v_sub_u32_e32 v17, v16, v9
	v_mov_b32_e32 v19, s7
	v_sub_co_u32_e32 v8, vcc, v15, v8
	v_subb_co_u32_e64 v15, s[0:1], v17, v19, vcc
	v_subrev_co_u32_e64 v17, s[0:1], s6, v8
	v_subbrev_co_u32_e64 v15, s[0:1], 0, v15, s[0:1]
	v_cmp_le_u32_e64 s[0:1], s7, v15
	v_cndmask_b32_e64 v19, 0, -1, s[0:1]
	v_cmp_le_u32_e64 s[0:1], s6, v17
	v_cndmask_b32_e64 v17, 0, -1, s[0:1]
	v_cmp_eq_u32_e64 s[0:1], s7, v15
	v_cndmask_b32_e64 v15, v19, v17, s[0:1]
	v_add_co_u32_e64 v17, s[0:1], 2, v10
	v_subb_co_u32_e32 v9, vcc, v16, v9, vcc
	v_addc_co_u32_e64 v19, s[0:1], 0, v11, s[0:1]
	v_cmp_le_u32_e32 vcc, s7, v9
	v_add_co_u32_e64 v20, s[0:1], 1, v10
	v_cndmask_b32_e64 v16, 0, -1, vcc
	v_cmp_le_u32_e32 vcc, s6, v8
	v_addc_co_u32_e64 v21, s[0:1], 0, v11, s[0:1]
	v_cndmask_b32_e64 v8, 0, -1, vcc
	v_cmp_eq_u32_e32 vcc, s7, v9
	v_cmp_ne_u32_e64 s[0:1], 0, v15
	v_cndmask_b32_e32 v8, v16, v8, vcc
	v_cndmask_b32_e64 v15, v21, v19, s[0:1]
	v_cmp_ne_u32_e32 vcc, 0, v8
	v_cndmask_b32_e64 v9, v20, v17, s[0:1]
	v_cndmask_b32_e32 v8, v11, v15, vcc
	v_cndmask_b32_e32 v9, v10, v9, vcc
	v_xor_b32_e32 v10, v8, v12
	v_xor_b32_e32 v8, v9, v12
	v_sub_co_u32_e32 v8, vcc, v8, v12
	v_subb_co_u32_e32 v9, vcc, v10, v12, vcc
                                        ; implicit-def: $vgpr11
.LBB31_162:
	s_andn2_saveexec_b64 s[0:1], s[4:5]
	s_cbranch_execz .LBB31_164
; %bb.163:
	v_cvt_f32_u32_e32 v8, s3
	v_rcp_iflag_f32_e32 v8, v8
	v_mul_f32_e32 v8, 0x4f7ffffe, v8
	v_cvt_u32_f32_e32 v8, v8
	v_mul_lo_u32 v9, s8, v8
	v_mul_hi_u32 v9, v8, v9
	v_add_u32_e32 v8, v8, v9
	v_mul_hi_u32 v8, v11, v8
	v_mul_lo_u32 v9, v8, s3
	v_add_u32_e32 v10, 1, v8
	v_sub_u32_e32 v9, v11, v9
	v_subrev_u32_e32 v11, s3, v9
	v_cmp_le_u32_e32 vcc, s3, v9
	v_cndmask_b32_e32 v9, v9, v11, vcc
	v_cndmask_b32_e32 v8, v8, v10, vcc
	v_add_u32_e32 v10, 1, v8
	v_cmp_le_u32_e32 vcc, s3, v9
	v_cndmask_b32_e32 v8, v8, v10, vcc
	v_mov_b32_e32 v9, 0
.LBB31_164:
	s_or_b64 exec, exec, s[0:1]
	v_cmp_gt_i64_e32 vcc, s[28:29], v[4:5]
	v_mov_b32_e32 v5, 0
	v_mov_b32_e32 v4, 0
	s_and_saveexec_b64 s[0:1], vcc
	s_cbranch_execz .LBB31_172
; %bb.165:
	s_add_i32 s4, s3, -1
	v_and_b32_e32 v10, s4, v0
	v_cmp_lt_i64_e32 vcc, 0, v[8:9]
	s_mov_b64 s[4:5], 0
	v_mov_b32_e32 v5, 0
	v_lshlrev_b32_e32 v15, 3, v10
	v_mov_b32_e32 v4, 0
	s_and_saveexec_b64 s[6:7], vcc
	s_cbranch_execz .LBB31_169
; %bb.166:
	v_mov_b32_e32 v5, 0
	v_mov_b32_e32 v12, v9
	v_lshl_add_u32 v16, v2, 3, v15
	s_lshl_b32 s8, s3, 3
	v_mov_b32_e32 v11, v8
	v_mov_b32_e32 v4, v5
.LBB31_167:                             ; =>This Inner Loop Header: Depth=1
	ds_read_b64 v[19:20], v16
	v_add_co_u32_e32 v11, vcc, -1, v11
	v_addc_co_u32_e32 v12, vcc, -1, v12, vcc
	v_cmp_eq_u64_e32 vcc, 0, v[11:12]
	v_add_u32_e32 v16, s8, v16
	s_or_b64 s[4:5], vcc, s[4:5]
	s_waitcnt lgkmcnt(0)
	v_add_f32_e32 v4, v4, v19
	v_add_f32_e32 v5, v5, v20
	s_andn2_b64 exec, exec, s[4:5]
	s_cbranch_execnz .LBB31_167
; %bb.168:
	s_or_b64 exec, exec, s[4:5]
.LBB31_169:
	s_or_b64 exec, exec, s[6:7]
	v_mad_u64_u32 v[2:3], s[4:5], v8, s3, v[2:3]
	v_mov_b32_e32 v11, 0
	v_mad_u64_u32 v[8:9], s[4:5], v9, s3, v[3:4]
	v_sub_co_u32_e32 v12, vcc, v13, v2
	v_subb_co_u32_e32 v13, vcc, v14, v8, vcc
	v_cmp_gt_i64_e32 vcc, v[12:13], v[10:11]
	s_and_saveexec_b64 s[4:5], vcc
	s_cbranch_execz .LBB31_171
; %bb.170:
	v_lshl_add_u32 v2, v2, 3, v15
	ds_read_b64 v[2:3], v2
	s_waitcnt lgkmcnt(0)
	v_add_f32_e32 v4, v4, v2
	v_add_f32_e32 v5, v5, v3
.LBB31_171:
	s_or_b64 exec, exec, s[4:5]
.LBB31_172:
	s_or_b64 exec, exec, s[0:1]
	v_cmp_gt_i64_e32 vcc, s[28:29], v[0:1]
	s_barrier
	ds_write_b64 v18, v[4:5]
	s_waitcnt lgkmcnt(0)
	s_barrier
	s_and_b64 exec, exec, vcc
	s_cbranch_execz .LBB31_179
; %bb.173:
	v_mul_lo_u32 v1, s3, v0
	v_mov_b32_e32 v8, 0
	v_mov_b32_e32 v5, 0
	v_lshlrev_b32_e32 v1, 3, v1
.LBB31_174:                             ; =>This Inner Loop Header: Depth=1
	ds_read_b64 v[2:3], v1
	s_add_i32 s3, s3, -1
	v_add_u32_e32 v1, 8, v1
	s_cmp_eq_u32 s3, 0
	s_waitcnt lgkmcnt(0)
	v_add_f32_e32 v5, v5, v2
	v_add_f32_e32 v8, v8, v3
	s_cbranch_scc0 .LBB31_174
; %bb.175:
	v_lshlrev_b64 v[1:2], 3, v[6:7]
	v_mov_b32_e32 v3, s15
	v_add_co_u32_e32 v1, vcc, s14, v1
	v_addc_co_u32_e32 v2, vcc, v3, v2, vcc
	global_load_dword v6, v[1:2], off
	s_lshl_b32 s0, s2, 3
	s_addk_i32 s0, 0x2000
	v_lshl_add_u32 v0, v0, 3, s0
	ds_read2_b32 v[3:4], v0 offset1:1
	s_mov_b64 s[0:1], 0
	s_waitcnt lgkmcnt(0)
	v_add_f32_e32 v0, v5, v3
.LBB31_176:                             ; =>This Inner Loop Header: Depth=1
	s_waitcnt vmcnt(0)
	v_add_f32_e32 v5, v6, v0
	global_atomic_cmpswap v3, v[1:2], v[5:6], off glc
	s_waitcnt vmcnt(0)
	v_cmp_eq_u32_e32 vcc, v3, v6
	s_or_b64 s[0:1], vcc, s[0:1]
	v_mov_b32_e32 v6, v3
	s_andn2_b64 exec, exec, s[0:1]
	s_cbranch_execnz .LBB31_176
; %bb.177:
	s_or_b64 exec, exec, s[0:1]
	global_load_dword v5, v[1:2], off offset:4
	v_add_f32_e32 v0, v8, v4
	s_mov_b64 s[0:1], 0
.LBB31_178:                             ; =>This Inner Loop Header: Depth=1
	s_waitcnt vmcnt(0)
	v_add_f32_e32 v4, v5, v0
	global_atomic_cmpswap v3, v[1:2], v[4:5], off offset:4 glc
	s_waitcnt vmcnt(0)
	v_cmp_eq_u32_e32 vcc, v3, v5
	s_or_b64 s[0:1], vcc, s[0:1]
	v_mov_b32_e32 v5, v3
	s_andn2_b64 exec, exec, s[0:1]
	s_cbranch_execnz .LBB31_178
.LBB31_179:
	s_endpgm
	.section	.rodata,"a",@progbits
	.p2align	6, 0x0
	.amdhsa_kernel _ZN9rocsparseL27csrmvn_symm_adaptive_kernelIll21rocsparse_complex_numIfES2_S2_S2_EEvbT_S3_PKS3_NS_24const_host_device_scalarIT4_EES5_PKT0_PKT1_PKT2_S8_PT3_21rocsparse_index_base_b
		.amdhsa_group_segment_fixed_size 8192
		.amdhsa_private_segment_fixed_size 0
		.amdhsa_kernarg_size 352
		.amdhsa_user_sgpr_count 6
		.amdhsa_user_sgpr_private_segment_buffer 1
		.amdhsa_user_sgpr_dispatch_ptr 0
		.amdhsa_user_sgpr_queue_ptr 0
		.amdhsa_user_sgpr_kernarg_segment_ptr 1
		.amdhsa_user_sgpr_dispatch_id 0
		.amdhsa_user_sgpr_flat_scratch_init 0
		.amdhsa_user_sgpr_private_segment_size 0
		.amdhsa_uses_dynamic_stack 0
		.amdhsa_system_sgpr_private_segment_wavefront_offset 0
		.amdhsa_system_sgpr_workgroup_id_x 1
		.amdhsa_system_sgpr_workgroup_id_y 0
		.amdhsa_system_sgpr_workgroup_id_z 0
		.amdhsa_system_sgpr_workgroup_info 0
		.amdhsa_system_vgpr_workitem_id 0
		.amdhsa_next_free_vgpr 29
		.amdhsa_next_free_sgpr 61
		.amdhsa_reserve_vcc 1
		.amdhsa_reserve_flat_scratch 0
		.amdhsa_float_round_mode_32 0
		.amdhsa_float_round_mode_16_64 0
		.amdhsa_float_denorm_mode_32 3
		.amdhsa_float_denorm_mode_16_64 3
		.amdhsa_dx10_clamp 1
		.amdhsa_ieee_mode 1
		.amdhsa_fp16_overflow 0
		.amdhsa_exception_fp_ieee_invalid_op 0
		.amdhsa_exception_fp_denorm_src 0
		.amdhsa_exception_fp_ieee_div_zero 0
		.amdhsa_exception_fp_ieee_overflow 0
		.amdhsa_exception_fp_ieee_underflow 0
		.amdhsa_exception_fp_ieee_inexact 0
		.amdhsa_exception_int_div_zero 0
	.end_amdhsa_kernel
	.section	.text._ZN9rocsparseL27csrmvn_symm_adaptive_kernelIll21rocsparse_complex_numIfES2_S2_S2_EEvbT_S3_PKS3_NS_24const_host_device_scalarIT4_EES5_PKT0_PKT1_PKT2_S8_PT3_21rocsparse_index_base_b,"axG",@progbits,_ZN9rocsparseL27csrmvn_symm_adaptive_kernelIll21rocsparse_complex_numIfES2_S2_S2_EEvbT_S3_PKS3_NS_24const_host_device_scalarIT4_EES5_PKT0_PKT1_PKT2_S8_PT3_21rocsparse_index_base_b,comdat
.Lfunc_end31:
	.size	_ZN9rocsparseL27csrmvn_symm_adaptive_kernelIll21rocsparse_complex_numIfES2_S2_S2_EEvbT_S3_PKS3_NS_24const_host_device_scalarIT4_EES5_PKT0_PKT1_PKT2_S8_PT3_21rocsparse_index_base_b, .Lfunc_end31-_ZN9rocsparseL27csrmvn_symm_adaptive_kernelIll21rocsparse_complex_numIfES2_S2_S2_EEvbT_S3_PKS3_NS_24const_host_device_scalarIT4_EES5_PKT0_PKT1_PKT2_S8_PT3_21rocsparse_index_base_b
                                        ; -- End function
	.set _ZN9rocsparseL27csrmvn_symm_adaptive_kernelIll21rocsparse_complex_numIfES2_S2_S2_EEvbT_S3_PKS3_NS_24const_host_device_scalarIT4_EES5_PKT0_PKT1_PKT2_S8_PT3_21rocsparse_index_base_b.num_vgpr, 23
	.set _ZN9rocsparseL27csrmvn_symm_adaptive_kernelIll21rocsparse_complex_numIfES2_S2_S2_EEvbT_S3_PKS3_NS_24const_host_device_scalarIT4_EES5_PKT0_PKT1_PKT2_S8_PT3_21rocsparse_index_base_b.num_agpr, 0
	.set _ZN9rocsparseL27csrmvn_symm_adaptive_kernelIll21rocsparse_complex_numIfES2_S2_S2_EEvbT_S3_PKS3_NS_24const_host_device_scalarIT4_EES5_PKT0_PKT1_PKT2_S8_PT3_21rocsparse_index_base_b.numbered_sgpr, 52
	.set _ZN9rocsparseL27csrmvn_symm_adaptive_kernelIll21rocsparse_complex_numIfES2_S2_S2_EEvbT_S3_PKS3_NS_24const_host_device_scalarIT4_EES5_PKT0_PKT1_PKT2_S8_PT3_21rocsparse_index_base_b.num_named_barrier, 0
	.set _ZN9rocsparseL27csrmvn_symm_adaptive_kernelIll21rocsparse_complex_numIfES2_S2_S2_EEvbT_S3_PKS3_NS_24const_host_device_scalarIT4_EES5_PKT0_PKT1_PKT2_S8_PT3_21rocsparse_index_base_b.private_seg_size, 0
	.set _ZN9rocsparseL27csrmvn_symm_adaptive_kernelIll21rocsparse_complex_numIfES2_S2_S2_EEvbT_S3_PKS3_NS_24const_host_device_scalarIT4_EES5_PKT0_PKT1_PKT2_S8_PT3_21rocsparse_index_base_b.uses_vcc, 1
	.set _ZN9rocsparseL27csrmvn_symm_adaptive_kernelIll21rocsparse_complex_numIfES2_S2_S2_EEvbT_S3_PKS3_NS_24const_host_device_scalarIT4_EES5_PKT0_PKT1_PKT2_S8_PT3_21rocsparse_index_base_b.uses_flat_scratch, 0
	.set _ZN9rocsparseL27csrmvn_symm_adaptive_kernelIll21rocsparse_complex_numIfES2_S2_S2_EEvbT_S3_PKS3_NS_24const_host_device_scalarIT4_EES5_PKT0_PKT1_PKT2_S8_PT3_21rocsparse_index_base_b.has_dyn_sized_stack, 0
	.set _ZN9rocsparseL27csrmvn_symm_adaptive_kernelIll21rocsparse_complex_numIfES2_S2_S2_EEvbT_S3_PKS3_NS_24const_host_device_scalarIT4_EES5_PKT0_PKT1_PKT2_S8_PT3_21rocsparse_index_base_b.has_recursion, 0
	.set _ZN9rocsparseL27csrmvn_symm_adaptive_kernelIll21rocsparse_complex_numIfES2_S2_S2_EEvbT_S3_PKS3_NS_24const_host_device_scalarIT4_EES5_PKT0_PKT1_PKT2_S8_PT3_21rocsparse_index_base_b.has_indirect_call, 0
	.section	.AMDGPU.csdata,"",@progbits
; Kernel info:
; codeLenInByte = 8836
; TotalNumSgprs: 56
; NumVgprs: 23
; ScratchSize: 0
; MemoryBound: 0
; FloatMode: 240
; IeeeMode: 1
; LDSByteSize: 8192 bytes/workgroup (compile time only)
; SGPRBlocks: 8
; VGPRBlocks: 7
; NumSGPRsForWavesPerEU: 65
; NumVGPRsForWavesPerEU: 29
; Occupancy: 8
; WaveLimiterHint : 1
; COMPUTE_PGM_RSRC2:SCRATCH_EN: 0
; COMPUTE_PGM_RSRC2:USER_SGPR: 6
; COMPUTE_PGM_RSRC2:TRAP_HANDLER: 0
; COMPUTE_PGM_RSRC2:TGID_X_EN: 1
; COMPUTE_PGM_RSRC2:TGID_Y_EN: 0
; COMPUTE_PGM_RSRC2:TGID_Z_EN: 0
; COMPUTE_PGM_RSRC2:TIDIG_COMP_CNT: 0
	.section	.text._ZL33csrmvn_symm_large_adaptive_kernelIll21rocsparse_complex_numIfES1_S1_S1_EvbT_PKS2_N9rocsparse24const_host_device_scalarIT4_EES4_PKT0_PKT1_PKT2_S8_PT3_21rocsparse_index_base_b,"axG",@progbits,_ZL33csrmvn_symm_large_adaptive_kernelIll21rocsparse_complex_numIfES1_S1_S1_EvbT_PKS2_N9rocsparse24const_host_device_scalarIT4_EES4_PKT0_PKT1_PKT2_S8_PT3_21rocsparse_index_base_b,comdat
	.globl	_ZL33csrmvn_symm_large_adaptive_kernelIll21rocsparse_complex_numIfES1_S1_S1_EvbT_PKS2_N9rocsparse24const_host_device_scalarIT4_EES4_PKT0_PKT1_PKT2_S8_PT3_21rocsparse_index_base_b ; -- Begin function _ZL33csrmvn_symm_large_adaptive_kernelIll21rocsparse_complex_numIfES1_S1_S1_EvbT_PKS2_N9rocsparse24const_host_device_scalarIT4_EES4_PKT0_PKT1_PKT2_S8_PT3_21rocsparse_index_base_b
	.p2align	8
	.type	_ZL33csrmvn_symm_large_adaptive_kernelIll21rocsparse_complex_numIfES1_S1_S1_EvbT_PKS2_N9rocsparse24const_host_device_scalarIT4_EES4_PKT0_PKT1_PKT2_S8_PT3_21rocsparse_index_base_b,@function
_ZL33csrmvn_symm_large_adaptive_kernelIll21rocsparse_complex_numIfES1_S1_S1_EvbT_PKS2_N9rocsparse24const_host_device_scalarIT4_EES4_PKT0_PKT1_PKT2_S8_PT3_21rocsparse_index_base_b: ; @_ZL33csrmvn_symm_large_adaptive_kernelIll21rocsparse_complex_numIfES1_S1_S1_EvbT_PKS2_N9rocsparse24const_host_device_scalarIT4_EES4_PKT0_PKT1_PKT2_S8_PT3_21rocsparse_index_base_b
; %bb.0:
	s_load_dwordx2 s[24:25], s[4:5], 0x50
	s_load_dwordx2 s[0:1], s[4:5], 0x18
	s_add_u32 s7, s4, 24
	s_addc_u32 s10, s5, 0
	s_waitcnt lgkmcnt(0)
	s_bitcmp1_b32 s25, 0
	s_cselect_b64 s[8:9], -1, 0
	s_and_b64 s[2:3], s[8:9], exec
	s_cselect_b32 s1, s10, s1
	s_cselect_b32 s0, s7, s0
	v_mov_b32_e32 v1, s0
	v_mov_b32_e32 v2, s1
	flat_load_dwordx2 v[1:2], v[1:2]
	s_waitcnt vmcnt(0) lgkmcnt(0)
	v_cmp_eq_f32_e32 vcc, 0, v1
	v_cmp_eq_f32_e64 s[0:1], 0, v2
	s_and_b64 s[10:11], vcc, s[0:1]
	s_mov_b64 s[0:1], -1
	s_and_saveexec_b64 s[2:3], s[10:11]
	s_cbranch_execz .LBB32_2
; %bb.1:
	s_load_dwordx2 s[0:1], s[4:5], 0x40
	s_add_u32 s7, s4, 64
	s_addc_u32 s10, s5, 0
	s_and_b64 s[8:9], s[8:9], exec
	s_waitcnt lgkmcnt(0)
	s_cselect_b32 s1, s10, s1
	s_cselect_b32 s0, s7, s0
	v_mov_b32_e32 v3, s0
	v_mov_b32_e32 v4, s1
	flat_load_dwordx2 v[3:4], v[3:4]
	s_waitcnt vmcnt(0) lgkmcnt(0)
	v_cmp_neq_f32_e32 vcc, 1.0, v3
	v_cmp_neq_f32_e64 s[0:1], 0, v4
	s_or_b64 s[0:1], vcc, s[0:1]
	s_orn2_b64 s[0:1], s[0:1], exec
.LBB32_2:
	s_or_b64 exec, exec, s[2:3]
	s_and_saveexec_b64 s[2:3], s[0:1]
	s_cbranch_execz .LBB32_45
; %bb.3:
	s_load_dword s7, s[4:5], 0x0
	s_load_dwordx2 s[0:1], s[4:5], 0x10
	s_mov_b32 s2, 0
	s_mov_b32 s3, s2
	v_mov_b32_e32 v4, s3
	s_waitcnt lgkmcnt(0)
	s_bitcmp1_b32 s7, 0
	s_cselect_b64 s[26:27], -1, 0
	s_ashr_i32 s7, s6, 31
	v_mov_b32_e32 v3, s2
	s_lshl_b64 s[2:3], s[6:7], 3
	s_add_u32 s0, s0, s2
	v_lshlrev_b32_e32 v13, 3, v0
	s_addc_u32 s1, s1, s3
	ds_write2st64_b64 v13, v[3:4], v[3:4] offset1:4
	ds_write2st64_b64 v13, v[3:4], v[3:4] offset0:8 offset1:12
	s_waitcnt lgkmcnt(0)
	s_barrier
	s_load_dwordx4 s[20:23], s[0:1], 0x0
	s_load_dwordx8 s[12:19], s[4:5], 0x20
	s_load_dwordx2 s[28:29], s[4:5], 0x48
	v_subrev_co_u32_e64 v14, s[0:1], s24, v0
	s_waitcnt lgkmcnt(0)
	v_mov_b32_e32 v3, s22
	v_mov_b32_e32 v4, s23
	v_cmp_ge_i64_e32 vcc, s[20:21], v[3:4]
	v_mov_b32_e32 v16, 0
	v_subb_co_u32_e64 v15, s[0:1], 0, 0, s[0:1]
	s_cbranch_vccnz .LBB32_33
; %bb.4:
	s_movk_i32 s25, 0x100
	s_add_u32 s33, s16, 4
	v_mov_b32_e32 v3, s22
	v_cmp_gt_u32_e64 s[0:1], s25, v0
	v_cmp_gt_u32_e64 s[2:3], 64, v0
	;; [unrolled: 1-line block ×4, first 2 shown]
	v_cmp_eq_u32_e64 s[8:9], 0, v0
	s_addc_u32 s42, s17, 0
	v_mov_b32_e32 v4, s23
	s_mov_b64 s[30:31], s[20:21]
	s_branch .LBB32_6
.LBB32_5:                               ;   in Loop: Header=BB32_6 Depth=1
	s_or_b64 exec, exec, s[10:11]
	s_add_u32 s30, s30, 1
	s_addc_u32 s31, s31, 0
	v_cmp_ge_i64_e32 vcc, s[30:31], v[3:4]
	s_cbranch_vccnz .LBB32_33
.LBB32_6:                               ; =>This Loop Header: Depth=1
                                        ;     Child Loop BB32_8 Depth 2
                                        ;     Child Loop BB32_22 Depth 2
	;; [unrolled: 1-line block ×5, first 2 shown]
	s_lshl_b64 s[34:35], s[30:31], 3
	s_add_u32 s10, s12, s34
	s_addc_u32 s11, s13, s35
	s_load_dwordx4 s[44:47], s[10:11], 0x0
	v_mov_b32_e32 v8, 0
	v_mov_b32_e32 v7, 0
	s_waitcnt lgkmcnt(0)
	s_sub_u32 s36, s46, s24
	v_mov_b32_e32 v0, s45
	v_add_co_u32_e32 v5, vcc, s44, v14
	s_subb_u32 s37, s47, 0
	v_addc_co_u32_e32 v6, vcc, v0, v15, vcc
	v_cmp_gt_i64_e32 vcc, s[36:37], v[5:6]
	s_and_saveexec_b64 s[38:39], vcc
	s_cbranch_execz .LBB32_10
; %bb.7:                                ;   in Loop: Header=BB32_6 Depth=1
	v_lshlrev_b64 v[7:8], 3, v[5:6]
	v_mov_b32_e32 v0, s15
	v_add_co_u32_e32 v9, vcc, s14, v7
	v_addc_co_u32_e32 v10, vcc, v0, v8, vcc
	v_mov_b32_e32 v0, s42
	v_add_co_u32_e32 v11, vcc, s33, v7
	v_addc_co_u32_e32 v12, vcc, v0, v8, vcc
	v_mov_b32_e32 v8, 0
	s_mov_b64 s[40:41], 0
	v_mov_b32_e32 v7, v8
.LBB32_8:                               ;   Parent Loop BB32_6 Depth=1
                                        ; =>  This Inner Loop Header: Depth=2
	global_load_dwordx2 v[17:18], v[9:10], off
	global_load_dwordx2 v[19:20], v[11:12], off offset:-4
	v_mov_b32_e32 v0, s19
	s_waitcnt vmcnt(1)
	v_subrev_co_u32_e32 v17, vcc, s24, v17
	v_subbrev_co_u32_e32 v18, vcc, 0, v18, vcc
	v_lshlrev_b64 v[17:18], 3, v[17:18]
	v_add_co_u32_e32 v17, vcc, s18, v17
	v_addc_co_u32_e32 v18, vcc, v0, v18, vcc
	global_load_dwordx2 v[17:18], v[17:18], off
	v_add_co_u32_e32 v5, vcc, s25, v5
	v_addc_co_u32_e32 v6, vcc, 0, v6, vcc
	v_add_co_u32_e32 v9, vcc, 0x800, v9
	v_addc_co_u32_e32 v10, vcc, 0, v10, vcc
	v_cmp_le_i64_e64 s[10:11], s[36:37], v[5:6]
	s_waitcnt vmcnt(1)
	v_cndmask_b32_e64 v0, v20, -v20, s[26:27]
	v_add_co_u32_e32 v11, vcc, 0x800, v11
	v_addc_co_u32_e32 v12, vcc, 0, v12, vcc
	s_or_b64 s[40:41], s[10:11], s[40:41]
	s_waitcnt vmcnt(0)
	v_fmac_f32_e32 v7, v19, v17
	v_fmac_f32_e32 v8, v0, v17
	v_fma_f32 v7, -v0, v18, v7
	v_fmac_f32_e32 v8, v19, v18
	s_andn2_b64 exec, exec, s[40:41]
	s_cbranch_execnz .LBB32_8
; %bb.9:                                ;   in Loop: Header=BB32_6 Depth=1
	s_or_b64 exec, exec, s[40:41]
.LBB32_10:                              ;   in Loop: Header=BB32_6 Depth=1
	s_or_b64 exec, exec, s[38:39]
	ds_write_b64 v13, v[7:8]
	s_waitcnt lgkmcnt(0)
	s_barrier
	s_and_saveexec_b64 s[10:11], s[0:1]
	s_cbranch_execz .LBB32_12
; %bb.11:                               ;   in Loop: Header=BB32_6 Depth=1
	ds_read2st64_b64 v[5:8], v13 offset1:4
	ds_read2st64_b64 v[9:12], v13 offset0:8 offset1:12
	s_waitcnt lgkmcnt(0)
	v_add_f32_e32 v0, v9, v7
	v_add_f32_e32 v7, v10, v8
	;; [unrolled: 1-line block ×6, first 2 shown]
	ds_write_b64 v13, v[5:6]
.LBB32_12:                              ;   in Loop: Header=BB32_6 Depth=1
	s_or_b64 exec, exec, s[10:11]
	s_waitcnt lgkmcnt(0)
	s_barrier
	s_and_saveexec_b64 s[10:11], s[2:3]
	s_cbranch_execz .LBB32_14
; %bb.13:                               ;   in Loop: Header=BB32_6 Depth=1
	ds_read2st64_b64 v[5:8], v13 offset1:1
	ds_read2st64_b64 v[9:12], v13 offset0:2 offset1:3
	s_waitcnt lgkmcnt(0)
	v_add_f32_e32 v0, v9, v7
	v_add_f32_e32 v7, v10, v8
	;; [unrolled: 1-line block ×6, first 2 shown]
	ds_write_b64 v13, v[5:6]
.LBB32_14:                              ;   in Loop: Header=BB32_6 Depth=1
	s_or_b64 exec, exec, s[10:11]
	s_waitcnt lgkmcnt(0)
	s_barrier
	s_and_saveexec_b64 s[10:11], s[4:5]
	s_cbranch_execz .LBB32_16
; %bb.15:                               ;   in Loop: Header=BB32_6 Depth=1
	ds_read2_b64 v[5:8], v13 offset1:16
	ds_read2_b64 v[9:12], v13 offset0:32 offset1:48
	s_waitcnt lgkmcnt(0)
	v_add_f32_e32 v0, v9, v7
	v_add_f32_e32 v7, v10, v8
	v_add_f32_e32 v0, v11, v0
	v_add_f32_e32 v7, v12, v7
	v_add_f32_e32 v5, v0, v5
	v_add_f32_e32 v6, v7, v6
	ds_write_b64 v13, v[5:6]
.LBB32_16:                              ;   in Loop: Header=BB32_6 Depth=1
	s_or_b64 exec, exec, s[10:11]
	s_waitcnt lgkmcnt(0)
	s_barrier
	s_and_saveexec_b64 s[10:11], s[6:7]
	s_cbranch_execz .LBB32_18
; %bb.17:                               ;   in Loop: Header=BB32_6 Depth=1
	ds_read2_b64 v[5:8], v13 offset1:4
	ds_read2_b64 v[9:12], v13 offset0:8 offset1:12
	s_waitcnt lgkmcnt(0)
	v_add_f32_e32 v0, v9, v7
	v_add_f32_e32 v7, v10, v8
	;; [unrolled: 1-line block ×6, first 2 shown]
	ds_write_b64 v13, v[5:6]
.LBB32_18:                              ;   in Loop: Header=BB32_6 Depth=1
	s_or_b64 exec, exec, s[10:11]
	s_waitcnt lgkmcnt(0)
	s_barrier
	s_and_saveexec_b64 s[10:11], s[8:9]
	s_cbranch_execz .LBB32_20
; %bb.19:                               ;   in Loop: Header=BB32_6 Depth=1
	ds_read_b128 v[5:8], v16 offset:16
	ds_read_b64 v[9:10], v16 offset:8
	ds_read_b64 v[11:12], v13
	s_waitcnt lgkmcnt(1)
	v_add_f32_e32 v0, v5, v9
	v_add_f32_e32 v5, v6, v10
	v_add_f32_e32 v0, v7, v0
	v_add_f32_e32 v6, v8, v5
	s_waitcnt lgkmcnt(0)
	v_add_f32_e32 v5, v0, v11
	v_add_f32_e32 v6, v6, v12
	ds_write_b64 v13, v[5:6]
.LBB32_20:                              ;   in Loop: Header=BB32_6 Depth=1
	s_or_b64 exec, exec, s[10:11]
	s_waitcnt lgkmcnt(0)
	s_barrier
	s_and_saveexec_b64 s[10:11], s[8:9]
	s_cbranch_execz .LBB32_5
; %bb.21:                               ;   in Loop: Header=BB32_6 Depth=1
	ds_read_b64 v[5:6], v16
	s_mov_b64 s[36:37], exec
	v_bfrev_b32_e32 v0, 1
	s_waitcnt lgkmcnt(0)
	v_mul_f32_e64 v7, v6, -v2
	v_fmac_f32_e32 v7, v1, v5
.LBB32_22:                              ;   Parent Loop BB32_6 Depth=1
                                        ; =>  This Inner Loop Header: Depth=2
	s_ff1_i32_b64 s38, s[36:37]
	v_readlane_b32 s40, v7, s38
	s_lshl_b64 s[38:39], 1, s38
	s_andn2_b64 s[36:37], s[36:37], s[38:39]
	s_cmp_lg_u64 s[36:37], 0
	v_add_f32_e32 v0, s40, v0
	s_cbranch_scc1 .LBB32_22
; %bb.23:                               ;   in Loop: Header=BB32_6 Depth=1
	v_mbcnt_lo_u32_b32 v7, exec_lo, 0
	s_add_u32 s34, s28, s34
	v_mbcnt_hi_u32_b32 v7, exec_hi, v7
	s_addc_u32 s35, s29, s35
	v_cmp_eq_u32_e32 vcc, 0, v7
	s_and_saveexec_b64 s[36:37], vcc
	s_xor_b64 s[36:37], exec, s[36:37]
	s_cbranch_execz .LBB32_27
; %bb.24:                               ;   in Loop: Header=BB32_6 Depth=1
	global_load_dword v8, v16, s[34:35]
	s_mov_b64 s[38:39], 0
.LBB32_25:                              ;   Parent Loop BB32_6 Depth=1
                                        ; =>  This Inner Loop Header: Depth=2
	s_waitcnt vmcnt(0)
	v_add_f32_e32 v7, v8, v0
	global_atomic_cmpswap v7, v16, v[7:8], s[34:35] glc
	s_waitcnt vmcnt(0)
	v_cmp_eq_u32_e32 vcc, v7, v8
	s_or_b64 s[38:39], vcc, s[38:39]
	v_mov_b32_e32 v8, v7
	s_andn2_b64 exec, exec, s[38:39]
	s_cbranch_execnz .LBB32_25
; %bb.26:                               ;   in Loop: Header=BB32_6 Depth=1
	s_or_b64 exec, exec, s[38:39]
.LBB32_27:                              ;   in Loop: Header=BB32_6 Depth=1
	s_or_b64 exec, exec, s[36:37]
	v_mul_f32_e32 v6, v1, v6
	s_mov_b64 s[36:37], exec
	v_fmac_f32_e32 v6, v2, v5
	v_bfrev_b32_e32 v0, 1
.LBB32_28:                              ;   Parent Loop BB32_6 Depth=1
                                        ; =>  This Inner Loop Header: Depth=2
	s_ff1_i32_b64 s38, s[36:37]
	v_readlane_b32 s40, v6, s38
	s_lshl_b64 s[38:39], 1, s38
	s_andn2_b64 s[36:37], s[36:37], s[38:39]
	s_cmp_lg_u64 s[36:37], 0
	v_add_f32_e32 v0, s40, v0
	s_cbranch_scc1 .LBB32_28
; %bb.29:                               ;   in Loop: Header=BB32_6 Depth=1
	v_mbcnt_lo_u32_b32 v5, exec_lo, 0
	v_mbcnt_hi_u32_b32 v5, exec_hi, v5
	v_cmp_eq_u32_e32 vcc, 0, v5
	s_and_saveexec_b64 s[36:37], vcc
	s_xor_b64 s[36:37], exec, s[36:37]
	s_cbranch_execz .LBB32_5
; %bb.30:                               ;   in Loop: Header=BB32_6 Depth=1
	global_load_dword v6, v16, s[34:35] offset:4
	s_mov_b64 s[36:37], 0
.LBB32_31:                              ;   Parent Loop BB32_6 Depth=1
                                        ; =>  This Inner Loop Header: Depth=2
	s_waitcnt vmcnt(0)
	v_add_f32_e32 v5, v6, v0
	global_atomic_cmpswap v5, v16, v[5:6], s[34:35] offset:4 glc
	s_waitcnt vmcnt(0)
	v_cmp_eq_u32_e32 vcc, v5, v6
	s_or_b64 s[36:37], vcc, s[36:37]
	v_mov_b32_e32 v6, v5
	s_andn2_b64 exec, exec, s[36:37]
	s_cbranch_execnz .LBB32_31
; %bb.32:                               ;   in Loop: Header=BB32_6 Depth=1
	s_or_b64 exec, exec, s[36:37]
	s_branch .LBB32_5
.LBB32_33:
	s_lshl_b64 s[0:1], s[20:21], 3
	s_add_u32 s0, s12, s0
	s_addc_u32 s1, s13, s1
	s_lshl_b64 s[2:3], s[22:23], 3
	s_add_u32 s2, s12, s2
	s_addc_u32 s3, s13, s3
	s_load_dwordx2 s[6:7], s[0:1], 0x0
	s_load_dwordx2 s[4:5], s[2:3], 0x0
	s_waitcnt lgkmcnt(0)
	v_mov_b32_e32 v0, s7
	s_sub_u32 s4, s4, s24
	v_add_co_u32_e32 v3, vcc, s6, v14
	s_subb_u32 s5, s5, 0
	v_addc_co_u32_e32 v4, vcc, v0, v15, vcc
	v_cmp_gt_i64_e32 vcc, s[4:5], v[3:4]
	s_and_b64 exec, exec, vcc
	s_cbranch_execz .LBB32_45
; %bb.34:
	s_add_u32 s6, s22, -1
	s_addc_u32 s7, s23, -1
	v_mov_b32_e32 v5, s6
	s_add_u32 s0, s22, -2
	v_mov_b32_e32 v6, s7
	s_addc_u32 s1, s23, -1
	v_cmp_lt_i64_e32 vcc, s[20:21], v[5:6]
	s_cmp_lg_u64 s[20:21], s[0:1]
	s_cselect_b64 s[0:1], -1, 0
	s_and_b64 s[0:1], vcc, s[0:1]
	v_cndmask_b32_e64 v0, 0, 1, s[0:1]
	s_mov_b64 s[8:9], 0
	v_cmp_ne_u32_e64 s[0:1], 1, v0
	v_mov_b32_e32 v0, s13
	v_mov_b32_e32 v11, s15
	s_branch .LBB32_36
.LBB32_35:                              ;   in Loop: Header=BB32_36 Depth=1
	s_or_b64 exec, exec, s[2:3]
	v_add_co_u32_e32 v3, vcc, 0x100, v3
	v_addc_co_u32_e32 v4, vcc, 0, v4, vcc
	v_cmp_le_i64_e32 vcc, s[4:5], v[3:4]
	s_or_b64 s[8:9], vcc, s[8:9]
	s_andn2_b64 exec, exec, s[8:9]
	s_cbranch_execz .LBB32_45
.LBB32_36:                              ; =>This Loop Header: Depth=1
                                        ;     Child Loop BB32_38 Depth 2
                                        ;     Child Loop BB32_42 Depth 2
	;; [unrolled: 1-line block ×3, first 2 shown]
	v_mov_b32_e32 v5, s20
	v_mov_b32_e32 v8, s7
	s_and_b64 vcc, exec, s[0:1]
	v_mov_b32_e32 v6, s21
	v_mov_b32_e32 v7, s6
	s_cbranch_vccnz .LBB32_40
; %bb.37:                               ;   in Loop: Header=BB32_36 Depth=1
	v_mov_b32_e32 v5, s20
	v_mov_b32_e32 v8, s7
	s_mov_b64 s[10:11], 0
	v_mov_b32_e32 v6, s21
	v_mov_b32_e32 v7, s6
.LBB32_38:                              ;   Parent Loop BB32_36 Depth=1
                                        ; =>  This Inner Loop Header: Depth=2
	v_add_co_u32_e32 v9, vcc, v7, v5
	v_addc_co_u32_e32 v10, vcc, v8, v6, vcc
	v_lshrrev_b32_e32 v12, 31, v10
	v_add_co_u32_e32 v9, vcc, v9, v12
	v_addc_co_u32_e32 v10, vcc, 0, v10, vcc
	v_ashrrev_i64 v[9:10], 1, v[9:10]
	v_mov_b32_e32 v14, s13
	v_lshlrev_b64 v[12:13], 3, v[9:10]
	v_add_co_u32_e32 v12, vcc, s12, v12
	v_addc_co_u32_e32 v13, vcc, v14, v13, vcc
	global_load_dwordx2 v[12:13], v[12:13], off
	s_waitcnt vmcnt(0)
	v_subrev_co_u32_e32 v12, vcc, s24, v12
	v_subbrev_co_u32_e32 v13, vcc, 0, v13, vcc
	v_cmp_lt_i64_e32 vcc, v[3:4], v[12:13]
	v_cndmask_b32_e32 v7, v7, v9, vcc
	v_cndmask_b32_e32 v8, v8, v10, vcc
	;; [unrolled: 1-line block ×3, first 2 shown]
	v_add_co_u32_e64 v9, s[2:3], -1, v7
	v_cndmask_b32_e32 v6, v10, v6, vcc
	v_addc_co_u32_e64 v10, s[2:3], -1, v8, s[2:3]
	v_cmp_ge_i64_e32 vcc, v[5:6], v[7:8]
	v_cmp_eq_u64_e64 s[2:3], v[5:6], v[9:10]
	s_or_b64 s[2:3], vcc, s[2:3]
	s_and_b64 s[2:3], exec, s[2:3]
	s_or_b64 s[10:11], s[2:3], s[10:11]
	s_andn2_b64 exec, exec, s[10:11]
	s_cbranch_execnz .LBB32_38
; %bb.39:                               ;   in Loop: Header=BB32_36 Depth=1
	s_or_b64 exec, exec, s[10:11]
.LBB32_40:                              ;   in Loop: Header=BB32_36 Depth=1
	v_lshlrev_b64 v[9:10], 3, v[7:8]
	v_add_co_u32_e32 v9, vcc, s12, v9
	v_addc_co_u32_e32 v10, vcc, v0, v10, vcc
	global_load_dwordx2 v[12:13], v[9:10], off
	v_lshlrev_b64 v[9:10], 3, v[3:4]
	v_add_co_u32_e32 v14, vcc, s14, v9
	v_addc_co_u32_e32 v15, vcc, v11, v10, vcc
	global_load_dwordx2 v[14:15], v[14:15], off
	s_waitcnt vmcnt(1)
	v_subrev_co_u32_e32 v12, vcc, s24, v12
	v_subbrev_co_u32_e32 v13, vcc, 0, v13, vcc
	v_cmp_lt_i64_e32 vcc, v[3:4], v[12:13]
	v_cndmask_b32_e32 v6, v8, v6, vcc
	v_cndmask_b32_e32 v5, v7, v5, vcc
	s_waitcnt vmcnt(0)
	v_subrev_co_u32_e32 v7, vcc, s24, v14
	v_subbrev_co_u32_e32 v8, vcc, 0, v15, vcc
	v_cmp_ne_u64_e32 vcc, v[7:8], v[5:6]
	s_and_saveexec_b64 s[2:3], vcc
	s_cbranch_execz .LBB32_35
; %bb.41:                               ;   in Loop: Header=BB32_36 Depth=1
	v_lshlrev_b64 v[12:13], 3, v[7:8]
	v_mov_b32_e32 v8, s17
	v_add_co_u32_e32 v7, vcc, s16, v9
	v_addc_co_u32_e32 v8, vcc, v8, v10, vcc
	v_lshlrev_b64 v[5:6], 3, v[5:6]
	global_load_dwordx2 v[14:15], v[7:8], off
	v_mov_b32_e32 v7, s19
	v_add_co_u32_e32 v5, vcc, s18, v5
	v_addc_co_u32_e32 v6, vcc, v7, v6, vcc
	v_mov_b32_e32 v16, s29
	global_load_dwordx2 v[7:8], v[5:6], off
	v_add_co_u32_e32 v5, vcc, s28, v12
	v_addc_co_u32_e32 v6, vcc, v16, v13, vcc
	global_load_dword v10, v[5:6], off
	s_mov_b64 s[10:11], 0
	s_waitcnt vmcnt(2)
	v_cndmask_b32_e64 v9, v15, -v15, s[26:27]
	v_mul_f32_e32 v13, v1, v9
	v_mul_f32_e64 v12, v9, -v2
	v_fmac_f32_e32 v13, v2, v14
	v_fmac_f32_e32 v12, v1, v14
	s_waitcnt vmcnt(1)
	v_mul_f32_e64 v14, v8, -v13
	v_fmac_f32_e32 v14, v12, v7
.LBB32_42:                              ;   Parent Loop BB32_36 Depth=1
                                        ; =>  This Inner Loop Header: Depth=2
	s_waitcnt vmcnt(0)
	v_add_f32_e32 v9, v10, v14
	global_atomic_cmpswap v9, v[5:6], v[9:10], off glc
	s_waitcnt vmcnt(0)
	v_cmp_eq_u32_e32 vcc, v9, v10
	s_or_b64 s[10:11], vcc, s[10:11]
	v_mov_b32_e32 v10, v9
	s_andn2_b64 exec, exec, s[10:11]
	s_cbranch_execnz .LBB32_42
; %bb.43:                               ;   in Loop: Header=BB32_36 Depth=1
	s_or_b64 exec, exec, s[10:11]
	global_load_dword v9, v[5:6], off offset:4
	v_mul_f32_e32 v10, v8, v12
	v_fmac_f32_e32 v10, v13, v7
	s_mov_b64 s[10:11], 0
.LBB32_44:                              ;   Parent Loop BB32_36 Depth=1
                                        ; =>  This Inner Loop Header: Depth=2
	s_waitcnt vmcnt(0)
	v_add_f32_e32 v8, v9, v10
	global_atomic_cmpswap v7, v[5:6], v[8:9], off offset:4 glc
	s_waitcnt vmcnt(0)
	v_cmp_eq_u32_e32 vcc, v7, v9
	s_or_b64 s[10:11], vcc, s[10:11]
	v_mov_b32_e32 v9, v7
	s_andn2_b64 exec, exec, s[10:11]
	s_cbranch_execnz .LBB32_44
	s_branch .LBB32_35
.LBB32_45:
	s_endpgm
	.section	.rodata,"a",@progbits
	.p2align	6, 0x0
	.amdhsa_kernel _ZL33csrmvn_symm_large_adaptive_kernelIll21rocsparse_complex_numIfES1_S1_S1_EvbT_PKS2_N9rocsparse24const_host_device_scalarIT4_EES4_PKT0_PKT1_PKT2_S8_PT3_21rocsparse_index_base_b
		.amdhsa_group_segment_fixed_size 8192
		.amdhsa_private_segment_fixed_size 0
		.amdhsa_kernarg_size 88
		.amdhsa_user_sgpr_count 6
		.amdhsa_user_sgpr_private_segment_buffer 1
		.amdhsa_user_sgpr_dispatch_ptr 0
		.amdhsa_user_sgpr_queue_ptr 0
		.amdhsa_user_sgpr_kernarg_segment_ptr 1
		.amdhsa_user_sgpr_dispatch_id 0
		.amdhsa_user_sgpr_flat_scratch_init 0
		.amdhsa_user_sgpr_private_segment_size 0
		.amdhsa_uses_dynamic_stack 0
		.amdhsa_system_sgpr_private_segment_wavefront_offset 0
		.amdhsa_system_sgpr_workgroup_id_x 1
		.amdhsa_system_sgpr_workgroup_id_y 0
		.amdhsa_system_sgpr_workgroup_id_z 0
		.amdhsa_system_sgpr_workgroup_info 0
		.amdhsa_system_vgpr_workitem_id 0
		.amdhsa_next_free_vgpr 29
		.amdhsa_next_free_sgpr 61
		.amdhsa_reserve_vcc 1
		.amdhsa_reserve_flat_scratch 0
		.amdhsa_float_round_mode_32 0
		.amdhsa_float_round_mode_16_64 0
		.amdhsa_float_denorm_mode_32 3
		.amdhsa_float_denorm_mode_16_64 3
		.amdhsa_dx10_clamp 1
		.amdhsa_ieee_mode 1
		.amdhsa_fp16_overflow 0
		.amdhsa_exception_fp_ieee_invalid_op 0
		.amdhsa_exception_fp_denorm_src 0
		.amdhsa_exception_fp_ieee_div_zero 0
		.amdhsa_exception_fp_ieee_overflow 0
		.amdhsa_exception_fp_ieee_underflow 0
		.amdhsa_exception_fp_ieee_inexact 0
		.amdhsa_exception_int_div_zero 0
	.end_amdhsa_kernel
	.section	.text._ZL33csrmvn_symm_large_adaptive_kernelIll21rocsparse_complex_numIfES1_S1_S1_EvbT_PKS2_N9rocsparse24const_host_device_scalarIT4_EES4_PKT0_PKT1_PKT2_S8_PT3_21rocsparse_index_base_b,"axG",@progbits,_ZL33csrmvn_symm_large_adaptive_kernelIll21rocsparse_complex_numIfES1_S1_S1_EvbT_PKS2_N9rocsparse24const_host_device_scalarIT4_EES4_PKT0_PKT1_PKT2_S8_PT3_21rocsparse_index_base_b,comdat
.Lfunc_end32:
	.size	_ZL33csrmvn_symm_large_adaptive_kernelIll21rocsparse_complex_numIfES1_S1_S1_EvbT_PKS2_N9rocsparse24const_host_device_scalarIT4_EES4_PKT0_PKT1_PKT2_S8_PT3_21rocsparse_index_base_b, .Lfunc_end32-_ZL33csrmvn_symm_large_adaptive_kernelIll21rocsparse_complex_numIfES1_S1_S1_EvbT_PKS2_N9rocsparse24const_host_device_scalarIT4_EES4_PKT0_PKT1_PKT2_S8_PT3_21rocsparse_index_base_b
                                        ; -- End function
	.set _ZL33csrmvn_symm_large_adaptive_kernelIll21rocsparse_complex_numIfES1_S1_S1_EvbT_PKS2_N9rocsparse24const_host_device_scalarIT4_EES4_PKT0_PKT1_PKT2_S8_PT3_21rocsparse_index_base_b.num_vgpr, 21
	.set _ZL33csrmvn_symm_large_adaptive_kernelIll21rocsparse_complex_numIfES1_S1_S1_EvbT_PKS2_N9rocsparse24const_host_device_scalarIT4_EES4_PKT0_PKT1_PKT2_S8_PT3_21rocsparse_index_base_b.num_agpr, 0
	.set _ZL33csrmvn_symm_large_adaptive_kernelIll21rocsparse_complex_numIfES1_S1_S1_EvbT_PKS2_N9rocsparse24const_host_device_scalarIT4_EES4_PKT0_PKT1_PKT2_S8_PT3_21rocsparse_index_base_b.numbered_sgpr, 48
	.set _ZL33csrmvn_symm_large_adaptive_kernelIll21rocsparse_complex_numIfES1_S1_S1_EvbT_PKS2_N9rocsparse24const_host_device_scalarIT4_EES4_PKT0_PKT1_PKT2_S8_PT3_21rocsparse_index_base_b.num_named_barrier, 0
	.set _ZL33csrmvn_symm_large_adaptive_kernelIll21rocsparse_complex_numIfES1_S1_S1_EvbT_PKS2_N9rocsparse24const_host_device_scalarIT4_EES4_PKT0_PKT1_PKT2_S8_PT3_21rocsparse_index_base_b.private_seg_size, 0
	.set _ZL33csrmvn_symm_large_adaptive_kernelIll21rocsparse_complex_numIfES1_S1_S1_EvbT_PKS2_N9rocsparse24const_host_device_scalarIT4_EES4_PKT0_PKT1_PKT2_S8_PT3_21rocsparse_index_base_b.uses_vcc, 1
	.set _ZL33csrmvn_symm_large_adaptive_kernelIll21rocsparse_complex_numIfES1_S1_S1_EvbT_PKS2_N9rocsparse24const_host_device_scalarIT4_EES4_PKT0_PKT1_PKT2_S8_PT3_21rocsparse_index_base_b.uses_flat_scratch, 0
	.set _ZL33csrmvn_symm_large_adaptive_kernelIll21rocsparse_complex_numIfES1_S1_S1_EvbT_PKS2_N9rocsparse24const_host_device_scalarIT4_EES4_PKT0_PKT1_PKT2_S8_PT3_21rocsparse_index_base_b.has_dyn_sized_stack, 0
	.set _ZL33csrmvn_symm_large_adaptive_kernelIll21rocsparse_complex_numIfES1_S1_S1_EvbT_PKS2_N9rocsparse24const_host_device_scalarIT4_EES4_PKT0_PKT1_PKT2_S8_PT3_21rocsparse_index_base_b.has_recursion, 0
	.set _ZL33csrmvn_symm_large_adaptive_kernelIll21rocsparse_complex_numIfES1_S1_S1_EvbT_PKS2_N9rocsparse24const_host_device_scalarIT4_EES4_PKT0_PKT1_PKT2_S8_PT3_21rocsparse_index_base_b.has_indirect_call, 0
	.section	.AMDGPU.csdata,"",@progbits
; Kernel info:
; codeLenInByte = 2080
; TotalNumSgprs: 52
; NumVgprs: 21
; ScratchSize: 0
; MemoryBound: 0
; FloatMode: 240
; IeeeMode: 1
; LDSByteSize: 8192 bytes/workgroup (compile time only)
; SGPRBlocks: 8
; VGPRBlocks: 7
; NumSGPRsForWavesPerEU: 65
; NumVGPRsForWavesPerEU: 29
; Occupancy: 8
; WaveLimiterHint : 1
; COMPUTE_PGM_RSRC2:SCRATCH_EN: 0
; COMPUTE_PGM_RSRC2:USER_SGPR: 6
; COMPUTE_PGM_RSRC2:TRAP_HANDLER: 0
; COMPUTE_PGM_RSRC2:TGID_X_EN: 1
; COMPUTE_PGM_RSRC2:TGID_Y_EN: 0
; COMPUTE_PGM_RSRC2:TGID_Z_EN: 0
; COMPUTE_PGM_RSRC2:TIDIG_COMP_CNT: 0
	.section	.text._ZN9rocsparseL22csrmvn_adaptive_kernelIii21rocsparse_complex_numIdES2_S2_S2_EEvbT_PKS3_PjPKT0_NS_24const_host_device_scalarIT4_EES5_S9_PKT1_PKT2_SC_PT3_21rocsparse_index_base_b,"axG",@progbits,_ZN9rocsparseL22csrmvn_adaptive_kernelIii21rocsparse_complex_numIdES2_S2_S2_EEvbT_PKS3_PjPKT0_NS_24const_host_device_scalarIT4_EES5_S9_PKT1_PKT2_SC_PT3_21rocsparse_index_base_b,comdat
	.globl	_ZN9rocsparseL22csrmvn_adaptive_kernelIii21rocsparse_complex_numIdES2_S2_S2_EEvbT_PKS3_PjPKT0_NS_24const_host_device_scalarIT4_EES5_S9_PKT1_PKT2_SC_PT3_21rocsparse_index_base_b ; -- Begin function _ZN9rocsparseL22csrmvn_adaptive_kernelIii21rocsparse_complex_numIdES2_S2_S2_EEvbT_PKS3_PjPKT0_NS_24const_host_device_scalarIT4_EES5_S9_PKT1_PKT2_SC_PT3_21rocsparse_index_base_b
	.p2align	8
	.type	_ZN9rocsparseL22csrmvn_adaptive_kernelIii21rocsparse_complex_numIdES2_S2_S2_EEvbT_PKS3_PjPKT0_NS_24const_host_device_scalarIT4_EES5_S9_PKT1_PKT2_SC_PT3_21rocsparse_index_base_b,@function
_ZN9rocsparseL22csrmvn_adaptive_kernelIii21rocsparse_complex_numIdES2_S2_S2_EEvbT_PKS3_PjPKT0_NS_24const_host_device_scalarIT4_EES5_S9_PKT1_PKT2_SC_PT3_21rocsparse_index_base_b: ; @_ZN9rocsparseL22csrmvn_adaptive_kernelIii21rocsparse_complex_numIdES2_S2_S2_EEvbT_PKS3_PjPKT0_NS_24const_host_device_scalarIT4_EES5_S9_PKT1_PKT2_SC_PT3_21rocsparse_index_base_b
; %bb.0:
	s_load_dwordx2 s[0:1], s[4:5], 0x20
	s_load_dwordx2 s[42:43], s[4:5], 0x68
	s_add_u32 s7, s4, 32
	s_addc_u32 s8, s5, 0
	s_add_u32 s9, s4, 0x50
	s_addc_u32 s10, s5, 0
	s_waitcnt lgkmcnt(0)
	s_bitcmp1_b32 s43, 0
	s_cselect_b32 s1, s8, s1
	s_cselect_b32 s0, s7, s0
	v_mov_b32_e32 v1, s0
	v_mov_b32_e32 v2, s1
	flat_load_dwordx4 v[5:8], v[1:2]
	s_load_dwordx2 s[2:3], s[4:5], 0x50
	s_waitcnt lgkmcnt(0)
	s_cselect_b32 s0, s10, s3
	s_cselect_b32 s1, s9, s2
	v_mov_b32_e32 v1, s1
	v_mov_b32_e32 v2, s0
	flat_load_dwordx4 v[1:4], v[1:2]
	s_waitcnt vmcnt(0)
	v_cmp_eq_f64_e32 vcc, 0, v[5:6]
	v_cmp_eq_f64_e64 s[0:1], 0, v[7:8]
	s_and_b64 s[8:9], vcc, s[0:1]
	s_mov_b64 s[0:1], -1
	s_and_saveexec_b64 s[2:3], s[8:9]
	s_cbranch_execz .LBB33_2
; %bb.1:
	s_waitcnt lgkmcnt(0)
	v_cmp_neq_f64_e32 vcc, 1.0, v[1:2]
	v_cmp_neq_f64_e64 s[0:1], 0, v[3:4]
	s_or_b64 s[0:1], vcc, s[0:1]
	s_orn2_b64 s[0:1], s[0:1], exec
.LBB33_2:
	s_or_b64 exec, exec, s[2:3]
	s_and_saveexec_b64 s[2:3], s[0:1]
	s_cbranch_execz .LBB33_116
; %bb.3:
	s_load_dwordx4 s[36:39], s[4:5], 0x0
	s_load_dwordx2 s[2:3], s[4:5], 0x18
	s_waitcnt lgkmcnt(0)
	s_bitcmp1_b32 s36, 0
	s_cselect_b64 s[0:1], -1, 0
	s_ashr_i32 s7, s6, 31
	s_lshl_b64 s[46:47], s[6:7], 2
	s_add_u32 s8, s38, s46
	s_addc_u32 s9, s39, s47
	s_load_dwordx2 s[38:39], s[8:9], 0x0
	s_load_dwordx2 s[34:35], s[4:5], 0x60
	s_load_dwordx8 s[24:31], s[4:5], 0x30
	s_waitcnt lgkmcnt(0)
	s_sub_i32 s7, s39, s38
	s_add_u32 s2, s2, s46
	s_mov_b32 s44, s38
	s_addc_u32 s3, s3, s47
	s_ashr_i32 s45, s38, 31
	s_load_dword s33, s[2:3], 0x0
	s_lshl_b64 s[2:3], s[44:45], 2
	s_add_u32 s40, s24, s2
	s_addc_u32 s41, s25, s3
	s_load_dword s36, s[40:41], 0x0
	s_cmp_lt_i32 s7, 2
	s_mov_b64 s[2:3], -1
	s_cbranch_scc0 .LBB33_72
; %bb.4:
	s_cmp_lg_u32 s7, 1
	s_cselect_b64 s[2:3], -1, 0
	s_waitcnt lgkmcnt(0)
	s_cmp_lg_u32 s33, 0
	s_cselect_b64 s[8:9], -1, 0
	s_or_b64 s[2:3], s[2:3], s[8:9]
	s_mov_b64 s[20:21], -1
	s_and_b64 vcc, exec, s[2:3]
	v_cmp_gt_u32_e64 s[2:3], 64, v0
	v_cmp_gt_u32_e64 s[8:9], 32, v0
	;; [unrolled: 1-line block ×6, first 2 shown]
	v_cmp_eq_u32_e64 s[18:19], 0, v0
	s_cbranch_vccnz .LBB33_32
; %bb.5:
	v_cmp_neq_f64_e32 vcc, 0, v[1:2]
	v_cmp_neq_f64_e64 s[22:23], 0, v[3:4]
	s_movk_i32 s7, 0x80
	v_cmp_gt_u32_e64 s[20:21], s7, v0
	v_subrev_u32_e32 v19, s42, v0
	v_lshlrev_b32_e32 v20, 4, v0
	v_mov_b32_e32 v21, 0
	s_mov_b32 s50, s38
	s_or_b64 s[48:49], vcc, s[22:23]
	s_add_u32 s7, s28, 8
	s_addc_u32 s43, s29, 0
	s_branch .LBB33_8
.LBB33_6:                               ;   in Loop: Header=BB33_8 Depth=1
	s_or_b64 exec, exec, s[52:53]
	s_lshl_b64 s[52:53], s[50:51], 4
	s_add_u32 s52, s34, s52
	s_addc_u32 s53, s35, s53
	s_waitcnt lgkmcnt(0)
	global_store_dwordx4 v21, v[9:12], s[52:53]
.LBB33_7:                               ;   in Loop: Header=BB33_8 Depth=1
	s_or_b64 exec, exec, s[22:23]
	s_add_i32 s50, s50, 1
	s_cmp_ge_i32 s50, s39
	s_cbranch_scc1 .LBB33_31
.LBB33_8:                               ; =>This Loop Header: Depth=1
                                        ;     Child Loop BB33_10 Depth 2
	s_ashr_i32 s51, s50, 31
	s_lshl_b64 s[22:23], s[50:51], 2
	s_add_u32 s22, s24, s22
	s_addc_u32 s23, s25, s23
	s_load_dwordx2 s[52:53], s[22:23], 0x0
	v_mov_b32_e32 v11, 0
	v_mov_b32_e32 v9, 0
	;; [unrolled: 1-line block ×4, first 2 shown]
	s_waitcnt lgkmcnt(0)
	s_sub_i32 s56, s53, s42
	v_add_u32_e32 v13, s52, v19
	v_cmp_gt_i32_e32 vcc, s56, v13
	s_and_saveexec_b64 s[52:53], vcc
	s_cbranch_execz .LBB33_12
; %bb.9:                                ;   in Loop: Header=BB33_8 Depth=1
	v_ashrrev_i32_e32 v14, 31, v13
	v_lshlrev_b64 v[9:10], 4, v[13:14]
	v_mov_b32_e32 v11, s43
	v_add_co_u32_e32 v15, vcc, s7, v9
	v_addc_co_u32_e32 v16, vcc, v11, v10, vcc
	v_lshlrev_b64 v[9:10], 2, v[13:14]
	v_mov_b32_e32 v11, s27
	v_add_co_u32_e32 v17, vcc, s26, v9
	v_addc_co_u32_e32 v18, vcc, v11, v10, vcc
	v_mov_b32_e32 v11, 0
	v_mov_b32_e32 v12, 0
	;; [unrolled: 1-line block ×3, first 2 shown]
	s_mov_b64 s[54:55], 0
	v_mov_b32_e32 v10, v12
.LBB33_10:                              ;   Parent Loop BB33_8 Depth=1
                                        ; =>  This Inner Loop Header: Depth=2
	global_load_dword v14, v[17:18], off
	global_load_dwordx4 v[22:25], v[15:16], off offset:-8
	v_mov_b32_e32 v28, s31
	v_add_u32_e32 v13, 0x100, v13
	v_cmp_le_i32_e64 s[22:23], s56, v13
	s_or_b64 s[54:55], s[22:23], s[54:55]
	s_waitcnt vmcnt(1)
	v_subrev_u32_e32 v26, s42, v14
	v_ashrrev_i32_e32 v27, 31, v26
	v_lshlrev_b64 v[26:27], 4, v[26:27]
	s_waitcnt vmcnt(0)
	v_xor_b32_e32 v14, 0x80000000, v25
	v_add_co_u32_e32 v26, vcc, s30, v26
	v_addc_co_u32_e32 v27, vcc, v28, v27, vcc
	global_load_dwordx4 v[26:29], v[26:27], off
	v_cndmask_b32_e64 v25, v25, v14, s[0:1]
	v_mul_f64 v[30:31], v[24:25], -v[7:8]
	v_mul_f64 v[24:25], v[5:6], v[24:25]
	v_add_co_u32_e32 v15, vcc, 0x1000, v15
	v_addc_co_u32_e32 v16, vcc, 0, v16, vcc
	v_add_co_u32_e32 v17, vcc, 0x400, v17
	v_fma_f64 v[30:31], v[5:6], v[22:23], v[30:31]
	v_fma_f64 v[22:23], v[7:8], v[22:23], v[24:25]
	v_addc_co_u32_e32 v18, vcc, 0, v18, vcc
	s_waitcnt vmcnt(0)
	v_fma_f64 v[9:10], v[30:31], v[26:27], v[9:10]
	v_fma_f64 v[11:12], v[22:23], v[26:27], v[11:12]
	v_fma_f64 v[9:10], -v[22:23], v[28:29], v[9:10]
	v_fma_f64 v[11:12], v[30:31], v[28:29], v[11:12]
	s_andn2_b64 exec, exec, s[54:55]
	s_cbranch_execnz .LBB33_10
; %bb.11:                               ;   in Loop: Header=BB33_8 Depth=1
	s_or_b64 exec, exec, s[54:55]
.LBB33_12:                              ;   in Loop: Header=BB33_8 Depth=1
	s_or_b64 exec, exec, s[52:53]
	ds_write_b128 v20, v[9:12]
	s_waitcnt vmcnt(0) lgkmcnt(0)
	s_barrier
	s_and_saveexec_b64 s[22:23], s[20:21]
	s_cbranch_execz .LBB33_14
; %bb.13:                               ;   in Loop: Header=BB33_8 Depth=1
	ds_read_b128 v[9:12], v20 offset:2048
	ds_read_b128 v[13:16], v20
	s_waitcnt lgkmcnt(0)
	v_add_f64 v[9:10], v[9:10], v[13:14]
	v_add_f64 v[11:12], v[11:12], v[15:16]
	ds_write_b128 v20, v[9:12]
.LBB33_14:                              ;   in Loop: Header=BB33_8 Depth=1
	s_or_b64 exec, exec, s[22:23]
	s_waitcnt lgkmcnt(0)
	s_barrier
	s_and_saveexec_b64 s[22:23], s[2:3]
	s_cbranch_execz .LBB33_16
; %bb.15:                               ;   in Loop: Header=BB33_8 Depth=1
	ds_read_b128 v[9:12], v20 offset:1024
	ds_read_b128 v[13:16], v20
	s_waitcnt lgkmcnt(0)
	v_add_f64 v[9:10], v[9:10], v[13:14]
	v_add_f64 v[11:12], v[11:12], v[15:16]
	ds_write_b128 v20, v[9:12]
.LBB33_16:                              ;   in Loop: Header=BB33_8 Depth=1
	s_or_b64 exec, exec, s[22:23]
	s_waitcnt lgkmcnt(0)
	;; [unrolled: 13-line block ×6, first 2 shown]
	s_barrier
	s_and_saveexec_b64 s[22:23], s[16:17]
	s_cbranch_execz .LBB33_26
; %bb.25:                               ;   in Loop: Header=BB33_8 Depth=1
	ds_read_b128 v[9:12], v20
	ds_read_b128 v[13:16], v20 offset:32
	s_waitcnt lgkmcnt(0)
	v_add_f64 v[9:10], v[13:14], v[9:10]
	v_add_f64 v[11:12], v[15:16], v[11:12]
	ds_write_b128 v20, v[9:12]
.LBB33_26:                              ;   in Loop: Header=BB33_8 Depth=1
	s_or_b64 exec, exec, s[22:23]
	s_waitcnt lgkmcnt(0)
	s_barrier
	s_and_saveexec_b64 s[22:23], s[18:19]
	s_cbranch_execz .LBB33_28
; %bb.27:                               ;   in Loop: Header=BB33_8 Depth=1
	ds_read_b128 v[9:12], v21
	ds_read_b128 v[13:16], v21 offset:16
	s_waitcnt lgkmcnt(0)
	v_add_f64 v[9:10], v[13:14], v[9:10]
	v_add_f64 v[11:12], v[15:16], v[11:12]
	ds_write_b128 v21, v[9:12]
.LBB33_28:                              ;   in Loop: Header=BB33_8 Depth=1
	s_or_b64 exec, exec, s[22:23]
	s_waitcnt lgkmcnt(0)
	s_barrier
	s_and_saveexec_b64 s[22:23], s[18:19]
	s_cbranch_execz .LBB33_7
; %bb.29:                               ;   in Loop: Header=BB33_8 Depth=1
	ds_read_b128 v[9:12], v21
	s_and_saveexec_b64 s[52:53], s[48:49]
	s_cbranch_execz .LBB33_6
; %bb.30:                               ;   in Loop: Header=BB33_8 Depth=1
	s_lshl_b64 s[54:55], s[50:51], 4
	s_add_u32 s54, s34, s54
	s_addc_u32 s55, s35, s55
	global_load_dwordx4 v[13:16], v21, s[54:55]
	s_waitcnt vmcnt(0) lgkmcnt(0)
	v_fma_f64 v[9:10], v[1:2], v[13:14], v[9:10]
	v_fma_f64 v[11:12], v[3:4], v[13:14], v[11:12]
	v_fma_f64 v[9:10], -v[3:4], v[15:16], v[9:10]
	v_fma_f64 v[11:12], v[1:2], v[15:16], v[11:12]
	s_branch .LBB33_6
.LBB33_31:
	s_mov_b64 s[20:21], 0
.LBB33_32:
	s_and_b64 vcc, exec, s[20:21]
	s_cbranch_vccz .LBB33_71
; %bb.33:
	s_load_dwordx2 s[8:9], s[4:5], 0x10
	s_sub_i32 s6, s6, s33
	v_mov_b32_e32 v13, 0
	v_or_b32_e32 v14, s33, v0
	v_mov_b32_e32 v9, 0
	s_waitcnt lgkmcnt(0)
	s_add_u32 s4, s8, s46
	s_addc_u32 s5, s9, s47
	global_load_dword v19, v13, s[4:5]
	v_mov_b32_e32 v11, 0
	v_mov_b32_e32 v10, 0
	;; [unrolled: 1-line block ×3, first 2 shown]
	v_cmp_eq_u32_e32 vcc, 0, v14
	s_and_saveexec_b64 s[2:3], vcc
	s_cbranch_execz .LBB33_37
; %bb.34:
	s_lshl_b64 s[12:13], s[44:45], 4
	s_add_u32 s12, s34, s12
	s_addc_u32 s13, s35, s13
	global_load_dwordx4 v[11:14], v13, s[12:13]
	v_add_f64 v[9:10], v[1:2], -1.0
	s_mov_b64 s[10:11], exec
	v_mbcnt_lo_u32_b32 v17, s10, 0
	v_mbcnt_hi_u32_b32 v17, s11, v17
	v_cmp_eq_u32_e32 vcc, 0, v17
	s_waitcnt vmcnt(0) expcnt(0) lgkmcnt(0)
	v_mul_f64 v[15:16], v[13:14], -v[3:4]
	v_mul_f64 v[13:14], v[9:10], v[13:14]
	s_and_saveexec_b64 s[12:13], vcc
	s_cbranch_execz .LBB33_36
; %bb.35:
	s_ashr_i32 s7, s6, 31
	s_lshl_b64 s[14:15], s[6:7], 2
	s_add_u32 s14, s8, s14
	s_addc_u32 s15, s9, s15
	s_bcnt1_i32_b64 s7, s[10:11]
	s_and_b32 s7, s7, 1
	v_mov_b32_e32 v17, 0
	v_mov_b32_e32 v18, s7
	global_atomic_xor v17, v18, s[14:15]
.LBB33_36:
	s_or_b64 exec, exec, s[12:13]
	v_fma_f64 v[9:10], v[9:10], v[11:12], v[15:16]
	v_fma_f64 v[11:12], v[3:4], v[11:12], v[13:14]
.LBB33_37:
	s_or_b64 exec, exec, s[2:3]
	s_load_dword s3, s[40:41], 0x4
	s_mul_i32 s2, s33, 0xc00
	s_sub_i32 s7, s36, s42
	s_add_i32 s2, s7, s2
	v_add_u32_e32 v13, s2, v0
	s_waitcnt lgkmcnt(0)
	s_sub_i32 s3, s3, s42
	v_cmp_gt_i32_e32 vcc, s3, v13
	s_and_saveexec_b64 s[10:11], vcc
	s_cbranch_execz .LBB33_41
; %bb.38:
	v_ashrrev_i32_e32 v14, 31, v13
	v_lshlrev_b64 v[15:16], 4, v[13:14]
	v_mov_b32_e32 v17, s29
	v_add_co_u32_e32 v15, vcc, s28, v15
	v_addc_co_u32_e32 v16, vcc, v17, v16, vcc
	v_add_co_u32_e32 v15, vcc, 8, v15
	v_lshlrev_b64 v[17:18], 2, v[13:14]
	v_addc_co_u32_e32 v16, vcc, 0, v16, vcc
	s_addk_i32 s2, 0xc00
	v_mov_b32_e32 v14, s27
	v_add_co_u32_e32 v17, vcc, s26, v17
	s_min_i32 s7, s2, s3
	v_addc_co_u32_e32 v18, vcc, v14, v18, vcc
	s_mov_b64 s[12:13], 0
	v_mov_b32_e32 v14, s31
.LBB33_39:                              ; =>This Inner Loop Header: Depth=1
	global_load_dword v24, v[17:18], off
	global_load_dwordx4 v[20:23], v[15:16], off offset:-8
	v_add_u32_e32 v13, 0x100, v13
	v_cmp_le_i32_e64 s[2:3], s7, v13
	s_or_b64 s[12:13], s[2:3], s[12:13]
	s_waitcnt vmcnt(1)
	v_subrev_u32_e32 v24, s42, v24
	v_ashrrev_i32_e32 v25, 31, v24
	v_lshlrev_b64 v[24:25], 4, v[24:25]
	s_waitcnt vmcnt(0)
	v_xor_b32_e32 v28, 0x80000000, v23
	v_add_co_u32_e32 v24, vcc, s30, v24
	v_addc_co_u32_e32 v25, vcc, v14, v25, vcc
	global_load_dwordx4 v[24:27], v[24:25], off
	v_cndmask_b32_e64 v23, v23, v28, s[0:1]
	v_mul_f64 v[28:29], v[22:23], -v[7:8]
	v_mul_f64 v[22:23], v[5:6], v[22:23]
	v_add_co_u32_e32 v15, vcc, 0x1000, v15
	v_addc_co_u32_e32 v16, vcc, 0, v16, vcc
	v_add_co_u32_e32 v17, vcc, 0x400, v17
	v_fma_f64 v[28:29], v[5:6], v[20:21], v[28:29]
	v_fma_f64 v[20:21], v[7:8], v[20:21], v[22:23]
	v_addc_co_u32_e32 v18, vcc, 0, v18, vcc
	s_waitcnt vmcnt(0)
	v_fma_f64 v[9:10], v[28:29], v[24:25], v[9:10]
	v_fma_f64 v[11:12], v[20:21], v[24:25], v[11:12]
	v_fma_f64 v[9:10], -v[20:21], v[26:27], v[9:10]
	v_fma_f64 v[11:12], v[28:29], v[26:27], v[11:12]
	s_andn2_b64 exec, exec, s[12:13]
	s_cbranch_execnz .LBB33_39
; %bb.40:
	s_or_b64 exec, exec, s[12:13]
.LBB33_41:
	s_or_b64 exec, exec, s[10:11]
	s_movk_i32 s2, 0x80
	v_lshlrev_b32_e32 v13, 4, v0
	v_cmp_gt_u32_e32 vcc, s2, v0
	ds_write_b128 v13, v[9:12]
	s_waitcnt vmcnt(0) lgkmcnt(0)
	s_barrier
	s_and_saveexec_b64 s[2:3], vcc
	s_cbranch_execz .LBB33_43
; %bb.42:
	ds_read_b128 v[9:12], v13 offset:2048
	ds_read_b128 v[14:17], v13
	s_waitcnt lgkmcnt(0)
	v_add_f64 v[9:10], v[9:10], v[14:15]
	v_add_f64 v[11:12], v[11:12], v[16:17]
	ds_write_b128 v13, v[9:12]
.LBB33_43:
	s_or_b64 exec, exec, s[2:3]
	v_cmp_gt_u32_e32 vcc, 64, v0
	s_waitcnt lgkmcnt(0)
	s_barrier
	s_and_saveexec_b64 s[2:3], vcc
	s_cbranch_execz .LBB33_45
; %bb.44:
	ds_read_b128 v[9:12], v13 offset:1024
	ds_read_b128 v[14:17], v13
	s_waitcnt lgkmcnt(0)
	v_add_f64 v[9:10], v[9:10], v[14:15]
	v_add_f64 v[11:12], v[11:12], v[16:17]
	ds_write_b128 v13, v[9:12]
.LBB33_45:
	s_or_b64 exec, exec, s[2:3]
	v_cmp_gt_u32_e32 vcc, 32, v0
	s_waitcnt lgkmcnt(0)
	;; [unrolled: 14-line block ×6, first 2 shown]
	s_barrier
	s_and_saveexec_b64 s[2:3], vcc
	s_cbranch_execz .LBB33_55
; %bb.54:
	ds_read_b128 v[9:12], v13
	ds_read_b128 v[14:17], v13 offset:32
	s_waitcnt lgkmcnt(0)
	v_add_f64 v[9:10], v[14:15], v[9:10]
	v_add_f64 v[11:12], v[16:17], v[11:12]
	ds_write_b128 v13, v[9:12]
.LBB33_55:
	s_or_b64 exec, exec, s[2:3]
	v_cmp_eq_u32_e32 vcc, 0, v0
	s_waitcnt lgkmcnt(0)
	s_barrier
	s_and_saveexec_b64 s[2:3], vcc
	s_cbranch_execz .LBB33_57
; %bb.56:
	v_mov_b32_e32 v17, 0
	ds_read_b128 v[9:12], v17
	ds_read_b128 v[13:16], v17 offset:16
	s_waitcnt lgkmcnt(0)
	v_add_f64 v[9:10], v[13:14], v[9:10]
	v_add_f64 v[11:12], v[15:16], v[11:12]
	ds_write_b128 v17, v[9:12]
.LBB33_57:
	s_or_b64 exec, exec, s[2:3]
	s_waitcnt lgkmcnt(0)
	s_barrier
	s_and_saveexec_b64 s[2:3], vcc
	s_cbranch_execz .LBB33_70
; %bb.58:
	s_cmp_eq_u32 s33, 0
	s_cbranch_scc1 .LBB33_64
; %bb.59:
	s_ashr_i32 s7, s6, 31
	s_lshl_b64 s[6:7], s[6:7], 2
	s_add_u32 s6, s8, s6
	s_addc_u32 s7, s9, s7
	v_mov_b32_e32 v9, 0
	s_branch .LBB33_61
.LBB33_60:                              ;   in Loop: Header=BB33_61 Depth=1
	s_or_b64 exec, exec, s[8:9]
	s_waitcnt vmcnt(0)
	v_readfirstlane_b32 s8, v10
	v_cmp_eq_u32_e32 vcc, s8, v19
	s_cbranch_vccz .LBB33_63
.LBB33_61:                              ; =>This Inner Loop Header: Depth=1
	v_mbcnt_lo_u32_b32 v10, exec_lo, 0
	v_mbcnt_hi_u32_b32 v10, exec_hi, v10
	v_cmp_eq_u32_e32 vcc, 0, v10
                                        ; implicit-def: $vgpr10
	s_and_saveexec_b64 s[8:9], vcc
	s_cbranch_execz .LBB33_60
; %bb.62:                               ;   in Loop: Header=BB33_61 Depth=1
	global_load_dword v10, v9, s[6:7] glc
	s_branch .LBB33_60
.LBB33_63:
	v_mov_b32_e32 v9, 0
	global_load_ushort v10, v9, s[4:5]
	s_waitcnt vmcnt(0)
	v_xor_b32_e32 v10, 1, v10
	global_store_short v9, v10, s[4:5]
.LBB33_64:
	v_mov_b32_e32 v17, 0
	ds_read_b128 v[9:12], v17
	s_mov_b64 s[8:9], exec
	s_lshl_b64 s[4:5], s[44:45], 4
	v_mbcnt_lo_u32_b32 v13, s8, 0
	s_add_u32 s4, s34, s4
	v_mbcnt_hi_u32_b32 v13, s9, v13
	s_addc_u32 s5, s35, s5
	v_cmp_eq_u32_e32 vcc, 0, v13
	s_and_saveexec_b64 s[6:7], vcc
	s_cbranch_execz .LBB33_67
; %bb.65:
	global_load_dwordx2 v[15:16], v17, s[4:5]
	s_bcnt1_i32_b64 s8, s[8:9]
	v_cvt_f64_u32_e32 v[13:14], s8
	s_mov_b64 s[8:9], 0
	s_waitcnt lgkmcnt(0)
	v_mul_f64 v[9:10], v[9:10], v[13:14]
.LBB33_66:                              ; =>This Inner Loop Header: Depth=1
	s_waitcnt vmcnt(0)
	v_add_f64 v[13:14], v[15:16], v[9:10]
	global_atomic_cmpswap_x2 v[13:14], v17, v[13:16], s[4:5] glc
	s_waitcnt vmcnt(0)
	v_cmp_eq_u64_e32 vcc, v[13:14], v[15:16]
	v_mov_b32_e32 v16, v14
	s_or_b64 s[8:9], vcc, s[8:9]
	v_mov_b32_e32 v15, v13
	s_andn2_b64 exec, exec, s[8:9]
	s_cbranch_execnz .LBB33_66
.LBB33_67:
	s_or_b64 exec, exec, s[6:7]
	s_mov_b64 s[6:7], exec
	s_waitcnt lgkmcnt(0)
	v_mbcnt_lo_u32_b32 v9, s6, 0
	v_mbcnt_hi_u32_b32 v9, s7, v9
	v_cmp_eq_u32_e32 vcc, 0, v9
	s_and_b64 s[8:9], exec, vcc
	s_mov_b64 exec, s[8:9]
	s_cbranch_execz .LBB33_70
; %bb.68:
	v_mov_b32_e32 v15, 0
	global_load_dwordx2 v[13:14], v15, s[4:5] offset:8
	s_bcnt1_i32_b64 s6, s[6:7]
	v_cvt_f64_u32_e32 v[9:10], s6
	s_mov_b64 s[6:7], 0
	v_mul_f64 v[9:10], v[11:12], v[9:10]
.LBB33_69:                              ; =>This Inner Loop Header: Depth=1
	s_waitcnt vmcnt(0)
	v_add_f64 v[11:12], v[13:14], v[9:10]
	global_atomic_cmpswap_x2 v[11:12], v15, v[11:14], s[4:5] offset:8 glc
	s_waitcnt vmcnt(0)
	v_cmp_eq_u64_e32 vcc, v[11:12], v[13:14]
	v_mov_b32_e32 v14, v12
	s_or_b64 s[6:7], vcc, s[6:7]
	v_mov_b32_e32 v13, v11
	s_andn2_b64 exec, exec, s[6:7]
	s_cbranch_execnz .LBB33_69
.LBB33_70:
	s_or_b64 exec, exec, s[2:3]
.LBB33_71:
	s_mov_b64 s[2:3], 0
.LBB33_72:
	s_andn2_b64 vcc, exec, s[2:3]
	s_cbranch_vccnz .LBB33_116
; %bb.73:
	v_subrev_u32_e32 v9, s42, v0
	s_waitcnt lgkmcnt(0)
	v_add_u32_e32 v9, s36, v9
	v_add_u32_e32 v10, 0x300, v9
	v_cmp_le_i32_e32 vcc, s37, v10
	s_and_saveexec_b64 s[2:3], vcc
	s_xor_b64 s[2:3], exec, s[2:3]
	s_cbranch_execz .LBB33_78
; %bb.74:
	s_ashr_i32 s5, s39, 31
	s_mov_b32 s4, s39
	s_lshl_b64 s[4:5], s[4:5], 2
	s_add_u32 s4, s24, s4
	s_addc_u32 s5, s25, s5
	s_load_dword s4, s[4:5], 0x0
	s_waitcnt lgkmcnt(0)
	s_sub_i32 s8, s4, s42
	v_cmp_gt_i32_e32 vcc, s8, v9
	s_and_saveexec_b64 s[4:5], vcc
	s_cbranch_execz .LBB33_77
; %bb.75:
	v_lshlrev_b32_e32 v11, 4, v0
	s_mov_b64 s[6:7], 0
	v_mov_b32_e32 v12, s29
	v_mov_b32_e32 v13, s27
	;; [unrolled: 1-line block ×3, first 2 shown]
.LBB33_76:                              ; =>This Inner Loop Header: Depth=1
	v_ashrrev_i32_e32 v10, 31, v9
	v_lshlrev_b64 v[15:16], 2, v[9:10]
	v_add_co_u32_e32 v15, vcc, s26, v15
	v_addc_co_u32_e32 v16, vcc, v13, v16, vcc
	global_load_dword v19, v[15:16], off
	v_lshlrev_b64 v[15:16], 4, v[9:10]
	v_add_u32_e32 v9, 0x100, v9
	v_add_co_u32_e32 v15, vcc, s28, v15
	v_addc_co_u32_e32 v16, vcc, v12, v16, vcc
	global_load_dwordx4 v[15:18], v[15:16], off
	s_waitcnt vmcnt(1)
	v_subrev_u32_e32 v19, s42, v19
	v_ashrrev_i32_e32 v20, 31, v19
	v_lshlrev_b64 v[19:20], 4, v[19:20]
	v_add_co_u32_e32 v19, vcc, s30, v19
	v_addc_co_u32_e32 v20, vcc, v14, v20, vcc
	global_load_dwordx4 v[19:22], v[19:20], off
	s_waitcnt vmcnt(1)
	v_xor_b32_e32 v10, 0x80000000, v18
	v_cndmask_b32_e64 v18, v18, v10, s[0:1]
	v_mul_f64 v[23:24], v[5:6], v[17:18]
	v_mul_f64 v[17:18], v[17:18], -v[7:8]
	v_cmp_le_i32_e32 vcc, s8, v9
	s_or_b64 s[6:7], vcc, s[6:7]
	v_fma_f64 v[23:24], v[7:8], v[15:16], v[23:24]
	v_fma_f64 v[15:16], v[5:6], v[15:16], v[17:18]
	s_waitcnt vmcnt(0)
	v_mul_f64 v[17:18], v[21:22], -v[23:24]
	v_mul_f64 v[21:22], v[21:22], v[15:16]
	v_fma_f64 v[15:16], v[15:16], v[19:20], v[17:18]
	v_fma_f64 v[17:18], v[23:24], v[19:20], v[21:22]
	ds_write_b128 v11, v[15:18]
	v_add_u32_e32 v11, 0x1000, v11
	s_andn2_b64 exec, exec, s[6:7]
	s_cbranch_execnz .LBB33_76
.LBB33_77:
	s_or_b64 exec, exec, s[4:5]
                                        ; implicit-def: $vgpr9
                                        ; implicit-def: $vgpr7_vgpr8
.LBB33_78:
	s_or_saveexec_b64 s[2:3], s[2:3]
	v_lshlrev_b32_e32 v13, 4, v0
	s_xor_b64 exec, exec, s[2:3]
	s_cbranch_execz .LBB33_80
; %bb.79:
	v_ashrrev_i32_e32 v10, 31, v9
	v_lshlrev_b64 v[11:12], 2, v[9:10]
	v_mov_b32_e32 v14, s27
	v_add_co_u32_e32 v11, vcc, s26, v11
	v_addc_co_u32_e32 v12, vcc, v14, v12, vcc
	global_load_dword v30, v[11:12], off
	global_load_dword v31, v[11:12], off offset:1024
	global_load_dword v32, v[11:12], off offset:2048
	;; [unrolled: 1-line block ×3, first 2 shown]
	v_lshlrev_b64 v[9:10], 4, v[9:10]
	v_mov_b32_e32 v11, s29
	v_add_co_u32_e32 v14, vcc, s28, v9
	s_movk_i32 s4, 0x2000
	v_addc_co_u32_e32 v15, vcc, v11, v10, vcc
	global_load_dwordx4 v[9:12], v[14:15], off
	v_add_co_u32_e32 v26, vcc, s4, v14
	s_movk_i32 s5, 0x3000
	v_addc_co_u32_e32 v27, vcc, 0, v15, vcc
	v_add_co_u32_e32 v28, vcc, s5, v14
	v_addc_co_u32_e32 v29, vcc, 0, v15, vcc
	global_load_dwordx4 v[14:17], v[26:27], off offset:-4096
	global_load_dwordx4 v[18:21], v[26:27], off
	global_load_dwordx4 v[22:25], v[28:29], off
	v_mov_b32_e32 v34, s31
	v_mov_b32_e32 v35, s31
	;; [unrolled: 1-line block ×4, first 2 shown]
	s_waitcnt vmcnt(7)
	v_subrev_u32_e32 v26, s42, v30
	v_ashrrev_i32_e32 v27, 31, v26
	s_waitcnt vmcnt(6)
	v_subrev_u32_e32 v28, s42, v31
	v_lshlrev_b64 v[26:27], 4, v[26:27]
	v_ashrrev_i32_e32 v29, 31, v28
	s_waitcnt vmcnt(5)
	v_subrev_u32_e32 v30, s42, v32
	v_lshlrev_b64 v[28:29], 4, v[28:29]
	v_add_co_u32_e32 v40, vcc, s30, v26
	v_ashrrev_i32_e32 v31, 31, v30
	v_addc_co_u32_e32 v41, vcc, v34, v27, vcc
	s_waitcnt vmcnt(4)
	v_subrev_u32_e32 v32, s42, v33
	v_lshlrev_b64 v[30:31], 4, v[30:31]
	v_add_co_u32_e32 v42, vcc, s30, v28
	v_ashrrev_i32_e32 v33, 31, v32
	v_addc_co_u32_e32 v43, vcc, v35, v29, vcc
	v_lshlrev_b64 v[38:39], 4, v[32:33]
	v_add_co_u32_e32 v44, vcc, s30, v30
	v_addc_co_u32_e32 v45, vcc, v36, v31, vcc
	v_add_co_u32_e32 v38, vcc, s30, v38
	global_load_dwordx4 v[26:29], v[40:41], off
	global_load_dwordx4 v[30:33], v[42:43], off
	;; [unrolled: 1-line block ×3, first 2 shown]
	v_addc_co_u32_e32 v39, vcc, v46, v39, vcc
	global_load_dwordx4 v[38:41], v[38:39], off
	s_waitcnt vmcnt(7)
	v_xor_b32_e32 v42, 0x80000000, v12
	v_cndmask_b32_e64 v12, v12, v42, s[0:1]
	s_waitcnt vmcnt(6)
	v_xor_b32_e32 v44, 0x80000000, v17
	s_waitcnt vmcnt(5)
	v_xor_b32_e32 v45, 0x80000000, v21
	v_mul_f64 v[42:43], v[11:12], -v[7:8]
	v_mul_f64 v[11:12], v[5:6], v[11:12]
	v_cndmask_b32_e64 v17, v17, v44, s[0:1]
	s_waitcnt vmcnt(4)
	v_xor_b32_e32 v46, 0x80000000, v25
	v_cndmask_b32_e64 v21, v21, v45, s[0:1]
	v_mul_f64 v[44:45], v[5:6], v[16:17]
	v_mul_f64 v[16:17], v[16:17], -v[7:8]
	v_cndmask_b32_e64 v25, v25, v46, s[0:1]
	v_mul_f64 v[46:47], v[5:6], v[20:21]
	v_mul_f64 v[20:21], v[20:21], -v[7:8]
	v_mul_f64 v[48:49], v[5:6], v[24:25]
	v_mul_f64 v[24:25], v[24:25], -v[7:8]
	v_fma_f64 v[11:12], v[7:8], v[9:10], v[11:12]
	v_fma_f64 v[9:10], v[5:6], v[9:10], v[42:43]
	;; [unrolled: 1-line block ×8, first 2 shown]
	s_waitcnt vmcnt(3)
	v_mul_f64 v[5:6], v[28:29], -v[11:12]
	v_mul_f64 v[7:8], v[28:29], v[9:10]
	s_waitcnt vmcnt(2)
	v_mul_f64 v[24:25], v[32:33], -v[42:43]
	v_mul_f64 v[28:29], v[32:33], v[14:15]
	;; [unrolled: 3-line block ×4, first 2 shown]
	v_fma_f64 v[5:6], v[9:10], v[26:27], v[5:6]
	v_fma_f64 v[7:8], v[11:12], v[26:27], v[7:8]
	v_fma_f64 v[9:10], v[14:15], v[30:31], v[24:25]
	v_fma_f64 v[11:12], v[42:43], v[30:31], v[28:29]
	v_fma_f64 v[14:15], v[18:19], v[34:35], v[32:33]
	v_fma_f64 v[16:17], v[16:17], v[34:35], v[36:37]
	v_fma_f64 v[18:19], v[22:23], v[38:39], v[44:45]
	v_fma_f64 v[20:21], v[20:21], v[38:39], v[40:41]
	ds_write_b128 v13, v[5:8]
	ds_write_b128 v13, v[9:12] offset:4096
	ds_write_b128 v13, v[14:17] offset:8192
	;; [unrolled: 1-line block ×3, first 2 shown]
.LBB33_80:
	s_or_b64 exec, exec, s[2:3]
	s_cmp_lt_i32 s33, 2
	s_mov_b64 s[0:1], -1
	s_waitcnt vmcnt(0) lgkmcnt(0)
	s_barrier
	s_cbranch_scc0 .LBB33_91
; %bb.81:
	v_add_u32_e32 v9, s38, v0
	v_cmp_gt_i32_e32 vcc, s39, v9
	s_and_saveexec_b64 s[2:3], vcc
	s_cbranch_execz .LBB33_90
; %bb.82:
	v_cmp_neq_f64_e32 vcc, 0, v[1:2]
	v_cmp_neq_f64_e64 s[0:1], 0, v[3:4]
	s_lshl_b32 s6, s36, 4
	s_mov_b64 s[4:5], 0
	v_mov_b32_e32 v14, s25
	s_sub_i32 s10, 0, s6
	v_mov_b32_e32 v15, s35
	s_or_b64 s[0:1], vcc, s[0:1]
	s_branch .LBB33_84
.LBB33_83:                              ;   in Loop: Header=BB33_84 Depth=1
	s_or_b64 exec, exec, s[6:7]
	v_add_co_u32_e32 v10, vcc, s34, v10
	v_addc_co_u32_e32 v11, vcc, v15, v11, vcc
	v_add_u32_e32 v9, 0x100, v9
	v_cmp_le_i32_e32 vcc, s39, v9
	s_or_b64 s[4:5], vcc, s[4:5]
	global_store_dwordx4 v[10:11], v[5:8], off
	s_andn2_b64 exec, exec, s[4:5]
	s_cbranch_execz .LBB33_90
.LBB33_84:                              ; =>This Loop Header: Depth=1
                                        ;     Child Loop BB33_86 Depth 2
	v_ashrrev_i32_e32 v10, 31, v9
	v_lshlrev_b64 v[5:6], 2, v[9:10]
	v_mov_b32_e32 v7, 0
	v_add_co_u32_e32 v5, vcc, s24, v5
	v_addc_co_u32_e32 v6, vcc, v14, v6, vcc
	global_load_dwordx2 v[11:12], v[5:6], off
	v_mov_b32_e32 v5, 0
	v_mov_b32_e32 v8, 0
	v_mov_b32_e32 v6, 0
	s_waitcnt vmcnt(0)
	v_cmp_lt_i32_e32 vcc, v11, v12
	s_and_saveexec_b64 s[6:7], vcc
	s_cbranch_execz .LBB33_88
; %bb.85:                               ;   in Loop: Header=BB33_84 Depth=1
	v_mov_b32_e32 v7, 0
	v_mov_b32_e32 v8, 0
	;; [unrolled: 1-line block ×3, first 2 shown]
	v_subrev_u32_e32 v12, s36, v12
	v_subrev_u32_e32 v16, s36, v11
	v_lshl_add_u32 v11, v11, 4, s10
	s_mov_b64 s[8:9], 0
	v_mov_b32_e32 v6, v8
.LBB33_86:                              ;   Parent Loop BB33_84 Depth=1
                                        ; =>  This Inner Loop Header: Depth=2
	ds_read_b128 v[17:20], v11
	v_add_u32_e32 v16, 1, v16
	v_cmp_ge_i32_e32 vcc, v16, v12
	s_or_b64 s[8:9], vcc, s[8:9]
	v_add_u32_e32 v11, 16, v11
	s_waitcnt lgkmcnt(0)
	v_add_f64 v[5:6], v[5:6], v[17:18]
	v_add_f64 v[7:8], v[7:8], v[19:20]
	s_andn2_b64 exec, exec, s[8:9]
	s_cbranch_execnz .LBB33_86
; %bb.87:                               ;   in Loop: Header=BB33_84 Depth=1
	s_or_b64 exec, exec, s[8:9]
.LBB33_88:                              ;   in Loop: Header=BB33_84 Depth=1
	s_or_b64 exec, exec, s[6:7]
	v_lshlrev_b64 v[10:11], 4, v[9:10]
	s_and_saveexec_b64 s[6:7], s[0:1]
	s_cbranch_execz .LBB33_83
; %bb.89:                               ;   in Loop: Header=BB33_84 Depth=1
	v_mov_b32_e32 v12, s35
	v_add_co_u32_e32 v16, vcc, s34, v10
	v_addc_co_u32_e32 v17, vcc, v12, v11, vcc
	global_load_dwordx4 v[16:19], v[16:17], off
	s_waitcnt vmcnt(0)
	v_fma_f64 v[5:6], v[1:2], v[16:17], v[5:6]
	v_fma_f64 v[7:8], v[3:4], v[16:17], v[7:8]
	v_fma_f64 v[5:6], -v[3:4], v[18:19], v[5:6]
	v_fma_f64 v[7:8], v[1:2], v[18:19], v[7:8]
	s_branch .LBB33_83
.LBB33_90:
	s_or_b64 exec, exec, s[2:3]
	s_mov_b64 s[0:1], 0
.LBB33_91:
	s_andn2_b64 vcc, exec, s[0:1]
	s_cbranch_vccnz .LBB33_116
; %bb.92:
	s_flbit_i32_b32 s0, s33
	s_xor_b32 s0, s0, 31
	v_mov_b32_e32 v5, 0
	v_lshrrev_b32_e32 v10, s0, v0
	v_mov_b32_e32 v6, 0
	v_add_u32_e32 v9, s38, v10
	s_add_i32 s0, s33, -1
	v_mov_b32_e32 v8, v6
	v_and_b32_e32 v0, s0, v0
	v_cmp_le_i32_e32 vcc, s39, v9
	v_cmp_gt_i32_e64 s[0:1], s39, v9
	v_mov_b32_e32 v7, v5
	s_and_saveexec_b64 s[2:3], s[0:1]
	s_cbranch_execz .LBB33_98
; %bb.93:
	v_lshlrev_b32_e32 v5, 2, v10
	global_load_dwordx2 v[5:6], v5, s[40:41]
	v_subrev_u32_e32 v11, s36, v0
	v_mov_b32_e32 v7, 0
	v_mov_b32_e32 v8, 0
	s_waitcnt vmcnt(0)
	v_subrev_u32_e32 v10, s36, v6
	v_add_u32_e32 v11, v5, v11
	v_mov_b32_e32 v5, 0
	v_mov_b32_e32 v6, 0
	v_cmp_lt_i32_e64 s[0:1], v11, v10
	s_and_saveexec_b64 s[4:5], s[0:1]
	s_cbranch_execz .LBB33_97
; %bb.94:
	v_mov_b32_e32 v7, 0
	v_mov_b32_e32 v8, 0
	;; [unrolled: 1-line block ×3, first 2 shown]
	v_lshlrev_b32_e32 v12, 4, v11
	s_lshl_b32 s8, s33, 4
	s_mov_b64 s[6:7], 0
	v_mov_b32_e32 v6, v8
.LBB33_95:                              ; =>This Inner Loop Header: Depth=1
	ds_read_b128 v[14:17], v12
	v_add_u32_e32 v11, s33, v11
	v_cmp_ge_i32_e64 s[0:1], v11, v10
	s_or_b64 s[6:7], s[0:1], s[6:7]
	v_add_u32_e32 v12, s8, v12
	s_waitcnt lgkmcnt(0)
	v_add_f64 v[5:6], v[5:6], v[14:15]
	v_add_f64 v[7:8], v[7:8], v[16:17]
	s_andn2_b64 exec, exec, s[6:7]
	s_cbranch_execnz .LBB33_95
; %bb.96:
	s_or_b64 exec, exec, s[6:7]
.LBB33_97:
	s_or_b64 exec, exec, s[4:5]
.LBB33_98:
	s_or_b64 exec, exec, s[2:3]
	s_cmpk_lt_u32 s33, 0x81
	s_waitcnt vmcnt(0)
	s_barrier
	ds_write_b128 v13, v[5:8]
	s_waitcnt lgkmcnt(0)
	s_barrier
	s_cbranch_scc1 .LBB33_100
; %bb.99:
	ds_read_b128 v[14:17], v13 offset:2048
	s_waitcnt lgkmcnt(0)
	s_barrier
	v_add_f64 v[5:6], v[5:6], v[14:15]
	v_add_f64 v[7:8], v[7:8], v[16:17]
	ds_write_b128 v13, v[5:8]
.LBB33_100:
	s_cmpk_lt_u32 s33, 0x41
	s_waitcnt lgkmcnt(0)
	s_barrier
	s_cbranch_scc1 .LBB33_102
; %bb.101:
	ds_read_b128 v[14:17], v13 offset:1024
	s_waitcnt lgkmcnt(0)
	s_barrier
	v_add_f64 v[5:6], v[5:6], v[14:15]
	v_add_f64 v[7:8], v[7:8], v[16:17]
	ds_write_b128 v13, v[5:8]
.LBB33_102:
	s_cmp_lt_u32 s33, 33
	s_waitcnt lgkmcnt(0)
	s_barrier
	s_cbranch_scc1 .LBB33_104
; %bb.103:
	ds_read_b128 v[14:17], v13 offset:512
	s_waitcnt lgkmcnt(0)
	s_barrier
	v_add_f64 v[5:6], v[5:6], v[14:15]
	v_add_f64 v[7:8], v[7:8], v[16:17]
	ds_write_b128 v13, v[5:8]
.LBB33_104:
	s_cmp_lt_u32 s33, 17
	;; [unrolled: 12-line block ×4, first 2 shown]
	s_waitcnt lgkmcnt(0)
	s_barrier
	s_cbranch_scc1 .LBB33_110
; %bb.109:
	ds_read_b128 v[14:17], v13 offset:64
	s_waitcnt lgkmcnt(0)
	s_barrier
	v_add_f64 v[5:6], v[5:6], v[14:15]
	v_add_f64 v[7:8], v[7:8], v[16:17]
	ds_write_b128 v13, v[5:8]
.LBB33_110:
	s_cmp_eq_u32 s33, 2
	s_waitcnt lgkmcnt(0)
	s_barrier
	s_cbranch_scc1 .LBB33_112
; %bb.111:
	ds_read_b128 v[14:17], v13 offset:32
	s_waitcnt lgkmcnt(0)
	s_barrier
	v_add_f64 v[5:6], v[5:6], v[14:15]
	v_add_f64 v[7:8], v[7:8], v[16:17]
	ds_write_b128 v13, v[5:8]
.LBB33_112:
	s_waitcnt lgkmcnt(0)
	s_barrier
	ds_read_b128 v[14:17], v13 offset:16
	v_cmp_eq_u32_e64 s[0:1], 0, v0
	s_xor_b64 s[2:3], vcc, -1
	s_and_b64 s[0:1], s[0:1], s[2:3]
	s_waitcnt lgkmcnt(0)
	v_add_f64 v[5:6], v[5:6], v[14:15]
	v_add_f64 v[7:8], v[7:8], v[16:17]
	s_barrier
	ds_write_b128 v13, v[5:8]
	s_and_b64 exec, exec, s[0:1]
	s_cbranch_execz .LBB33_116
; %bb.113:
	v_cmp_neq_f64_e32 vcc, 0, v[1:2]
	v_cmp_neq_f64_e64 s[0:1], 0, v[3:4]
	v_ashrrev_i32_e32 v10, 31, v9
	v_lshlrev_b64 v[9:10], 4, v[9:10]
	s_or_b64 s[2:3], vcc, s[0:1]
	s_and_saveexec_b64 s[0:1], s[2:3]
	s_cbranch_execz .LBB33_115
; %bb.114:
	v_mov_b32_e32 v0, s35
	v_add_co_u32_e32 v11, vcc, s34, v9
	v_addc_co_u32_e32 v12, vcc, v0, v10, vcc
	global_load_dwordx4 v[11:14], v[11:12], off
	s_waitcnt vmcnt(0)
	v_fma_f64 v[5:6], v[1:2], v[11:12], v[5:6]
	v_fma_f64 v[7:8], v[3:4], v[11:12], v[7:8]
	v_fma_f64 v[5:6], -v[3:4], v[13:14], v[5:6]
	v_fma_f64 v[7:8], v[1:2], v[13:14], v[7:8]
.LBB33_115:
	s_or_b64 exec, exec, s[0:1]
	v_mov_b32_e32 v1, s35
	v_add_co_u32_e32 v0, vcc, s34, v9
	v_addc_co_u32_e32 v1, vcc, v1, v10, vcc
	global_store_dwordx4 v[0:1], v[5:8], off
.LBB33_116:
	s_endpgm
	.section	.rodata,"a",@progbits
	.p2align	6, 0x0
	.amdhsa_kernel _ZN9rocsparseL22csrmvn_adaptive_kernelIii21rocsparse_complex_numIdES2_S2_S2_EEvbT_PKS3_PjPKT0_NS_24const_host_device_scalarIT4_EES5_S9_PKT1_PKT2_SC_PT3_21rocsparse_index_base_b
		.amdhsa_group_segment_fixed_size 16384
		.amdhsa_private_segment_fixed_size 0
		.amdhsa_kernarg_size 112
		.amdhsa_user_sgpr_count 6
		.amdhsa_user_sgpr_private_segment_buffer 1
		.amdhsa_user_sgpr_dispatch_ptr 0
		.amdhsa_user_sgpr_queue_ptr 0
		.amdhsa_user_sgpr_kernarg_segment_ptr 1
		.amdhsa_user_sgpr_dispatch_id 0
		.amdhsa_user_sgpr_flat_scratch_init 0
		.amdhsa_user_sgpr_private_segment_size 0
		.amdhsa_uses_dynamic_stack 0
		.amdhsa_system_sgpr_private_segment_wavefront_offset 0
		.amdhsa_system_sgpr_workgroup_id_x 1
		.amdhsa_system_sgpr_workgroup_id_y 0
		.amdhsa_system_sgpr_workgroup_id_z 0
		.amdhsa_system_sgpr_workgroup_info 0
		.amdhsa_system_vgpr_workitem_id 0
		.amdhsa_next_free_vgpr 50
		.amdhsa_next_free_sgpr 98
		.amdhsa_reserve_vcc 1
		.amdhsa_reserve_flat_scratch 0
		.amdhsa_float_round_mode_32 0
		.amdhsa_float_round_mode_16_64 0
		.amdhsa_float_denorm_mode_32 3
		.amdhsa_float_denorm_mode_16_64 3
		.amdhsa_dx10_clamp 1
		.amdhsa_ieee_mode 1
		.amdhsa_fp16_overflow 0
		.amdhsa_exception_fp_ieee_invalid_op 0
		.amdhsa_exception_fp_denorm_src 0
		.amdhsa_exception_fp_ieee_div_zero 0
		.amdhsa_exception_fp_ieee_overflow 0
		.amdhsa_exception_fp_ieee_underflow 0
		.amdhsa_exception_fp_ieee_inexact 0
		.amdhsa_exception_int_div_zero 0
	.end_amdhsa_kernel
	.section	.text._ZN9rocsparseL22csrmvn_adaptive_kernelIii21rocsparse_complex_numIdES2_S2_S2_EEvbT_PKS3_PjPKT0_NS_24const_host_device_scalarIT4_EES5_S9_PKT1_PKT2_SC_PT3_21rocsparse_index_base_b,"axG",@progbits,_ZN9rocsparseL22csrmvn_adaptive_kernelIii21rocsparse_complex_numIdES2_S2_S2_EEvbT_PKS3_PjPKT0_NS_24const_host_device_scalarIT4_EES5_S9_PKT1_PKT2_SC_PT3_21rocsparse_index_base_b,comdat
.Lfunc_end33:
	.size	_ZN9rocsparseL22csrmvn_adaptive_kernelIii21rocsparse_complex_numIdES2_S2_S2_EEvbT_PKS3_PjPKT0_NS_24const_host_device_scalarIT4_EES5_S9_PKT1_PKT2_SC_PT3_21rocsparse_index_base_b, .Lfunc_end33-_ZN9rocsparseL22csrmvn_adaptive_kernelIii21rocsparse_complex_numIdES2_S2_S2_EEvbT_PKS3_PjPKT0_NS_24const_host_device_scalarIT4_EES5_S9_PKT1_PKT2_SC_PT3_21rocsparse_index_base_b
                                        ; -- End function
	.set _ZN9rocsparseL22csrmvn_adaptive_kernelIii21rocsparse_complex_numIdES2_S2_S2_EEvbT_PKS3_PjPKT0_NS_24const_host_device_scalarIT4_EES5_S9_PKT1_PKT2_SC_PT3_21rocsparse_index_base_b.num_vgpr, 50
	.set _ZN9rocsparseL22csrmvn_adaptive_kernelIii21rocsparse_complex_numIdES2_S2_S2_EEvbT_PKS3_PjPKT0_NS_24const_host_device_scalarIT4_EES5_S9_PKT1_PKT2_SC_PT3_21rocsparse_index_base_b.num_agpr, 0
	.set _ZN9rocsparseL22csrmvn_adaptive_kernelIii21rocsparse_complex_numIdES2_S2_S2_EEvbT_PKS3_PjPKT0_NS_24const_host_device_scalarIT4_EES5_S9_PKT1_PKT2_SC_PT3_21rocsparse_index_base_b.numbered_sgpr, 57
	.set _ZN9rocsparseL22csrmvn_adaptive_kernelIii21rocsparse_complex_numIdES2_S2_S2_EEvbT_PKS3_PjPKT0_NS_24const_host_device_scalarIT4_EES5_S9_PKT1_PKT2_SC_PT3_21rocsparse_index_base_b.num_named_barrier, 0
	.set _ZN9rocsparseL22csrmvn_adaptive_kernelIii21rocsparse_complex_numIdES2_S2_S2_EEvbT_PKS3_PjPKT0_NS_24const_host_device_scalarIT4_EES5_S9_PKT1_PKT2_SC_PT3_21rocsparse_index_base_b.private_seg_size, 0
	.set _ZN9rocsparseL22csrmvn_adaptive_kernelIii21rocsparse_complex_numIdES2_S2_S2_EEvbT_PKS3_PjPKT0_NS_24const_host_device_scalarIT4_EES5_S9_PKT1_PKT2_SC_PT3_21rocsparse_index_base_b.uses_vcc, 1
	.set _ZN9rocsparseL22csrmvn_adaptive_kernelIii21rocsparse_complex_numIdES2_S2_S2_EEvbT_PKS3_PjPKT0_NS_24const_host_device_scalarIT4_EES5_S9_PKT1_PKT2_SC_PT3_21rocsparse_index_base_b.uses_flat_scratch, 0
	.set _ZN9rocsparseL22csrmvn_adaptive_kernelIii21rocsparse_complex_numIdES2_S2_S2_EEvbT_PKS3_PjPKT0_NS_24const_host_device_scalarIT4_EES5_S9_PKT1_PKT2_SC_PT3_21rocsparse_index_base_b.has_dyn_sized_stack, 0
	.set _ZN9rocsparseL22csrmvn_adaptive_kernelIii21rocsparse_complex_numIdES2_S2_S2_EEvbT_PKS3_PjPKT0_NS_24const_host_device_scalarIT4_EES5_S9_PKT1_PKT2_SC_PT3_21rocsparse_index_base_b.has_recursion, 0
	.set _ZN9rocsparseL22csrmvn_adaptive_kernelIii21rocsparse_complex_numIdES2_S2_S2_EEvbT_PKS3_PjPKT0_NS_24const_host_device_scalarIT4_EES5_S9_PKT1_PKT2_SC_PT3_21rocsparse_index_base_b.has_indirect_call, 0
	.section	.AMDGPU.csdata,"",@progbits
; Kernel info:
; codeLenInByte = 5160
; TotalNumSgprs: 61
; NumVgprs: 50
; ScratchSize: 0
; MemoryBound: 0
; FloatMode: 240
; IeeeMode: 1
; LDSByteSize: 16384 bytes/workgroup (compile time only)
; SGPRBlocks: 12
; VGPRBlocks: 12
; NumSGPRsForWavesPerEU: 102
; NumVGPRsForWavesPerEU: 50
; Occupancy: 4
; WaveLimiterHint : 1
; COMPUTE_PGM_RSRC2:SCRATCH_EN: 0
; COMPUTE_PGM_RSRC2:USER_SGPR: 6
; COMPUTE_PGM_RSRC2:TRAP_HANDLER: 0
; COMPUTE_PGM_RSRC2:TGID_X_EN: 1
; COMPUTE_PGM_RSRC2:TGID_Y_EN: 0
; COMPUTE_PGM_RSRC2:TGID_Z_EN: 0
; COMPUTE_PGM_RSRC2:TIDIG_COMP_CNT: 0
	.section	.text._ZN9rocsparseL22partial_scale_y_kernelIi21rocsparse_complex_numIdES2_EEvT_S3_S3_NS_24const_host_device_scalarIT1_EEPT0_b,"axG",@progbits,_ZN9rocsparseL22partial_scale_y_kernelIi21rocsparse_complex_numIdES2_EEvT_S3_S3_NS_24const_host_device_scalarIT1_EEPT0_b,comdat
	.globl	_ZN9rocsparseL22partial_scale_y_kernelIi21rocsparse_complex_numIdES2_EEvT_S3_S3_NS_24const_host_device_scalarIT1_EEPT0_b ; -- Begin function _ZN9rocsparseL22partial_scale_y_kernelIi21rocsparse_complex_numIdES2_EEvT_S3_S3_NS_24const_host_device_scalarIT1_EEPT0_b
	.p2align	8
	.type	_ZN9rocsparseL22partial_scale_y_kernelIi21rocsparse_complex_numIdES2_EEvT_S3_S3_NS_24const_host_device_scalarIT1_EEPT0_b,@function
_ZN9rocsparseL22partial_scale_y_kernelIi21rocsparse_complex_numIdES2_EEvT_S3_S3_NS_24const_host_device_scalarIT1_EEPT0_b: ; @_ZN9rocsparseL22partial_scale_y_kernelIi21rocsparse_complex_numIdES2_EEvT_S3_S3_NS_24const_host_device_scalarIT1_EEPT0_b
; %bb.0:
	s_load_dword s2, s[4:5], 0x28
	s_load_dwordx2 s[0:1], s[4:5], 0x10
	s_add_u32 s3, s4, 16
	s_addc_u32 s7, s5, 0
	s_waitcnt lgkmcnt(0)
	s_bitcmp1_b32 s2, 0
	s_cselect_b32 s1, s7, s1
	s_cselect_b32 s0, s3, s0
	v_mov_b32_e32 v1, s0
	v_mov_b32_e32 v2, s1
	flat_load_dwordx4 v[1:4], v[1:2]
	s_waitcnt vmcnt(0) lgkmcnt(0)
	v_cmp_neq_f64_e32 vcc, 1.0, v[1:2]
	v_cmp_neq_f64_e64 s[0:1], 0, v[3:4]
	s_or_b64 s[0:1], vcc, s[0:1]
	s_and_saveexec_b64 s[2:3], s[0:1]
	s_cbranch_execz .LBB34_13
; %bb.1:
	s_load_dwordx4 s[8:11], s[4:5], 0x0
	v_lshl_or_b32 v5, s6, 8, v0
	s_waitcnt lgkmcnt(0)
	s_add_i32 s0, s9, s8
	s_sub_i32 s0, s0, s10
	v_cmp_gt_i32_e32 vcc, s0, v5
	s_and_b64 exec, exec, vcc
	s_cbranch_execz .LBB34_13
; %bb.2:
	v_cmp_neq_f64_e32 vcc, 0, v[1:2]
	v_cmp_neq_f64_e64 s[0:1], 0, v[3:4]
	s_load_dwordx2 s[4:5], s[4:5], 0x20
	v_cmp_le_i32_e64 s[2:3], s9, v5
	s_or_b64 s[0:1], vcc, s[0:1]
	s_and_saveexec_b64 s[6:7], s[2:3]
	s_xor_b64 s[2:3], exec, s[6:7]
	s_cbranch_execz .LBB34_8
; %bb.3:
	v_subrev_u32_e32 v0, s9, v5
	v_add_u32_e32 v5, s10, v0
	v_ashrrev_i32_e32 v6, 31, v5
	v_lshlrev_b64 v[5:6], 4, v[5:6]
	s_waitcnt lgkmcnt(0)
	v_mov_b32_e32 v0, s5
	v_add_co_u32_e32 v5, vcc, s4, v5
	v_addc_co_u32_e32 v6, vcc, v0, v6, vcc
	s_and_saveexec_b64 s[6:7], s[0:1]
	s_xor_b64 s[6:7], exec, s[6:7]
	s_cbranch_execz .LBB34_5
; %bb.4:
	global_load_dwordx4 v[7:10], v[5:6], off
	s_waitcnt vmcnt(0)
	v_mul_f64 v[11:12], v[3:4], -v[9:10]
	v_mul_f64 v[3:4], v[3:4], v[7:8]
	v_fma_f64 v[7:8], v[7:8], v[1:2], v[11:12]
	v_fma_f64 v[9:10], v[9:10], v[1:2], v[3:4]
	global_store_dwordx4 v[5:6], v[7:10], off
                                        ; implicit-def: $vgpr5_vgpr6
.LBB34_5:
	s_andn2_saveexec_b64 s[6:7], s[6:7]
	s_cbranch_execz .LBB34_7
; %bb.6:
	v_mov_b32_e32 v0, 0
	v_mov_b32_e32 v1, v0
	;; [unrolled: 1-line block ×4, first 2 shown]
	global_store_dwordx4 v[5:6], v[0:3], off
.LBB34_7:
	s_or_b64 exec, exec, s[6:7]
                                        ; implicit-def: $vgpr5
                                        ; implicit-def: $vgpr3_vgpr4
.LBB34_8:
	s_andn2_saveexec_b64 s[2:3], s[2:3]
	s_cbranch_execz .LBB34_13
; %bb.9:
	v_ashrrev_i32_e32 v6, 31, v5
	v_lshlrev_b64 v[5:6], 4, v[5:6]
	s_waitcnt lgkmcnt(0)
	v_mov_b32_e32 v0, s5
	v_add_co_u32_e32 v5, vcc, s4, v5
	v_addc_co_u32_e32 v6, vcc, v0, v6, vcc
	s_and_saveexec_b64 s[2:3], s[0:1]
	s_xor_b64 s[0:1], exec, s[2:3]
	s_cbranch_execz .LBB34_11
; %bb.10:
	global_load_dwordx4 v[7:10], v[5:6], off
	s_waitcnt vmcnt(0)
	v_mul_f64 v[11:12], v[3:4], -v[9:10]
	v_mul_f64 v[3:4], v[3:4], v[7:8]
	v_fma_f64 v[7:8], v[7:8], v[1:2], v[11:12]
	v_fma_f64 v[9:10], v[9:10], v[1:2], v[3:4]
	global_store_dwordx4 v[5:6], v[7:10], off
                                        ; implicit-def: $vgpr5_vgpr6
.LBB34_11:
	s_andn2_saveexec_b64 s[0:1], s[0:1]
	s_cbranch_execz .LBB34_13
; %bb.12:
	v_mov_b32_e32 v0, 0
	v_mov_b32_e32 v1, v0
	;; [unrolled: 1-line block ×4, first 2 shown]
	global_store_dwordx4 v[5:6], v[0:3], off
.LBB34_13:
	s_endpgm
	.section	.rodata,"a",@progbits
	.p2align	6, 0x0
	.amdhsa_kernel _ZN9rocsparseL22partial_scale_y_kernelIi21rocsparse_complex_numIdES2_EEvT_S3_S3_NS_24const_host_device_scalarIT1_EEPT0_b
		.amdhsa_group_segment_fixed_size 0
		.amdhsa_private_segment_fixed_size 0
		.amdhsa_kernarg_size 44
		.amdhsa_user_sgpr_count 6
		.amdhsa_user_sgpr_private_segment_buffer 1
		.amdhsa_user_sgpr_dispatch_ptr 0
		.amdhsa_user_sgpr_queue_ptr 0
		.amdhsa_user_sgpr_kernarg_segment_ptr 1
		.amdhsa_user_sgpr_dispatch_id 0
		.amdhsa_user_sgpr_flat_scratch_init 0
		.amdhsa_user_sgpr_private_segment_size 0
		.amdhsa_uses_dynamic_stack 0
		.amdhsa_system_sgpr_private_segment_wavefront_offset 0
		.amdhsa_system_sgpr_workgroup_id_x 1
		.amdhsa_system_sgpr_workgroup_id_y 0
		.amdhsa_system_sgpr_workgroup_id_z 0
		.amdhsa_system_sgpr_workgroup_info 0
		.amdhsa_system_vgpr_workitem_id 0
		.amdhsa_next_free_vgpr 13
		.amdhsa_next_free_sgpr 12
		.amdhsa_reserve_vcc 1
		.amdhsa_reserve_flat_scratch 0
		.amdhsa_float_round_mode_32 0
		.amdhsa_float_round_mode_16_64 0
		.amdhsa_float_denorm_mode_32 3
		.amdhsa_float_denorm_mode_16_64 3
		.amdhsa_dx10_clamp 1
		.amdhsa_ieee_mode 1
		.amdhsa_fp16_overflow 0
		.amdhsa_exception_fp_ieee_invalid_op 0
		.amdhsa_exception_fp_denorm_src 0
		.amdhsa_exception_fp_ieee_div_zero 0
		.amdhsa_exception_fp_ieee_overflow 0
		.amdhsa_exception_fp_ieee_underflow 0
		.amdhsa_exception_fp_ieee_inexact 0
		.amdhsa_exception_int_div_zero 0
	.end_amdhsa_kernel
	.section	.text._ZN9rocsparseL22partial_scale_y_kernelIi21rocsparse_complex_numIdES2_EEvT_S3_S3_NS_24const_host_device_scalarIT1_EEPT0_b,"axG",@progbits,_ZN9rocsparseL22partial_scale_y_kernelIi21rocsparse_complex_numIdES2_EEvT_S3_S3_NS_24const_host_device_scalarIT1_EEPT0_b,comdat
.Lfunc_end34:
	.size	_ZN9rocsparseL22partial_scale_y_kernelIi21rocsparse_complex_numIdES2_EEvT_S3_S3_NS_24const_host_device_scalarIT1_EEPT0_b, .Lfunc_end34-_ZN9rocsparseL22partial_scale_y_kernelIi21rocsparse_complex_numIdES2_EEvT_S3_S3_NS_24const_host_device_scalarIT1_EEPT0_b
                                        ; -- End function
	.set _ZN9rocsparseL22partial_scale_y_kernelIi21rocsparse_complex_numIdES2_EEvT_S3_S3_NS_24const_host_device_scalarIT1_EEPT0_b.num_vgpr, 13
	.set _ZN9rocsparseL22partial_scale_y_kernelIi21rocsparse_complex_numIdES2_EEvT_S3_S3_NS_24const_host_device_scalarIT1_EEPT0_b.num_agpr, 0
	.set _ZN9rocsparseL22partial_scale_y_kernelIi21rocsparse_complex_numIdES2_EEvT_S3_S3_NS_24const_host_device_scalarIT1_EEPT0_b.numbered_sgpr, 12
	.set _ZN9rocsparseL22partial_scale_y_kernelIi21rocsparse_complex_numIdES2_EEvT_S3_S3_NS_24const_host_device_scalarIT1_EEPT0_b.num_named_barrier, 0
	.set _ZN9rocsparseL22partial_scale_y_kernelIi21rocsparse_complex_numIdES2_EEvT_S3_S3_NS_24const_host_device_scalarIT1_EEPT0_b.private_seg_size, 0
	.set _ZN9rocsparseL22partial_scale_y_kernelIi21rocsparse_complex_numIdES2_EEvT_S3_S3_NS_24const_host_device_scalarIT1_EEPT0_b.uses_vcc, 1
	.set _ZN9rocsparseL22partial_scale_y_kernelIi21rocsparse_complex_numIdES2_EEvT_S3_S3_NS_24const_host_device_scalarIT1_EEPT0_b.uses_flat_scratch, 0
	.set _ZN9rocsparseL22partial_scale_y_kernelIi21rocsparse_complex_numIdES2_EEvT_S3_S3_NS_24const_host_device_scalarIT1_EEPT0_b.has_dyn_sized_stack, 0
	.set _ZN9rocsparseL22partial_scale_y_kernelIi21rocsparse_complex_numIdES2_EEvT_S3_S3_NS_24const_host_device_scalarIT1_EEPT0_b.has_recursion, 0
	.set _ZN9rocsparseL22partial_scale_y_kernelIi21rocsparse_complex_numIdES2_EEvT_S3_S3_NS_24const_host_device_scalarIT1_EEPT0_b.has_indirect_call, 0
	.section	.AMDGPU.csdata,"",@progbits
; Kernel info:
; codeLenInByte = 440
; TotalNumSgprs: 16
; NumVgprs: 13
; ScratchSize: 0
; MemoryBound: 0
; FloatMode: 240
; IeeeMode: 1
; LDSByteSize: 0 bytes/workgroup (compile time only)
; SGPRBlocks: 1
; VGPRBlocks: 3
; NumSGPRsForWavesPerEU: 16
; NumVGPRsForWavesPerEU: 13
; Occupancy: 10
; WaveLimiterHint : 0
; COMPUTE_PGM_RSRC2:SCRATCH_EN: 0
; COMPUTE_PGM_RSRC2:USER_SGPR: 6
; COMPUTE_PGM_RSRC2:TRAP_HANDLER: 0
; COMPUTE_PGM_RSRC2:TGID_X_EN: 1
; COMPUTE_PGM_RSRC2:TGID_Y_EN: 0
; COMPUTE_PGM_RSRC2:TGID_Z_EN: 0
; COMPUTE_PGM_RSRC2:TIDIG_COMP_CNT: 0
	.section	.text._ZN9rocsparseL27csrmvn_symm_adaptive_kernelIii21rocsparse_complex_numIdES2_S2_S2_EEvbT_S3_PKS3_NS_24const_host_device_scalarIT4_EES5_PKT0_PKT1_PKT2_S8_PT3_21rocsparse_index_base_b,"axG",@progbits,_ZN9rocsparseL27csrmvn_symm_adaptive_kernelIii21rocsparse_complex_numIdES2_S2_S2_EEvbT_S3_PKS3_NS_24const_host_device_scalarIT4_EES5_PKT0_PKT1_PKT2_S8_PT3_21rocsparse_index_base_b,comdat
	.globl	_ZN9rocsparseL27csrmvn_symm_adaptive_kernelIii21rocsparse_complex_numIdES2_S2_S2_EEvbT_S3_PKS3_NS_24const_host_device_scalarIT4_EES5_PKT0_PKT1_PKT2_S8_PT3_21rocsparse_index_base_b ; -- Begin function _ZN9rocsparseL27csrmvn_symm_adaptive_kernelIii21rocsparse_complex_numIdES2_S2_S2_EEvbT_S3_PKS3_NS_24const_host_device_scalarIT4_EES5_PKT0_PKT1_PKT2_S8_PT3_21rocsparse_index_base_b
	.p2align	8
	.type	_ZN9rocsparseL27csrmvn_symm_adaptive_kernelIii21rocsparse_complex_numIdES2_S2_S2_EEvbT_S3_PKS3_NS_24const_host_device_scalarIT4_EES5_PKT0_PKT1_PKT2_S8_PT3_21rocsparse_index_base_b,@function
_ZN9rocsparseL27csrmvn_symm_adaptive_kernelIii21rocsparse_complex_numIdES2_S2_S2_EEvbT_S3_PKS3_NS_24const_host_device_scalarIT4_EES5_PKT0_PKT1_PKT2_S8_PT3_21rocsparse_index_base_b: ; @_ZN9rocsparseL27csrmvn_symm_adaptive_kernelIii21rocsparse_complex_numIdES2_S2_S2_EEvbT_S3_PKS3_NS_24const_host_device_scalarIT4_EES5_PKT0_PKT1_PKT2_S8_PT3_21rocsparse_index_base_b
; %bb.0:
	s_load_dwordx2 s[30:31], s[4:5], 0x60
	s_load_dwordx2 s[0:1], s[4:5], 0x18
	s_add_u32 s7, s4, 24
	s_addc_u32 s10, s5, 0
	s_waitcnt lgkmcnt(0)
	s_bitcmp1_b32 s31, 0
	s_cselect_b64 s[8:9], -1, 0
	s_and_b64 s[2:3], s[8:9], exec
	s_cselect_b32 s1, s10, s1
	s_cselect_b32 s0, s7, s0
	v_mov_b32_e32 v1, s0
	v_mov_b32_e32 v2, s1
	flat_load_dwordx4 v[1:4], v[1:2]
	s_waitcnt vmcnt(0) lgkmcnt(0)
	v_cmp_eq_f64_e32 vcc, 0, v[1:2]
	v_cmp_eq_f64_e64 s[0:1], 0, v[3:4]
	s_and_b64 s[10:11], vcc, s[0:1]
	s_mov_b64 s[0:1], -1
	s_and_saveexec_b64 s[2:3], s[10:11]
	s_cbranch_execz .LBB35_2
; %bb.1:
	s_load_dwordx2 s[0:1], s[4:5], 0x48
	s_add_u32 s7, s4, 0x48
	s_addc_u32 s10, s5, 0
	s_and_b64 s[8:9], s[8:9], exec
	s_waitcnt lgkmcnt(0)
	s_cselect_b32 s1, s10, s1
	s_cselect_b32 s0, s7, s0
	v_mov_b32_e32 v5, s0
	v_mov_b32_e32 v6, s1
	flat_load_dwordx4 v[5:8], v[5:6]
	s_waitcnt vmcnt(0) lgkmcnt(0)
	v_cmp_neq_f64_e32 vcc, 1.0, v[5:6]
	v_cmp_neq_f64_e64 s[0:1], 0, v[7:8]
	s_or_b64 s[0:1], vcc, s[0:1]
	s_orn2_b64 s[0:1], s[0:1], exec
.LBB35_2:
	s_or_b64 exec, exec, s[2:3]
	s_and_saveexec_b64 s[2:3], s[0:1]
	s_cbranch_execz .LBB35_203
; %bb.3:
	s_load_dwordx4 s[24:27], s[4:5], 0x0
	s_load_dwordx2 s[2:3], s[4:5], 0x10
	s_mov_b32 s8, 0
	s_mov_b32 s9, s8
	;; [unrolled: 1-line block ×3, first 2 shown]
	s_waitcnt lgkmcnt(0)
	s_bitcmp1_b32 s24, 0
	s_cselect_b64 s[0:1], -1, 0
	s_ashr_i32 s7, s6, 31
	s_lshl_b64 s[6:7], s[6:7], 2
	s_mov_b32 s11, s8
	v_mov_b32_e32 v5, s8
	s_add_u32 s2, s2, s6
	v_lshlrev_b32_e32 v22, 4, v0
	v_mov_b32_e32 v6, s9
	v_mov_b32_e32 v7, s10
	;; [unrolled: 1-line block ×3, first 2 shown]
	s_addc_u32 s3, s3, s7
	ds_write_b128 v22, v[5:8]
	ds_write_b128 v22, v[5:8] offset:4096
	ds_write_b128 v22, v[5:8] offset:8192
	;; [unrolled: 1-line block ×3, first 2 shown]
	s_waitcnt lgkmcnt(0)
	s_barrier
	s_load_dwordx2 s[28:29], s[2:3], 0x0
	s_load_dwordx2 s[14:15], s[4:5], 0x58
	s_load_dwordx8 s[16:23], s[4:5], 0x28
	s_mov_b64 s[2:3], -1
	v_subrev_u32_e32 v23, s30, v0
	s_waitcnt lgkmcnt(0)
	s_sub_i32 s24, s29, s28
	s_cmp_gt_i32 s24, 2
	s_cbranch_scc1 .LBB35_45
; %bb.4:
	s_cmp_le_i32 s29, s28
	s_cbranch_scc1 .LBB35_32
; %bb.5:
	s_add_u32 s27, s20, 8
	v_cmp_gt_u32_e64 s[2:3], 64, v0
	v_cmp_gt_u32_e64 s[6:7], 16, v0
	;; [unrolled: 1-line block ×3, first 2 shown]
	v_cmp_eq_u32_e64 s[10:11], 0, v0
	s_addc_u32 s31, s21, 0
	v_mov_b32_e32 v15, 0
	s_mov_b32 s34, s28
	s_branch .LBB35_7
.LBB35_6:                               ;   in Loop: Header=BB35_7 Depth=1
	s_or_b64 exec, exec, s[12:13]
	s_add_i32 s34, s34, 1
	s_cmp_ge_i32 s34, s29
	s_cbranch_scc1 .LBB35_32
.LBB35_7:                               ; =>This Loop Header: Depth=1
                                        ;     Child Loop BB35_9 Depth 2
                                        ;     Child Loop BB35_21 Depth 2
	;; [unrolled: 1-line block ×5, first 2 shown]
	s_ashr_i32 s35, s34, 31
	s_lshl_b64 s[12:13], s[34:35], 2
	s_add_u32 s12, s16, s12
	s_addc_u32 s13, s17, s13
	s_load_dwordx2 s[36:37], s[12:13], 0x0
	v_mov_b32_e32 v7, 0
	v_mov_b32_e32 v5, 0
	;; [unrolled: 1-line block ×4, first 2 shown]
	s_waitcnt lgkmcnt(0)
	s_sub_i32 s33, s37, s30
	v_add_u32_e32 v9, s36, v23
	v_cmp_gt_i32_e32 vcc, s33, v9
	s_and_saveexec_b64 s[36:37], vcc
	s_cbranch_execz .LBB35_11
; %bb.8:                                ;   in Loop: Header=BB35_7 Depth=1
	v_ashrrev_i32_e32 v10, 31, v9
	v_lshlrev_b64 v[5:6], 2, v[9:10]
	v_mov_b32_e32 v7, s19
	v_add_co_u32_e32 v11, vcc, s18, v5
	v_addc_co_u32_e32 v12, vcc, v7, v6, vcc
	v_lshlrev_b64 v[5:6], 4, v[9:10]
	v_mov_b32_e32 v7, s31
	v_add_co_u32_e32 v13, vcc, s27, v5
	v_addc_co_u32_e32 v14, vcc, v7, v6, vcc
	v_mov_b32_e32 v7, 0
	v_mov_b32_e32 v8, 0
	;; [unrolled: 1-line block ×3, first 2 shown]
	s_mov_b64 s[38:39], 0
	v_mov_b32_e32 v6, v8
.LBB35_9:                               ;   Parent Loop BB35_7 Depth=1
                                        ; =>  This Inner Loop Header: Depth=2
	global_load_dword v10, v[11:12], off
	global_load_dwordx4 v[16:19], v[13:14], off offset:-8
	v_mov_b32_e32 v24, s23
	v_add_u32_e32 v9, 0x100, v9
	v_cmp_le_i32_e64 s[12:13], s33, v9
	s_or_b64 s[38:39], s[12:13], s[38:39]
	s_waitcnt vmcnt(1)
	v_subrev_u32_e32 v20, s30, v10
	v_ashrrev_i32_e32 v21, 31, v20
	v_lshlrev_b64 v[20:21], 4, v[20:21]
	s_waitcnt vmcnt(0)
	v_xor_b32_e32 v10, 0x80000000, v19
	v_add_co_u32_e32 v20, vcc, s22, v20
	v_addc_co_u32_e32 v21, vcc, v24, v21, vcc
	global_load_dwordx4 v[24:27], v[20:21], off
	v_cndmask_b32_e64 v19, v19, v10, s[0:1]
	v_add_co_u32_e32 v11, vcc, 0x400, v11
	v_addc_co_u32_e32 v12, vcc, 0, v12, vcc
	v_add_co_u32_e32 v13, vcc, 0x1000, v13
	v_addc_co_u32_e32 v14, vcc, 0, v14, vcc
	s_waitcnt vmcnt(0)
	v_fma_f64 v[5:6], v[16:17], v[24:25], v[5:6]
	v_fma_f64 v[7:8], v[18:19], v[24:25], v[7:8]
	v_fma_f64 v[5:6], -v[18:19], v[26:27], v[5:6]
	v_fma_f64 v[7:8], v[16:17], v[26:27], v[7:8]
	s_andn2_b64 exec, exec, s[38:39]
	s_cbranch_execnz .LBB35_9
; %bb.10:                               ;   in Loop: Header=BB35_7 Depth=1
	s_or_b64 exec, exec, s[38:39]
.LBB35_11:                              ;   in Loop: Header=BB35_7 Depth=1
	s_or_b64 exec, exec, s[36:37]
	ds_write_b128 v22, v[5:8]
	s_waitcnt lgkmcnt(0)
	s_barrier
	ds_read_b128 v[5:8], v22 offset:4096
	ds_read_b128 v[9:12], v22 offset:8192
	;; [unrolled: 1-line block ×3, first 2 shown]
	ds_read_b128 v[24:27], v22
	s_waitcnt lgkmcnt(2)
	v_add_f64 v[5:6], v[9:10], v[5:6]
	v_add_f64 v[7:8], v[11:12], v[7:8]
	s_waitcnt lgkmcnt(1)
	v_add_f64 v[5:6], v[5:6], v[16:17]
	v_add_f64 v[7:8], v[7:8], v[18:19]
	;; [unrolled: 3-line block ×3, first 2 shown]
	ds_write_b128 v22, v[5:8]
	s_waitcnt lgkmcnt(0)
	s_barrier
	s_and_saveexec_b64 s[12:13], s[2:3]
	s_cbranch_execz .LBB35_13
; %bb.12:                               ;   in Loop: Header=BB35_7 Depth=1
	ds_read_b128 v[5:8], v22 offset:1024
	ds_read_b128 v[9:12], v22 offset:2048
	ds_read_b128 v[16:19], v22 offset:3072
	ds_read_b128 v[24:27], v22
	s_waitcnt lgkmcnt(2)
	v_add_f64 v[5:6], v[9:10], v[5:6]
	v_add_f64 v[7:8], v[11:12], v[7:8]
	s_waitcnt lgkmcnt(1)
	v_add_f64 v[5:6], v[5:6], v[16:17]
	v_add_f64 v[7:8], v[7:8], v[18:19]
	s_waitcnt lgkmcnt(0)
	v_add_f64 v[5:6], v[5:6], v[24:25]
	v_add_f64 v[7:8], v[7:8], v[26:27]
	ds_write_b128 v22, v[5:8]
.LBB35_13:                              ;   in Loop: Header=BB35_7 Depth=1
	s_or_b64 exec, exec, s[12:13]
	s_waitcnt lgkmcnt(0)
	s_barrier
	s_and_saveexec_b64 s[12:13], s[6:7]
	s_cbranch_execz .LBB35_15
; %bb.14:                               ;   in Loop: Header=BB35_7 Depth=1
	ds_read_b128 v[5:8], v22 offset:256
	ds_read_b128 v[9:12], v22 offset:512
	ds_read_b128 v[16:19], v22 offset:768
	ds_read_b128 v[24:27], v22
	s_waitcnt lgkmcnt(2)
	v_add_f64 v[5:6], v[9:10], v[5:6]
	v_add_f64 v[7:8], v[11:12], v[7:8]
	s_waitcnt lgkmcnt(1)
	v_add_f64 v[5:6], v[5:6], v[16:17]
	v_add_f64 v[7:8], v[7:8], v[18:19]
	s_waitcnt lgkmcnt(0)
	v_add_f64 v[5:6], v[5:6], v[24:25]
	v_add_f64 v[7:8], v[7:8], v[26:27]
	ds_write_b128 v22, v[5:8]
.LBB35_15:                              ;   in Loop: Header=BB35_7 Depth=1
	s_or_b64 exec, exec, s[12:13]
	;; [unrolled: 21-line block ×4, first 2 shown]
	s_waitcnt lgkmcnt(0)
	s_barrier
	s_and_saveexec_b64 s[12:13], s[10:11]
	s_cbranch_execz .LBB35_6
; %bb.20:                               ;   in Loop: Header=BB35_7 Depth=1
	ds_read_b128 v[5:8], v15
	v_mov_b32_e32 v13, 0
	s_mov_b64 s[36:37], exec
	v_bfrev_b32_e32 v14, 1
	s_waitcnt lgkmcnt(0)
	v_mul_f64 v[9:10], v[7:8], -v[3:4]
	v_fma_f64 v[9:10], v[1:2], v[5:6], v[9:10]
.LBB35_21:                              ;   Parent Loop BB35_7 Depth=1
                                        ; =>  This Inner Loop Header: Depth=2
	s_ff1_i32_b64 s33, s[36:37]
	v_readlane_b32 s39, v10, s33
	v_readlane_b32 s38, v9, s33
	v_add_f64 v[13:14], v[13:14], s[38:39]
	s_lshl_b64 s[38:39], 1, s33
	s_andn2_b64 s[36:37], s[36:37], s[38:39]
	s_cmp_lg_u64 s[36:37], 0
	s_cbranch_scc1 .LBB35_21
; %bb.22:                               ;   in Loop: Header=BB35_7 Depth=1
	s_lshl_b64 s[36:37], s[34:35], 4
	v_mbcnt_lo_u32_b32 v9, exec_lo, 0
	s_add_u32 s36, s14, s36
	v_mbcnt_hi_u32_b32 v9, exec_hi, v9
	s_addc_u32 s37, s15, s37
	v_cmp_eq_u32_e32 vcc, 0, v9
	s_and_saveexec_b64 s[38:39], vcc
	s_xor_b64 s[38:39], exec, s[38:39]
	s_cbranch_execz .LBB35_26
; %bb.23:                               ;   in Loop: Header=BB35_7 Depth=1
	global_load_dwordx2 v[11:12], v15, s[36:37]
	s_mov_b64 s[40:41], 0
.LBB35_24:                              ;   Parent Loop BB35_7 Depth=1
                                        ; =>  This Inner Loop Header: Depth=2
	s_waitcnt vmcnt(0)
	v_add_f64 v[9:10], v[11:12], v[13:14]
	global_atomic_cmpswap_x2 v[9:10], v15, v[9:12], s[36:37] glc
	s_waitcnt vmcnt(0)
	v_cmp_eq_u64_e32 vcc, v[9:10], v[11:12]
	v_mov_b32_e32 v12, v10
	s_or_b64 s[40:41], vcc, s[40:41]
	v_mov_b32_e32 v11, v9
	s_andn2_b64 exec, exec, s[40:41]
	s_cbranch_execnz .LBB35_24
; %bb.25:                               ;   in Loop: Header=BB35_7 Depth=1
	s_or_b64 exec, exec, s[40:41]
.LBB35_26:                              ;   in Loop: Header=BB35_7 Depth=1
	s_or_b64 exec, exec, s[38:39]
	v_mul_f64 v[7:8], v[1:2], v[7:8]
	v_mov_b32_e32 v9, 0
	s_mov_b64 s[38:39], exec
	v_bfrev_b32_e32 v10, 1
	v_fma_f64 v[5:6], v[3:4], v[5:6], v[7:8]
.LBB35_27:                              ;   Parent Loop BB35_7 Depth=1
                                        ; =>  This Inner Loop Header: Depth=2
	s_ff1_i32_b64 s33, s[38:39]
	v_readlane_b32 s41, v6, s33
	v_readlane_b32 s40, v5, s33
	v_add_f64 v[9:10], v[9:10], s[40:41]
	s_lshl_b64 s[40:41], 1, s33
	s_andn2_b64 s[38:39], s[38:39], s[40:41]
	s_cmp_lg_u64 s[38:39], 0
	s_cbranch_scc1 .LBB35_27
; %bb.28:                               ;   in Loop: Header=BB35_7 Depth=1
	v_mbcnt_lo_u32_b32 v5, exec_lo, 0
	v_mbcnt_hi_u32_b32 v5, exec_hi, v5
	v_cmp_eq_u32_e32 vcc, 0, v5
	s_and_saveexec_b64 s[38:39], vcc
	s_xor_b64 s[38:39], exec, s[38:39]
	s_cbranch_execz .LBB35_6
; %bb.29:                               ;   in Loop: Header=BB35_7 Depth=1
	global_load_dwordx2 v[7:8], v15, s[36:37] offset:8
	s_mov_b64 s[38:39], 0
.LBB35_30:                              ;   Parent Loop BB35_7 Depth=1
                                        ; =>  This Inner Loop Header: Depth=2
	s_waitcnt vmcnt(0)
	v_add_f64 v[5:6], v[7:8], v[9:10]
	global_atomic_cmpswap_x2 v[5:6], v15, v[5:8], s[36:37] offset:8 glc
	s_waitcnt vmcnt(0)
	v_cmp_eq_u64_e32 vcc, v[5:6], v[7:8]
	v_mov_b32_e32 v8, v6
	s_or_b64 s[38:39], vcc, s[38:39]
	v_mov_b32_e32 v7, v5
	s_andn2_b64 exec, exec, s[38:39]
	s_cbranch_execnz .LBB35_30
; %bb.31:                               ;   in Loop: Header=BB35_7 Depth=1
	s_or_b64 exec, exec, s[38:39]
	s_branch .LBB35_6
.LBB35_32:
	s_ashr_i32 s3, s28, 31
	s_mov_b32 s2, s28
	s_lshl_b64 s[2:3], s[2:3], 2
	s_add_u32 s2, s16, s2
	s_addc_u32 s3, s17, s3
	s_ashr_i32 s7, s29, 31
	s_mov_b32 s6, s29
	s_lshl_b64 s[6:7], s[6:7], 2
	s_add_u32 s6, s16, s6
	s_addc_u32 s7, s17, s7
	s_load_dword s8, s[6:7], 0x0
	s_load_dword s9, s[2:3], 0x0
	s_waitcnt lgkmcnt(0)
	s_sub_i32 s27, s8, s30
	v_add_u32_e32 v13, s9, v23
	v_cmp_gt_i32_e32 vcc, s27, v13
	s_and_saveexec_b64 s[8:9], vcc
	s_cbranch_execz .LBB35_44
; %bb.33:
	s_add_i32 s31, s29, -1
	s_cmp_lt_i32 s28, s31
	s_cselect_b64 s[2:3], -1, 0
	s_add_i32 s6, s29, -2
	s_cmp_lg_u32 s28, s6
	s_cselect_b64 s[6:7], -1, 0
	s_and_b64 s[2:3], s[2:3], s[6:7]
	v_cndmask_b32_e64 v5, 0, 1, s[2:3]
	s_mov_b64 s[10:11], 0
	v_cmp_ne_u32_e64 s[2:3], 1, v5
	v_mov_b32_e32 v24, s17
	v_mov_b32_e32 v25, s19
	s_branch .LBB35_35
.LBB35_34:                              ;   in Loop: Header=BB35_35 Depth=1
	s_or_b64 exec, exec, s[6:7]
	v_add_u32_e32 v13, 0x100, v13
	v_cmp_le_i32_e32 vcc, s27, v13
	s_or_b64 s[10:11], vcc, s[10:11]
	s_andn2_b64 exec, exec, s[10:11]
	s_cbranch_execz .LBB35_44
.LBB35_35:                              ; =>This Loop Header: Depth=1
                                        ;     Child Loop BB35_37 Depth 2
                                        ;     Child Loop BB35_41 Depth 2
	;; [unrolled: 1-line block ×3, first 2 shown]
	s_and_b64 vcc, exec, s[2:3]
	v_mov_b32_e32 v7, s28
	v_mov_b32_e32 v5, s31
	s_cbranch_vccnz .LBB35_39
; %bb.36:                               ;   in Loop: Header=BB35_35 Depth=1
	s_mov_b64 s[12:13], 0
	v_mov_b32_e32 v7, s28
	v_mov_b32_e32 v5, s31
.LBB35_37:                              ;   Parent Loop BB35_35 Depth=1
                                        ; =>  This Inner Loop Header: Depth=2
	v_add_u32_e32 v6, v5, v7
	v_lshrrev_b32_e32 v8, 31, v6
	v_add_u32_e32 v6, v6, v8
	v_ashrrev_i32_e32 v8, 1, v6
	v_ashrrev_i32_e32 v9, 31, v8
	v_lshlrev_b64 v[9:10], 2, v[8:9]
	v_mov_b32_e32 v11, s17
	v_add_co_u32_e32 v9, vcc, s16, v9
	v_addc_co_u32_e32 v10, vcc, v11, v10, vcc
	global_load_dword v6, v[9:10], off
	s_waitcnt vmcnt(0)
	v_subrev_u32_e32 v6, s30, v6
	v_cmp_lt_i32_e32 vcc, v13, v6
	v_cndmask_b32_e32 v5, v5, v8, vcc
	v_cndmask_b32_e32 v7, v8, v7, vcc
	v_add_u32_e32 v6, -1, v5
	v_cmp_ge_i32_e32 vcc, v7, v5
	v_cmp_eq_u32_e64 s[6:7], v7, v6
	s_or_b64 s[6:7], vcc, s[6:7]
	s_and_b64 s[6:7], exec, s[6:7]
	s_or_b64 s[12:13], s[6:7], s[12:13]
	s_andn2_b64 exec, exec, s[12:13]
	s_cbranch_execnz .LBB35_37
; %bb.38:                               ;   in Loop: Header=BB35_35 Depth=1
	s_or_b64 exec, exec, s[12:13]
.LBB35_39:                              ;   in Loop: Header=BB35_35 Depth=1
	v_ashrrev_i32_e32 v6, 31, v5
	v_lshlrev_b64 v[8:9], 2, v[5:6]
	v_ashrrev_i32_e32 v14, 31, v13
	v_add_co_u32_e32 v8, vcc, s16, v8
	v_addc_co_u32_e32 v9, vcc, v24, v9, vcc
	global_load_dword v6, v[8:9], off
	v_lshlrev_b64 v[8:9], 2, v[13:14]
	v_add_co_u32_e32 v8, vcc, s18, v8
	v_addc_co_u32_e32 v9, vcc, v25, v9, vcc
	global_load_dword v8, v[8:9], off
	s_waitcnt vmcnt(1)
	v_subrev_u32_e32 v6, s30, v6
	v_cmp_lt_i32_e32 vcc, v13, v6
	v_cndmask_b32_e32 v5, v5, v7, vcc
	s_waitcnt vmcnt(0)
	v_subrev_u32_e32 v9, s30, v8
	v_cmp_ne_u32_e32 vcc, v9, v5
	s_and_saveexec_b64 s[6:7], vcc
	s_cbranch_execz .LBB35_34
; %bb.40:                               ;   in Loop: Header=BB35_35 Depth=1
	v_lshlrev_b64 v[6:7], 4, v[13:14]
	v_mov_b32_e32 v8, s21
	v_add_co_u32_e32 v6, vcc, s20, v6
	v_addc_co_u32_e32 v7, vcc, v8, v7, vcc
	global_load_dwordx4 v[18:21], v[6:7], off
	v_ashrrev_i32_e32 v6, 31, v5
	v_lshlrev_b64 v[5:6], 4, v[5:6]
	v_mov_b32_e32 v7, s23
	v_add_co_u32_e32 v5, vcc, s22, v5
	v_addc_co_u32_e32 v6, vcc, v7, v6, vcc
	global_load_dwordx4 v[5:8], v[5:6], off
	v_ashrrev_i32_e32 v10, 31, v9
	v_lshlrev_b64 v[9:10], 4, v[9:10]
	v_mov_b32_e32 v11, s15
	v_add_co_u32_e32 v14, vcc, s14, v9
	v_addc_co_u32_e32 v15, vcc, v11, v10, vcc
	global_load_dwordx2 v[11:12], v[14:15], off
	s_mov_b64 s[12:13], 0
	s_waitcnt vmcnt(2)
	v_xor_b32_e32 v9, 0x80000000, v21
	v_cndmask_b32_e64 v21, v21, v9, s[0:1]
	v_mul_f64 v[9:10], v[1:2], v[20:21]
	v_mul_f64 v[20:21], v[20:21], -v[3:4]
	v_fma_f64 v[16:17], v[3:4], v[18:19], v[9:10]
	v_fma_f64 v[18:19], v[1:2], v[18:19], v[20:21]
	s_waitcnt vmcnt(1)
	v_mul_f64 v[9:10], v[7:8], -v[16:17]
	v_fma_f64 v[20:21], v[18:19], v[5:6], v[9:10]
.LBB35_41:                              ;   Parent Loop BB35_35 Depth=1
                                        ; =>  This Inner Loop Header: Depth=2
	s_waitcnt vmcnt(0)
	v_add_f64 v[9:10], v[11:12], v[20:21]
	global_atomic_cmpswap_x2 v[9:10], v[14:15], v[9:12], off glc
	s_waitcnt vmcnt(0)
	v_cmp_eq_u64_e32 vcc, v[9:10], v[11:12]
	v_mov_b32_e32 v12, v10
	s_or_b64 s[12:13], vcc, s[12:13]
	v_mov_b32_e32 v11, v9
	s_andn2_b64 exec, exec, s[12:13]
	s_cbranch_execnz .LBB35_41
; %bb.42:                               ;   in Loop: Header=BB35_35 Depth=1
	s_or_b64 exec, exec, s[12:13]
	global_load_dwordx2 v[9:10], v[14:15], off offset:8
	v_mul_f64 v[7:8], v[7:8], v[18:19]
	s_mov_b64 s[12:13], 0
	v_fma_f64 v[5:6], v[16:17], v[5:6], v[7:8]
.LBB35_43:                              ;   Parent Loop BB35_35 Depth=1
                                        ; =>  This Inner Loop Header: Depth=2
	s_waitcnt vmcnt(0)
	v_add_f64 v[7:8], v[9:10], v[5:6]
	global_atomic_cmpswap_x2 v[7:8], v[14:15], v[7:10], off offset:8 glc
	s_waitcnt vmcnt(0)
	v_cmp_eq_u64_e32 vcc, v[7:8], v[9:10]
	v_mov_b32_e32 v10, v8
	s_or_b64 s[12:13], vcc, s[12:13]
	v_mov_b32_e32 v9, v7
	s_andn2_b64 exec, exec, s[12:13]
	s_cbranch_execnz .LBB35_43
	s_branch .LBB35_34
.LBB35_44:
	s_or_b64 exec, exec, s[8:9]
	s_mov_b64 s[2:3], 0
.LBB35_45:
	s_and_b64 vcc, exec, s[2:3]
	s_cbranch_vccz .LBB35_203
; %bb.46:
	v_cvt_f32_u32_e32 v5, s24
	s_ashr_i32 s3, s28, 31
	s_mov_b32 s2, s28
	s_sub_i32 s8, 0, s24
	v_rcp_iflag_f32_e32 v5, v5
	s_lshl_b64 s[2:3], s[2:3], 2
	s_add_u32 s6, s16, s2
	s_addc_u32 s7, s17, s3
	s_load_dword s27, s[6:7], 0x0
	v_mul_f32_e32 v5, 0x4f7ffffe, v5
	v_cvt_u32_f32_e32 v5, v5
	s_load_dword s12, s[4:5], 0x74
	s_waitcnt lgkmcnt(0)
	v_add_u32_e32 v9, s27, v23
	v_readfirstlane_b32 s13, v5
	s_mul_i32 s8, s8, s13
	v_add_u32_e32 v20, 0x300, v9
	s_mul_hi_u32 s31, s13, s8
	v_cmp_le_i32_e64 s[2:3], s25, v20
	s_and_saveexec_b64 s[4:5], s[2:3]
	s_xor_b64 s[4:5], exec, s[4:5]
	s_cbranch_execz .LBB35_51
; %bb.47:
	s_ashr_i32 s9, s29, 31
	s_mov_b32 s8, s29
	s_lshl_b64 s[8:9], s[8:9], 2
	s_add_u32 s8, s16, s8
	s_addc_u32 s9, s17, s9
	s_load_dword s8, s[8:9], 0x0
	s_waitcnt lgkmcnt(0)
	s_sub_i32 s25, s8, s27
	v_cmp_gt_i32_e32 vcc, s25, v0
	s_and_saveexec_b64 s[8:9], vcc
	s_cbranch_execz .LBB35_50
; %bb.48:
	s_sub_i32 s33, s27, s30
	s_mov_b64 s[10:11], 0
	v_mov_b32_e32 v5, s21
	v_mov_b32_e32 v6, v22
	;; [unrolled: 1-line block ×3, first 2 shown]
.LBB35_49:                              ; =>This Inner Loop Header: Depth=1
	v_add_u32_e32 v10, s33, v7
	v_ashrrev_i32_e32 v11, 31, v10
	v_lshlrev_b64 v[10:11], 4, v[10:11]
	v_add_u32_e32 v7, 0x100, v7
	v_add_co_u32_e32 v10, vcc, s20, v10
	v_addc_co_u32_e32 v11, vcc, v5, v11, vcc
	global_load_dwordx4 v[10:13], v[10:11], off
	v_cmp_le_i32_e32 vcc, s25, v7
	s_or_b64 s[10:11], vcc, s[10:11]
	s_waitcnt vmcnt(0)
	v_xor_b32_e32 v8, 0x80000000, v13
	v_cndmask_b32_e64 v13, v13, v8, s[0:1]
	v_mul_f64 v[14:15], v[12:13], -v[3:4]
	v_mul_f64 v[16:17], v[1:2], v[12:13]
	v_fma_f64 v[12:13], v[1:2], v[10:11], v[14:15]
	v_fma_f64 v[14:15], v[3:4], v[10:11], v[16:17]
	ds_write_b128 v6, v[12:15]
	v_add_u32_e32 v6, 0x1000, v6
	s_andn2_b64 exec, exec, s[10:11]
	s_cbranch_execnz .LBB35_49
.LBB35_50:
	s_or_b64 exec, exec, s[8:9]
                                        ; implicit-def: $vgpr3_vgpr4
.LBB35_51:
	s_or_saveexec_b64 s[4:5], s[4:5]
	s_and_b32 s25, s12, 0xffff
	s_add_i32 s8, s13, s31
	v_ashrrev_i32_e32 v10, 31, v9
	s_xor_b64 exec, exec, s[4:5]
	s_cbranch_execz .LBB35_53
; %bb.52:
	v_lshlrev_b64 v[5:6], 4, v[9:10]
	v_mov_b32_e32 v7, s21
	v_add_co_u32_e32 v23, vcc, s20, v5
	v_addc_co_u32_e32 v24, vcc, v7, v6, vcc
	s_movk_i32 s9, 0x2000
	v_add_co_u32_e32 v25, vcc, s9, v23
	global_load_dwordx4 v[5:8], v[23:24], off
	v_addc_co_u32_e32 v26, vcc, 0, v24, vcc
	s_movk_i32 s9, 0x3000
	v_add_co_u32_e32 v23, vcc, s9, v23
	global_load_dwordx4 v[11:14], v[25:26], off offset:-4096
	global_load_dwordx4 v[15:18], v[25:26], off
	v_addc_co_u32_e32 v24, vcc, 0, v24, vcc
	global_load_dwordx4 v[23:26], v[23:24], off
	s_waitcnt vmcnt(3)
	v_xor_b32_e32 v19, 0x80000000, v8
	v_cndmask_b32_e64 v8, v8, v19, s[0:1]
	v_mul_f64 v[27:28], v[7:8], -v[3:4]
	v_mul_f64 v[7:8], v[1:2], v[7:8]
	s_waitcnt vmcnt(2)
	v_xor_b32_e32 v19, 0x80000000, v14
	s_waitcnt vmcnt(1)
	v_xor_b32_e32 v21, 0x80000000, v18
	v_cndmask_b32_e64 v14, v14, v19, s[0:1]
	v_cndmask_b32_e64 v18, v18, v21, s[0:1]
	s_waitcnt vmcnt(0)
	v_xor_b32_e32 v19, 0x80000000, v26
	v_mul_f64 v[29:30], v[13:14], -v[3:4]
	v_mul_f64 v[13:14], v[1:2], v[13:14]
	v_mul_f64 v[31:32], v[17:18], -v[3:4]
	v_mul_f64 v[17:18], v[1:2], v[17:18]
	v_cndmask_b32_e64 v26, v26, v19, s[0:1]
	v_mul_f64 v[33:34], v[25:26], -v[3:4]
	v_mul_f64 v[35:36], v[1:2], v[25:26]
	v_fma_f64 v[25:26], v[1:2], v[5:6], v[27:28]
	v_fma_f64 v[27:28], v[3:4], v[5:6], v[7:8]
	;; [unrolled: 1-line block ×8, first 2 shown]
	ds_write_b128 v22, v[25:28]
	ds_write_b128 v22, v[5:8] offset:4096
	ds_write_b128 v22, v[11:14] offset:8192
	;; [unrolled: 1-line block ×3, first 2 shown]
.LBB35_53:
	s_or_b64 exec, exec, s[4:5]
	s_mul_hi_u32 s31, s25, s8
	v_cmp_gt_i32_e32 vcc, s26, v0
	s_and_saveexec_b64 s[0:1], vcc
	s_cbranch_execz .LBB35_56
; %bb.54:
	s_mov_b32 s8, 0
	v_mov_b32_e32 v1, 0x4000
	s_mov_b32 s10, s8
	v_lshl_add_u32 v5, v0, 4, v1
	s_mov_b32 s9, s8
	s_mov_b32 s11, s8
	v_mov_b32_e32 v1, s8
	v_mov_b32_e32 v3, s10
	s_mov_b64 s[4:5], 0
	v_mov_b32_e32 v2, s9
	v_mov_b32_e32 v4, s11
	;; [unrolled: 1-line block ×3, first 2 shown]
.LBB35_55:                              ; =>This Inner Loop Header: Depth=1
	v_add_u32_e32 v6, 0x100, v6
	v_cmp_le_i32_e32 vcc, s26, v6
	ds_write2_b64 v5, v[1:2], v[3:4] offset1:1
	s_or_b64 s[4:5], vcc, s[4:5]
	v_add_u32_e32 v5, 0x1000, v5
	s_andn2_b64 exec, exec, s[4:5]
	s_cbranch_execnz .LBB35_55
.LBB35_56:
	s_or_b64 exec, exec, s[0:1]
	s_sub_i32 s0, s29, s26
	s_cmp_ge_i32 s29, s26
	s_cselect_b32 s33, s0, 0
	s_waitcnt lgkmcnt(0)
	s_barrier
	s_and_saveexec_b64 s[0:1], s[2:3]
	s_xor_b64 s[4:5], exec, s[0:1]
	s_cbranch_execz .LBB35_81
; %bb.57:
	s_ashr_i32 s1, s29, 31
	s_mov_b32 s0, s29
	s_lshl_b64 s[0:1], s[0:1], 2
	s_add_u32 s0, s16, s0
	s_addc_u32 s1, s17, s1
	s_load_dword s0, s[0:1], 0x0
	s_waitcnt lgkmcnt(0)
	s_sub_i32 s34, s0, s27
	v_cmp_gt_i32_e32 vcc, s34, v0
	s_and_saveexec_b64 s[8:9], vcc
	s_cbranch_execz .LBB35_80
; %bb.58:
	s_add_i32 s35, s29, -1
	s_add_i32 s1, s29, -2
	s_cmp_lg_u32 s28, s1
	s_cselect_b64 s[2:3], -1, 0
	v_cndmask_b32_e64 v1, 0, 1, s[2:3]
	s_sub_i32 s36, s0, s30
	s_mov_b32 s37, 0
	s_mov_b64 s[10:11], 0
	v_cmp_ne_u32_e64 s[0:1], 1, v1
	v_mov_b32_e32 v18, s17
	v_mov_b32_e32 v19, s19
	;; [unrolled: 1-line block ×4, first 2 shown]
	s_branch .LBB35_61
.LBB35_59:                              ;   in Loop: Header=BB35_61 Depth=1
	s_or_b64 exec, exec, s[2:3]
	v_xor_b32_e32 v6, 0x80000000, v4
	v_mov_b32_e32 v5, v3
.LBB35_60:                              ;   in Loop: Header=BB35_61 Depth=1
	s_or_b64 exec, exec, s[12:13]
	v_ashrrev_i32_e32 v11, 31, v10
	v_lshlrev_b64 v[7:8], 4, v[10:11]
	s_addk_i32 s37, 0x100
	v_add_co_u32_e32 v7, vcc, s22, v7
	v_addc_co_u32_e32 v8, vcc, v20, v8, vcc
	global_load_dwordx4 v[10:13], v[7:8], off
	s_waitcnt vmcnt(0)
	v_mul_f64 v[5:6], v[12:13], v[5:6]
	v_mul_f64 v[7:8], v[12:13], v[1:2]
	v_fma_f64 v[1:2], v[1:2], v[10:11], v[5:6]
	v_fma_f64 v[3:4], v[3:4], v[10:11], v[7:8]
	v_add_u32_e32 v5, s37, v0
	v_cmp_le_i32_e32 vcc, s34, v5
	s_or_b64 s[10:11], vcc, s[10:11]
	ds_write_b128 v23, v[1:4]
	s_andn2_b64 exec, exec, s[10:11]
	s_cbranch_execz .LBB35_80
.LBB35_61:                              ; =>This Loop Header: Depth=1
                                        ;     Child Loop BB35_63 Depth 2
                                        ;     Child Loop BB35_70 Depth 2
                                        ;     Child Loop BB35_72 Depth 2
                                        ;     Child Loop BB35_76 Depth 2
                                        ;     Child Loop BB35_78 Depth 2
	v_add_u32_e32 v1, s37, v9
	s_and_b64 vcc, exec, s[0:1]
	v_mov_b32_e32 v5, s28
	v_mov_b32_e32 v3, s35
	s_cbranch_vccnz .LBB35_65
; %bb.62:                               ;   in Loop: Header=BB35_61 Depth=1
	s_mov_b64 s[12:13], 0
	v_mov_b32_e32 v5, s28
	v_mov_b32_e32 v3, s35
.LBB35_63:                              ;   Parent Loop BB35_61 Depth=1
                                        ; =>  This Inner Loop Header: Depth=2
	v_add_u32_e32 v2, v3, v5
	v_lshrrev_b32_e32 v6, 31, v2
	v_add_u32_e32 v2, v2, v6
	v_ashrrev_i32_e32 v6, 1, v2
	v_ashrrev_i32_e32 v7, 31, v6
	v_lshlrev_b64 v[7:8], 2, v[6:7]
	v_mov_b32_e32 v4, s17
	v_add_co_u32_e32 v7, vcc, s16, v7
	v_addc_co_u32_e32 v8, vcc, v4, v8, vcc
	global_load_dword v2, v[7:8], off
	s_waitcnt vmcnt(0)
	v_subrev_u32_e32 v2, s30, v2
	v_cmp_lt_i32_e32 vcc, v1, v2
	v_cndmask_b32_e32 v3, v3, v6, vcc
	v_cndmask_b32_e32 v5, v6, v5, vcc
	v_add_u32_e32 v2, -1, v3
	v_cmp_ge_i32_e32 vcc, v5, v3
	v_cmp_eq_u32_e64 s[2:3], v5, v2
	s_or_b64 s[2:3], vcc, s[2:3]
	s_and_b64 s[2:3], exec, s[2:3]
	s_or_b64 s[12:13], s[2:3], s[12:13]
	s_andn2_b64 exec, exec, s[12:13]
	s_cbranch_execnz .LBB35_63
; %bb.64:                               ;   in Loop: Header=BB35_61 Depth=1
	s_or_b64 exec, exec, s[12:13]
.LBB35_65:                              ;   in Loop: Header=BB35_61 Depth=1
	v_ashrrev_i32_e32 v4, 31, v3
	v_lshlrev_b64 v[6:7], 2, v[3:4]
	v_ashrrev_i32_e32 v2, 31, v1
	v_add_co_u32_e32 v6, vcc, s16, v6
	v_addc_co_u32_e32 v7, vcc, v18, v7, vcc
	global_load_dword v4, v[6:7], off
	v_lshlrev_b64 v[6:7], 2, v[1:2]
	v_lshl_add_u32 v23, s37, 4, v22
	v_add_co_u32_e32 v6, vcc, s18, v6
	v_addc_co_u32_e32 v7, vcc, v19, v7, vcc
	global_load_dword v2, v[6:7], off
	v_cmp_le_i32_e32 vcc, s36, v1
	s_waitcnt vmcnt(1)
	v_subrev_u32_e32 v4, s30, v4
	v_cmp_lt_i32_e64 s[2:3], v1, v4
	v_cndmask_b32_e64 v7, v3, v5, s[2:3]
                                        ; implicit-def: $vgpr5_vgpr6
	s_waitcnt vmcnt(0)
	v_subrev_u32_e32 v10, s30, v2
	v_cmp_eq_u32_e64 s[2:3], v10, v7
	s_or_b64 s[2:3], s[2:3], vcc
                                        ; implicit-def: $vgpr1_vgpr2
	s_and_saveexec_b64 s[12:13], s[2:3]
	s_xor_b64 s[2:3], exec, s[12:13]
	s_cbranch_execz .LBB35_67
; %bb.66:                               ;   in Loop: Header=BB35_61 Depth=1
	ds_read_b128 v[1:4], v23
                                        ; implicit-def: $vgpr7
	s_waitcnt lgkmcnt(0)
	v_xor_b32_e32 v6, 0x80000000, v4
	v_mov_b32_e32 v5, v3
.LBB35_67:                              ;   in Loop: Header=BB35_61 Depth=1
	s_andn2_saveexec_b64 s[12:13], s[2:3]
	s_cbranch_execz .LBB35_60
; %bb.68:                               ;   in Loop: Header=BB35_61 Depth=1
	v_ashrrev_i32_e32 v8, 31, v7
	v_lshlrev_b64 v[1:2], 4, v[7:8]
	v_mov_b32_e32 v3, s23
	v_add_co_u32_e32 v1, vcc, s22, v1
	v_addc_co_u32_e32 v2, vcc, v3, v2, vcc
	global_load_dwordx4 v[5:8], v[1:2], off
	ds_read_b128 v[1:4], v23
	v_cmp_gt_i32_e32 vcc, s33, v10
	v_cmp_le_i32_e64 s[2:3], s29, v10
	s_or_b64 s[2:3], vcc, s[2:3]
	s_waitcnt vmcnt(0) lgkmcnt(0)
	v_mul_f64 v[11:12], v[7:8], -v[3:4]
	v_mul_f64 v[7:8], v[7:8], v[1:2]
	v_fma_f64 v[14:15], v[1:2], v[5:6], v[11:12]
	v_fma_f64 v[12:13], v[3:4], v[5:6], v[7:8]
	s_and_saveexec_b64 s[20:21], s[2:3]
	s_xor_b64 s[2:3], exec, s[20:21]
	s_cbranch_execz .LBB35_74
; %bb.69:                               ;   in Loop: Header=BB35_61 Depth=1
	v_ashrrev_i32_e32 v11, 31, v10
	v_lshlrev_b64 v[5:6], 4, v[10:11]
	v_mov_b32_e32 v7, s15
	v_add_co_u32_e32 v16, vcc, s14, v5
	v_addc_co_u32_e32 v17, vcc, v7, v6, vcc
	global_load_dwordx2 v[7:8], v[16:17], off
	s_mov_b64 s[20:21], 0
.LBB35_70:                              ;   Parent Loop BB35_61 Depth=1
                                        ; =>  This Inner Loop Header: Depth=2
	s_waitcnt vmcnt(0)
	v_add_f64 v[5:6], v[7:8], v[14:15]
	global_atomic_cmpswap_x2 v[5:6], v[16:17], v[5:8], off glc
	s_waitcnt vmcnt(0)
	v_cmp_eq_u64_e32 vcc, v[5:6], v[7:8]
	v_mov_b32_e32 v8, v6
	s_or_b64 s[20:21], vcc, s[20:21]
	v_mov_b32_e32 v7, v5
	s_andn2_b64 exec, exec, s[20:21]
	s_cbranch_execnz .LBB35_70
; %bb.71:                               ;   in Loop: Header=BB35_61 Depth=1
	s_or_b64 exec, exec, s[20:21]
	global_load_dwordx2 v[7:8], v[16:17], off offset:8
	s_mov_b64 s[20:21], 0
.LBB35_72:                              ;   Parent Loop BB35_61 Depth=1
                                        ; =>  This Inner Loop Header: Depth=2
	s_waitcnt vmcnt(0)
	v_add_f64 v[5:6], v[7:8], v[12:13]
	global_atomic_cmpswap_x2 v[5:6], v[16:17], v[5:8], off offset:8 glc
	s_waitcnt vmcnt(0)
	v_cmp_eq_u64_e32 vcc, v[5:6], v[7:8]
	v_mov_b32_e32 v8, v6
	s_or_b64 s[20:21], vcc, s[20:21]
	v_mov_b32_e32 v7, v5
	s_andn2_b64 exec, exec, s[20:21]
	s_cbranch_execnz .LBB35_72
; %bb.73:                               ;   in Loop: Header=BB35_61 Depth=1
	s_or_b64 exec, exec, s[20:21]
                                        ; implicit-def: $vgpr12_vgpr13
                                        ; implicit-def: $vgpr14_vgpr15
.LBB35_74:                              ;   in Loop: Header=BB35_61 Depth=1
	s_andn2_saveexec_b64 s[2:3], s[2:3]
	s_cbranch_execz .LBB35_59
; %bb.75:                               ;   in Loop: Header=BB35_61 Depth=1
	v_subrev_u32_e32 v5, s33, v10
	v_lshl_add_u32 v7, v5, 4, v21
	ds_read_b64 v[5:6], v7
	s_mov_b64 s[20:21], 0
.LBB35_76:                              ;   Parent Loop BB35_61 Depth=1
                                        ; =>  This Inner Loop Header: Depth=2
	s_waitcnt lgkmcnt(0)
	v_add_f64 v[16:17], v[5:6], v[14:15]
	ds_cmpst_rtn_b64 v[16:17], v7, v[5:6], v[16:17]
	s_waitcnt lgkmcnt(0)
	v_cmp_eq_u64_e32 vcc, v[16:17], v[5:6]
	v_mov_b32_e32 v5, v16
	s_or_b64 s[20:21], vcc, s[20:21]
	v_mov_b32_e32 v6, v17
	s_andn2_b64 exec, exec, s[20:21]
	s_cbranch_execnz .LBB35_76
; %bb.77:                               ;   in Loop: Header=BB35_61 Depth=1
	s_or_b64 exec, exec, s[20:21]
	ds_read_b64 v[5:6], v7 offset:8
	s_mov_b64 s[20:21], 0
.LBB35_78:                              ;   Parent Loop BB35_61 Depth=1
                                        ; =>  This Inner Loop Header: Depth=2
	s_waitcnt lgkmcnt(0)
	v_add_f64 v[14:15], v[5:6], v[12:13]
	ds_cmpst_rtn_b64 v[14:15], v7, v[5:6], v[14:15] offset:8
	s_waitcnt lgkmcnt(0)
	v_cmp_eq_u64_e32 vcc, v[14:15], v[5:6]
	v_mov_b32_e32 v5, v14
	s_or_b64 s[20:21], vcc, s[20:21]
	v_mov_b32_e32 v6, v15
	s_andn2_b64 exec, exec, s[20:21]
	s_cbranch_execnz .LBB35_78
; %bb.79:                               ;   in Loop: Header=BB35_61 Depth=1
	s_or_b64 exec, exec, s[20:21]
	s_branch .LBB35_59
.LBB35_80:
	s_or_b64 exec, exec, s[8:9]
                                        ; implicit-def: $vgpr20
                                        ; implicit-def: $vgpr9
.LBB35_81:
	s_andn2_saveexec_b64 s[4:5], s[4:5]
	s_cbranch_execz .LBB35_167
; %bb.82:
	s_add_i32 s20, s29, -1
	s_add_i32 s0, s29, -2
	s_cmp_lg_u32 s28, s0
	s_cselect_b64 s[2:3], -1, 0
	s_cmp_eq_u32 s28, s0
	v_mov_b32_e32 v3, s28
	v_mov_b32_e32 v1, s20
	s_cbranch_scc1 .LBB35_86
; %bb.83:
	s_mov_b64 s[8:9], 0
	v_mov_b32_e32 v3, s28
	v_mov_b32_e32 v1, s20
	;; [unrolled: 1-line block ×3, first 2 shown]
.LBB35_84:                              ; =>This Inner Loop Header: Depth=1
	v_add_u32_e32 v4, v1, v3
	v_lshrrev_b32_e32 v5, 31, v4
	v_add_u32_e32 v4, v4, v5
	v_ashrrev_i32_e32 v4, 1, v4
	v_ashrrev_i32_e32 v5, 31, v4
	v_lshlrev_b64 v[5:6], 2, v[4:5]
	v_add_co_u32_e32 v5, vcc, s16, v5
	v_addc_co_u32_e32 v6, vcc, v2, v6, vcc
	global_load_dword v5, v[5:6], off
	s_waitcnt vmcnt(0)
	v_subrev_u32_e32 v5, s30, v5
	v_cmp_lt_i32_e32 vcc, v9, v5
	v_cndmask_b32_e32 v1, v1, v4, vcc
	v_cndmask_b32_e32 v3, v4, v3, vcc
	v_add_u32_e32 v4, -1, v1
	v_cmp_ge_i32_e32 vcc, v3, v1
	v_cmp_eq_u32_e64 s[0:1], v3, v4
	s_or_b64 s[0:1], vcc, s[0:1]
	s_and_b64 s[0:1], exec, s[0:1]
	s_or_b64 s[8:9], s[0:1], s[8:9]
	s_andn2_b64 exec, exec, s[8:9]
	s_cbranch_execnz .LBB35_84
; %bb.85:
	s_or_b64 exec, exec, s[8:9]
.LBB35_86:
	v_ashrrev_i32_e32 v2, 31, v1
	v_lshlrev_b64 v[4:5], 2, v[1:2]
	v_mov_b32_e32 v2, s17
	v_add_co_u32_e32 v4, vcc, s16, v4
	v_addc_co_u32_e32 v5, vcc, v2, v5, vcc
	global_load_dword v2, v[4:5], off
	v_lshlrev_b64 v[4:5], 2, v[9:10]
	v_mov_b32_e32 v6, s19
	v_add_co_u32_e32 v10, vcc, s18, v4
	v_addc_co_u32_e32 v11, vcc, v6, v5, vcc
	global_load_dword v4, v[10:11], off
	s_ashr_i32 s1, s29, 31
	s_mov_b32 s0, s29
	s_lshl_b64 s[0:1], s[0:1], 2
	s_add_u32 s8, s16, s0
	s_addc_u32 s9, s17, s1
	s_waitcnt vmcnt(1)
	v_subrev_u32_e32 v2, s30, v2
	v_cmp_lt_i32_e32 vcc, v9, v2
	v_cndmask_b32_e32 v5, v1, v3, vcc
	s_waitcnt vmcnt(0)
	v_subrev_u32_e32 v12, s30, v4
	v_cmp_ne_u32_e32 vcc, v12, v5
                                        ; implicit-def: $vgpr1_vgpr2
	s_and_saveexec_b64 s[0:1], vcc
	s_xor_b64 s[10:11], exec, s[0:1]
	s_cbranch_execz .LBB35_101
; %bb.87:
	s_load_dword s0, s[8:9], 0x0
	ds_read_b128 v[1:4], v22
	s_waitcnt lgkmcnt(0)
	s_sub_i32 s0, s0, s30
	v_cmp_gt_i32_e32 vcc, s0, v9
	s_and_saveexec_b64 s[12:13], vcc
	s_cbranch_execz .LBB35_100
; %bb.88:
	v_ashrrev_i32_e32 v6, 31, v5
	v_lshlrev_b64 v[5:6], 4, v[5:6]
	v_mov_b32_e32 v7, s23
	v_add_co_u32_e32 v5, vcc, s22, v5
	v_addc_co_u32_e32 v6, vcc, v7, v6, vcc
	global_load_dwordx4 v[5:8], v[5:6], off
	v_cmp_gt_i32_e32 vcc, s33, v12
	v_cmp_le_i32_e64 s[0:1], s29, v12
	s_or_b64 s[0:1], vcc, s[0:1]
	s_waitcnt vmcnt(0)
	v_mul_f64 v[13:14], v[7:8], -v[3:4]
	v_mul_f64 v[7:8], v[7:8], v[1:2]
	v_fma_f64 v[16:17], v[1:2], v[5:6], v[13:14]
	v_fma_f64 v[14:15], v[3:4], v[5:6], v[7:8]
	s_and_saveexec_b64 s[18:19], s[0:1]
	s_xor_b64 s[0:1], exec, s[18:19]
	s_cbranch_execz .LBB35_94
; %bb.89:
	v_ashrrev_i32_e32 v13, 31, v12
	v_lshlrev_b64 v[5:6], 4, v[12:13]
	v_mov_b32_e32 v7, s15
	v_add_co_u32_e32 v18, vcc, s14, v5
	v_addc_co_u32_e32 v19, vcc, v7, v6, vcc
	global_load_dwordx2 v[7:8], v[18:19], off
	s_mov_b64 s[18:19], 0
.LBB35_90:                              ; =>This Inner Loop Header: Depth=1
	s_waitcnt vmcnt(0)
	v_add_f64 v[5:6], v[7:8], v[16:17]
	global_atomic_cmpswap_x2 v[5:6], v[18:19], v[5:8], off glc
	s_waitcnt vmcnt(0)
	v_cmp_eq_u64_e32 vcc, v[5:6], v[7:8]
	v_mov_b32_e32 v8, v6
	s_or_b64 s[18:19], vcc, s[18:19]
	v_mov_b32_e32 v7, v5
	s_andn2_b64 exec, exec, s[18:19]
	s_cbranch_execnz .LBB35_90
; %bb.91:
	s_or_b64 exec, exec, s[18:19]
	global_load_dwordx2 v[7:8], v[18:19], off offset:8
	s_mov_b64 s[18:19], 0
.LBB35_92:                              ; =>This Inner Loop Header: Depth=1
	s_waitcnt vmcnt(0)
	v_add_f64 v[5:6], v[7:8], v[14:15]
	global_atomic_cmpswap_x2 v[5:6], v[18:19], v[5:8], off offset:8 glc
	s_waitcnt vmcnt(0)
	v_cmp_eq_u64_e32 vcc, v[5:6], v[7:8]
	v_mov_b32_e32 v8, v6
	s_or_b64 s[18:19], vcc, s[18:19]
	v_mov_b32_e32 v7, v5
	s_andn2_b64 exec, exec, s[18:19]
	s_cbranch_execnz .LBB35_92
; %bb.93:
	s_or_b64 exec, exec, s[18:19]
                                        ; implicit-def: $vgpr14_vgpr15
                                        ; implicit-def: $vgpr16_vgpr17
.LBB35_94:
	s_andn2_saveexec_b64 s[0:1], s[0:1]
	s_cbranch_execz .LBB35_100
; %bb.95:
	v_subrev_u32_e32 v5, s33, v12
	v_mov_b32_e32 v6, 0x4000
	v_lshl_add_u32 v7, v5, 4, v6
	ds_read_b64 v[5:6], v7
	s_mov_b64 s[0:1], 0
.LBB35_96:                              ; =>This Inner Loop Header: Depth=1
	s_waitcnt lgkmcnt(0)
	v_add_f64 v[18:19], v[5:6], v[16:17]
	ds_cmpst_rtn_b64 v[18:19], v7, v[5:6], v[18:19]
	s_waitcnt lgkmcnt(0)
	v_cmp_eq_u64_e32 vcc, v[18:19], v[5:6]
	v_mov_b32_e32 v5, v18
	s_or_b64 s[0:1], vcc, s[0:1]
	v_mov_b32_e32 v6, v19
	s_andn2_b64 exec, exec, s[0:1]
	s_cbranch_execnz .LBB35_96
; %bb.97:
	s_or_b64 exec, exec, s[0:1]
	ds_read_b64 v[5:6], v7 offset:8
	s_mov_b64 s[0:1], 0
.LBB35_98:                              ; =>This Inner Loop Header: Depth=1
	s_waitcnt lgkmcnt(0)
	v_add_f64 v[16:17], v[5:6], v[14:15]
	ds_cmpst_rtn_b64 v[16:17], v7, v[5:6], v[16:17] offset:8
	s_waitcnt lgkmcnt(0)
	v_cmp_eq_u64_e32 vcc, v[16:17], v[5:6]
	v_mov_b32_e32 v5, v16
	s_or_b64 s[0:1], vcc, s[0:1]
	v_mov_b32_e32 v6, v17
	s_andn2_b64 exec, exec, s[0:1]
	s_cbranch_execnz .LBB35_98
; %bb.99:
	s_or_b64 exec, exec, s[0:1]
.LBB35_100:
	s_or_b64 exec, exec, s[12:13]
.LBB35_101:
	s_andn2_saveexec_b64 s[0:1], s[10:11]
; %bb.102:
	ds_read_b128 v[1:4], v22
; %bb.103:
	s_or_b64 exec, exec, s[0:1]
	v_ashrrev_i32_e32 v13, 31, v12
	v_lshlrev_b64 v[5:6], 4, v[12:13]
	v_mov_b32_e32 v7, s23
	v_add_co_u32_e32 v5, vcc, s22, v5
	v_addc_co_u32_e32 v6, vcc, v7, v6, vcc
	global_load_dwordx4 v[5:8], v[5:6], off
	s_andn2_b64 vcc, exec, s[2:3]
	s_waitcnt vmcnt(0) lgkmcnt(0)
	v_mul_f64 v[12:13], v[7:8], -v[3:4]
	v_mul_f64 v[7:8], v[7:8], v[1:2]
	v_fma_f64 v[12:13], v[1:2], v[5:6], v[12:13]
	v_fma_f64 v[14:15], v[3:4], v[5:6], v[7:8]
	v_cndmask_b32_e64 v1, 0, 1, s[2:3]
	v_add_u32_e32 v6, 0x100, v9
	v_mov_b32_e32 v3, s28
	v_cmp_ne_u32_e64 s[0:1], 1, v1
	v_mov_b32_e32 v1, s20
	ds_write_b128 v22, v[12:15]
	s_cbranch_vccnz .LBB35_107
; %bb.104:
	s_mov_b64 s[10:11], 0
	v_mov_b32_e32 v3, s28
	v_mov_b32_e32 v1, s20
	v_mov_b32_e32 v2, s17
.LBB35_105:                             ; =>This Inner Loop Header: Depth=1
	v_add_u32_e32 v4, v1, v3
	v_lshrrev_b32_e32 v5, 31, v4
	v_add_u32_e32 v4, v4, v5
	v_ashrrev_i32_e32 v4, 1, v4
	v_ashrrev_i32_e32 v5, 31, v4
	v_lshlrev_b64 v[7:8], 2, v[4:5]
	v_add_co_u32_e32 v7, vcc, s16, v7
	v_addc_co_u32_e32 v8, vcc, v2, v8, vcc
	global_load_dword v5, v[7:8], off
	s_waitcnt vmcnt(0)
	v_subrev_u32_e32 v5, s30, v5
	v_cmp_lt_i32_e32 vcc, v6, v5
	v_cndmask_b32_e32 v1, v1, v4, vcc
	v_cndmask_b32_e32 v3, v4, v3, vcc
	v_add_u32_e32 v4, -1, v1
	v_cmp_ge_i32_e32 vcc, v3, v1
	v_cmp_eq_u32_e64 s[2:3], v3, v4
	s_or_b64 s[2:3], vcc, s[2:3]
	s_and_b64 s[2:3], exec, s[2:3]
	s_or_b64 s[10:11], s[2:3], s[10:11]
	s_andn2_b64 exec, exec, s[10:11]
	s_cbranch_execnz .LBB35_105
; %bb.106:
	s_or_b64 exec, exec, s[10:11]
.LBB35_107:
	v_ashrrev_i32_e32 v2, 31, v1
	v_lshlrev_b64 v[4:5], 2, v[1:2]
	v_mov_b32_e32 v2, s17
	v_add_co_u32_e32 v4, vcc, s16, v4
	v_addc_co_u32_e32 v5, vcc, v2, v5, vcc
	global_load_dword v2, v[4:5], off
	global_load_dword v7, v[10:11], off offset:1024
	s_waitcnt vmcnt(1)
	v_subrev_u32_e32 v2, s30, v2
	v_cmp_lt_i32_e32 vcc, v6, v2
	v_cndmask_b32_e32 v5, v1, v3, vcc
	s_waitcnt vmcnt(0)
	v_subrev_u32_e32 v12, s30, v7
	v_cmp_ne_u32_e32 vcc, v12, v5
                                        ; implicit-def: $vgpr1_vgpr2
	s_and_saveexec_b64 s[2:3], vcc
	s_xor_b64 s[10:11], exec, s[2:3]
	s_cbranch_execz .LBB35_122
; %bb.108:
	s_load_dword s2, s[8:9], 0x0
	ds_read_b128 v[1:4], v22 offset:4096
	s_waitcnt lgkmcnt(0)
	s_sub_i32 s2, s2, s30
	v_cmp_gt_i32_e32 vcc, s2, v6
	s_and_saveexec_b64 s[12:13], vcc
	s_cbranch_execz .LBB35_121
; %bb.109:
	v_ashrrev_i32_e32 v6, 31, v5
	v_lshlrev_b64 v[5:6], 4, v[5:6]
	v_mov_b32_e32 v7, s23
	v_add_co_u32_e32 v5, vcc, s22, v5
	v_addc_co_u32_e32 v6, vcc, v7, v6, vcc
	global_load_dwordx4 v[5:8], v[5:6], off
	v_cmp_gt_i32_e32 vcc, s33, v12
	v_cmp_le_i32_e64 s[2:3], s29, v12
	s_or_b64 s[2:3], vcc, s[2:3]
	s_waitcnt vmcnt(0)
	v_mul_f64 v[13:14], v[7:8], -v[3:4]
	v_mul_f64 v[7:8], v[7:8], v[1:2]
	v_fma_f64 v[16:17], v[1:2], v[5:6], v[13:14]
	v_fma_f64 v[14:15], v[3:4], v[5:6], v[7:8]
	s_and_saveexec_b64 s[18:19], s[2:3]
	s_xor_b64 s[2:3], exec, s[18:19]
	s_cbranch_execz .LBB35_115
; %bb.110:
	v_ashrrev_i32_e32 v13, 31, v12
	v_lshlrev_b64 v[5:6], 4, v[12:13]
	v_mov_b32_e32 v7, s15
	v_add_co_u32_e32 v18, vcc, s14, v5
	v_addc_co_u32_e32 v19, vcc, v7, v6, vcc
	global_load_dwordx2 v[7:8], v[18:19], off
	s_mov_b64 s[18:19], 0
.LBB35_111:                             ; =>This Inner Loop Header: Depth=1
	s_waitcnt vmcnt(0)
	v_add_f64 v[5:6], v[7:8], v[16:17]
	global_atomic_cmpswap_x2 v[5:6], v[18:19], v[5:8], off glc
	s_waitcnt vmcnt(0)
	v_cmp_eq_u64_e32 vcc, v[5:6], v[7:8]
	v_mov_b32_e32 v8, v6
	s_or_b64 s[18:19], vcc, s[18:19]
	v_mov_b32_e32 v7, v5
	s_andn2_b64 exec, exec, s[18:19]
	s_cbranch_execnz .LBB35_111
; %bb.112:
	s_or_b64 exec, exec, s[18:19]
	global_load_dwordx2 v[7:8], v[18:19], off offset:8
	s_mov_b64 s[18:19], 0
.LBB35_113:                             ; =>This Inner Loop Header: Depth=1
	s_waitcnt vmcnt(0)
	v_add_f64 v[5:6], v[7:8], v[14:15]
	global_atomic_cmpswap_x2 v[5:6], v[18:19], v[5:8], off offset:8 glc
	s_waitcnt vmcnt(0)
	v_cmp_eq_u64_e32 vcc, v[5:6], v[7:8]
	v_mov_b32_e32 v8, v6
	s_or_b64 s[18:19], vcc, s[18:19]
	v_mov_b32_e32 v7, v5
	s_andn2_b64 exec, exec, s[18:19]
	s_cbranch_execnz .LBB35_113
; %bb.114:
	s_or_b64 exec, exec, s[18:19]
                                        ; implicit-def: $vgpr14_vgpr15
                                        ; implicit-def: $vgpr16_vgpr17
.LBB35_115:
	s_andn2_saveexec_b64 s[2:3], s[2:3]
	s_cbranch_execz .LBB35_121
; %bb.116:
	v_subrev_u32_e32 v5, s33, v12
	v_mov_b32_e32 v6, 0x4000
	v_lshl_add_u32 v7, v5, 4, v6
	ds_read_b64 v[5:6], v7
	s_mov_b64 s[2:3], 0
.LBB35_117:                             ; =>This Inner Loop Header: Depth=1
	s_waitcnt lgkmcnt(0)
	v_add_f64 v[18:19], v[5:6], v[16:17]
	ds_cmpst_rtn_b64 v[18:19], v7, v[5:6], v[18:19]
	s_waitcnt lgkmcnt(0)
	v_cmp_eq_u64_e32 vcc, v[18:19], v[5:6]
	v_mov_b32_e32 v5, v18
	s_or_b64 s[2:3], vcc, s[2:3]
	v_mov_b32_e32 v6, v19
	s_andn2_b64 exec, exec, s[2:3]
	s_cbranch_execnz .LBB35_117
; %bb.118:
	s_or_b64 exec, exec, s[2:3]
	ds_read_b64 v[5:6], v7 offset:8
	s_mov_b64 s[2:3], 0
.LBB35_119:                             ; =>This Inner Loop Header: Depth=1
	s_waitcnt lgkmcnt(0)
	v_add_f64 v[16:17], v[5:6], v[14:15]
	ds_cmpst_rtn_b64 v[16:17], v7, v[5:6], v[16:17] offset:8
	s_waitcnt lgkmcnt(0)
	v_cmp_eq_u64_e32 vcc, v[16:17], v[5:6]
	v_mov_b32_e32 v5, v16
	s_or_b64 s[2:3], vcc, s[2:3]
	v_mov_b32_e32 v6, v17
	s_andn2_b64 exec, exec, s[2:3]
	s_cbranch_execnz .LBB35_119
; %bb.120:
	s_or_b64 exec, exec, s[2:3]
.LBB35_121:
	s_or_b64 exec, exec, s[12:13]
.LBB35_122:
	s_andn2_saveexec_b64 s[2:3], s[10:11]
; %bb.123:
	ds_read_b128 v[1:4], v22 offset:4096
; %bb.124:
	s_or_b64 exec, exec, s[2:3]
	v_ashrrev_i32_e32 v13, 31, v12
	v_lshlrev_b64 v[5:6], 4, v[12:13]
	v_mov_b32_e32 v7, s23
	v_add_co_u32_e32 v5, vcc, s22, v5
	v_addc_co_u32_e32 v6, vcc, v7, v6, vcc
	global_load_dwordx4 v[5:8], v[5:6], off
	s_and_b64 vcc, exec, s[0:1]
	s_waitcnt vmcnt(0) lgkmcnt(0)
	v_mul_f64 v[12:13], v[7:8], -v[3:4]
	v_mul_f64 v[7:8], v[7:8], v[1:2]
	v_fma_f64 v[12:13], v[1:2], v[5:6], v[12:13]
	v_fma_f64 v[14:15], v[3:4], v[5:6], v[7:8]
	v_add_u32_e32 v6, 0x200, v9
	v_mov_b32_e32 v3, s28
	v_mov_b32_e32 v1, s20
	ds_write_b128 v22, v[12:15] offset:4096
	s_cbranch_vccnz .LBB35_128
; %bb.125:
	s_mov_b64 s[10:11], 0
	v_mov_b32_e32 v3, s28
	v_mov_b32_e32 v1, s20
	;; [unrolled: 1-line block ×3, first 2 shown]
.LBB35_126:                             ; =>This Inner Loop Header: Depth=1
	v_add_u32_e32 v4, v1, v3
	v_lshrrev_b32_e32 v5, 31, v4
	v_add_u32_e32 v4, v4, v5
	v_ashrrev_i32_e32 v4, 1, v4
	v_ashrrev_i32_e32 v5, 31, v4
	v_lshlrev_b64 v[7:8], 2, v[4:5]
	v_add_co_u32_e32 v7, vcc, s16, v7
	v_addc_co_u32_e32 v8, vcc, v2, v8, vcc
	global_load_dword v5, v[7:8], off
	s_waitcnt vmcnt(0)
	v_subrev_u32_e32 v5, s30, v5
	v_cmp_lt_i32_e32 vcc, v6, v5
	v_cndmask_b32_e32 v1, v1, v4, vcc
	v_cndmask_b32_e32 v3, v4, v3, vcc
	v_add_u32_e32 v4, -1, v1
	v_cmp_ge_i32_e32 vcc, v3, v1
	v_cmp_eq_u32_e64 s[2:3], v3, v4
	s_or_b64 s[2:3], vcc, s[2:3]
	s_and_b64 s[2:3], exec, s[2:3]
	s_or_b64 s[10:11], s[2:3], s[10:11]
	s_andn2_b64 exec, exec, s[10:11]
	s_cbranch_execnz .LBB35_126
; %bb.127:
	s_or_b64 exec, exec, s[10:11]
.LBB35_128:
	v_ashrrev_i32_e32 v2, 31, v1
	v_lshlrev_b64 v[4:5], 2, v[1:2]
	v_mov_b32_e32 v2, s17
	v_add_co_u32_e32 v4, vcc, s16, v4
	v_addc_co_u32_e32 v5, vcc, v2, v5, vcc
	global_load_dword v2, v[4:5], off
	global_load_dword v7, v[10:11], off offset:2048
	s_waitcnt vmcnt(1)
	v_subrev_u32_e32 v2, s30, v2
	v_cmp_lt_i32_e32 vcc, v6, v2
	v_cndmask_b32_e32 v5, v1, v3, vcc
	s_waitcnt vmcnt(0)
	v_subrev_u32_e32 v12, s30, v7
	v_cmp_ne_u32_e32 vcc, v12, v5
                                        ; implicit-def: $vgpr1_vgpr2
	s_and_saveexec_b64 s[2:3], vcc
	s_xor_b64 s[10:11], exec, s[2:3]
	s_cbranch_execz .LBB35_143
; %bb.129:
	s_load_dword s2, s[8:9], 0x0
	ds_read_b128 v[1:4], v22 offset:8192
	s_waitcnt lgkmcnt(0)
	s_sub_i32 s2, s2, s30
	v_cmp_gt_i32_e32 vcc, s2, v6
	s_and_saveexec_b64 s[12:13], vcc
	s_cbranch_execz .LBB35_142
; %bb.130:
	v_ashrrev_i32_e32 v6, 31, v5
	v_lshlrev_b64 v[5:6], 4, v[5:6]
	v_mov_b32_e32 v7, s23
	v_add_co_u32_e32 v5, vcc, s22, v5
	v_addc_co_u32_e32 v6, vcc, v7, v6, vcc
	global_load_dwordx4 v[5:8], v[5:6], off
	v_cmp_gt_i32_e32 vcc, s33, v12
	v_cmp_le_i32_e64 s[2:3], s29, v12
	s_or_b64 s[2:3], vcc, s[2:3]
	s_waitcnt vmcnt(0)
	v_mul_f64 v[13:14], v[7:8], -v[3:4]
	v_mul_f64 v[7:8], v[7:8], v[1:2]
	v_fma_f64 v[16:17], v[1:2], v[5:6], v[13:14]
	v_fma_f64 v[14:15], v[3:4], v[5:6], v[7:8]
	s_and_saveexec_b64 s[18:19], s[2:3]
	s_xor_b64 s[2:3], exec, s[18:19]
	s_cbranch_execz .LBB35_136
; %bb.131:
	v_ashrrev_i32_e32 v13, 31, v12
	v_lshlrev_b64 v[5:6], 4, v[12:13]
	v_mov_b32_e32 v7, s15
	v_add_co_u32_e32 v18, vcc, s14, v5
	v_addc_co_u32_e32 v19, vcc, v7, v6, vcc
	global_load_dwordx2 v[7:8], v[18:19], off
	s_mov_b64 s[18:19], 0
.LBB35_132:                             ; =>This Inner Loop Header: Depth=1
	s_waitcnt vmcnt(0)
	v_add_f64 v[5:6], v[7:8], v[16:17]
	global_atomic_cmpswap_x2 v[5:6], v[18:19], v[5:8], off glc
	s_waitcnt vmcnt(0)
	v_cmp_eq_u64_e32 vcc, v[5:6], v[7:8]
	v_mov_b32_e32 v8, v6
	s_or_b64 s[18:19], vcc, s[18:19]
	v_mov_b32_e32 v7, v5
	s_andn2_b64 exec, exec, s[18:19]
	s_cbranch_execnz .LBB35_132
; %bb.133:
	s_or_b64 exec, exec, s[18:19]
	global_load_dwordx2 v[7:8], v[18:19], off offset:8
	s_mov_b64 s[18:19], 0
.LBB35_134:                             ; =>This Inner Loop Header: Depth=1
	s_waitcnt vmcnt(0)
	v_add_f64 v[5:6], v[7:8], v[14:15]
	global_atomic_cmpswap_x2 v[5:6], v[18:19], v[5:8], off offset:8 glc
	s_waitcnt vmcnt(0)
	v_cmp_eq_u64_e32 vcc, v[5:6], v[7:8]
	v_mov_b32_e32 v8, v6
	s_or_b64 s[18:19], vcc, s[18:19]
	v_mov_b32_e32 v7, v5
	s_andn2_b64 exec, exec, s[18:19]
	s_cbranch_execnz .LBB35_134
; %bb.135:
	s_or_b64 exec, exec, s[18:19]
                                        ; implicit-def: $vgpr14_vgpr15
                                        ; implicit-def: $vgpr16_vgpr17
.LBB35_136:
	s_andn2_saveexec_b64 s[2:3], s[2:3]
	s_cbranch_execz .LBB35_142
; %bb.137:
	v_subrev_u32_e32 v5, s33, v12
	v_mov_b32_e32 v6, 0x4000
	v_lshl_add_u32 v7, v5, 4, v6
	ds_read_b64 v[5:6], v7
	s_mov_b64 s[2:3], 0
.LBB35_138:                             ; =>This Inner Loop Header: Depth=1
	s_waitcnt lgkmcnt(0)
	v_add_f64 v[8:9], v[5:6], v[16:17]
	ds_cmpst_rtn_b64 v[8:9], v7, v[5:6], v[8:9]
	s_waitcnt lgkmcnt(0)
	v_cmp_eq_u64_e32 vcc, v[8:9], v[5:6]
	v_mov_b32_e32 v5, v8
	s_or_b64 s[2:3], vcc, s[2:3]
	v_mov_b32_e32 v6, v9
	s_andn2_b64 exec, exec, s[2:3]
	s_cbranch_execnz .LBB35_138
; %bb.139:
	s_or_b64 exec, exec, s[2:3]
	ds_read_b64 v[5:6], v7 offset:8
	s_mov_b64 s[2:3], 0
.LBB35_140:                             ; =>This Inner Loop Header: Depth=1
	s_waitcnt lgkmcnt(0)
	v_add_f64 v[8:9], v[5:6], v[14:15]
	ds_cmpst_rtn_b64 v[8:9], v7, v[5:6], v[8:9] offset:8
	s_waitcnt lgkmcnt(0)
	v_cmp_eq_u64_e32 vcc, v[8:9], v[5:6]
	v_mov_b32_e32 v5, v8
	s_or_b64 s[2:3], vcc, s[2:3]
	v_mov_b32_e32 v6, v9
	s_andn2_b64 exec, exec, s[2:3]
	s_cbranch_execnz .LBB35_140
; %bb.141:
	s_or_b64 exec, exec, s[2:3]
.LBB35_142:
	s_or_b64 exec, exec, s[12:13]
.LBB35_143:
	s_andn2_saveexec_b64 s[2:3], s[10:11]
; %bb.144:
	ds_read_b128 v[1:4], v22 offset:8192
; %bb.145:
	s_or_b64 exec, exec, s[2:3]
	v_ashrrev_i32_e32 v13, 31, v12
	v_lshlrev_b64 v[5:6], 4, v[12:13]
	v_mov_b32_e32 v7, s23
	v_add_co_u32_e32 v5, vcc, s22, v5
	v_addc_co_u32_e32 v6, vcc, v7, v6, vcc
	global_load_dwordx4 v[5:8], v[5:6], off
	s_and_b64 vcc, exec, s[0:1]
	s_waitcnt vmcnt(0) lgkmcnt(0)
	v_mul_f64 v[12:13], v[7:8], -v[3:4]
	v_mul_f64 v[7:8], v[7:8], v[1:2]
	v_fma_f64 v[12:13], v[1:2], v[5:6], v[12:13]
	v_fma_f64 v[14:15], v[3:4], v[5:6], v[7:8]
	v_mov_b32_e32 v3, s28
	v_mov_b32_e32 v1, s20
	ds_write_b128 v22, v[12:15] offset:8192
	s_cbranch_vccnz .LBB35_149
; %bb.146:
	s_mov_b64 s[2:3], 0
	v_mov_b32_e32 v3, s28
	v_mov_b32_e32 v1, s20
	;; [unrolled: 1-line block ×3, first 2 shown]
.LBB35_147:                             ; =>This Inner Loop Header: Depth=1
	v_add_u32_e32 v4, v1, v3
	v_lshrrev_b32_e32 v5, 31, v4
	v_add_u32_e32 v4, v4, v5
	v_ashrrev_i32_e32 v4, 1, v4
	v_ashrrev_i32_e32 v5, 31, v4
	v_lshlrev_b64 v[5:6], 2, v[4:5]
	v_add_co_u32_e32 v5, vcc, s16, v5
	v_addc_co_u32_e32 v6, vcc, v2, v6, vcc
	global_load_dword v5, v[5:6], off
	s_waitcnt vmcnt(0)
	v_subrev_u32_e32 v5, s30, v5
	v_cmp_lt_i32_e32 vcc, v20, v5
	v_cndmask_b32_e32 v1, v1, v4, vcc
	v_cndmask_b32_e32 v3, v4, v3, vcc
	v_add_u32_e32 v4, -1, v1
	v_cmp_ge_i32_e32 vcc, v3, v1
	v_cmp_eq_u32_e64 s[0:1], v3, v4
	s_or_b64 s[0:1], vcc, s[0:1]
	s_and_b64 s[0:1], exec, s[0:1]
	s_or_b64 s[2:3], s[0:1], s[2:3]
	s_andn2_b64 exec, exec, s[2:3]
	s_cbranch_execnz .LBB35_147
; %bb.148:
	s_or_b64 exec, exec, s[2:3]
.LBB35_149:
	v_ashrrev_i32_e32 v2, 31, v1
	v_lshlrev_b64 v[4:5], 2, v[1:2]
	v_mov_b32_e32 v2, s17
	v_add_co_u32_e32 v4, vcc, s16, v4
	v_addc_co_u32_e32 v5, vcc, v2, v5, vcc
	global_load_dword v2, v[4:5], off
	global_load_dword v6, v[10:11], off offset:3072
	s_waitcnt vmcnt(1)
	v_subrev_u32_e32 v2, s30, v2
	v_cmp_lt_i32_e32 vcc, v20, v2
	v_cndmask_b32_e32 v5, v1, v3, vcc
	s_waitcnt vmcnt(0)
	v_subrev_u32_e32 v9, s30, v6
	v_cmp_ne_u32_e32 vcc, v9, v5
                                        ; implicit-def: $vgpr1_vgpr2
	s_and_saveexec_b64 s[0:1], vcc
	s_xor_b64 s[2:3], exec, s[0:1]
	s_cbranch_execz .LBB35_164
; %bb.150:
	s_load_dword s0, s[8:9], 0x0
	ds_read_b128 v[1:4], v22 offset:12288
	s_waitcnt lgkmcnt(0)
	s_sub_i32 s0, s0, s30
	v_cmp_gt_i32_e32 vcc, s0, v20
	s_and_saveexec_b64 s[8:9], vcc
	s_cbranch_execz .LBB35_163
; %bb.151:
	v_ashrrev_i32_e32 v6, 31, v5
	v_lshlrev_b64 v[5:6], 4, v[5:6]
	v_mov_b32_e32 v7, s23
	v_add_co_u32_e32 v5, vcc, s22, v5
	v_addc_co_u32_e32 v6, vcc, v7, v6, vcc
	global_load_dwordx4 v[5:8], v[5:6], off
	v_cmp_gt_i32_e32 vcc, s33, v9
	v_cmp_le_i32_e64 s[0:1], s29, v9
	s_or_b64 s[0:1], vcc, s[0:1]
	s_waitcnt vmcnt(0)
	v_mul_f64 v[10:11], v[7:8], -v[3:4]
	v_mul_f64 v[7:8], v[7:8], v[1:2]
	v_fma_f64 v[13:14], v[1:2], v[5:6], v[10:11]
	v_fma_f64 v[11:12], v[3:4], v[5:6], v[7:8]
	s_and_saveexec_b64 s[10:11], s[0:1]
	s_xor_b64 s[0:1], exec, s[10:11]
	s_cbranch_execz .LBB35_157
; %bb.152:
	v_ashrrev_i32_e32 v10, 31, v9
	v_lshlrev_b64 v[5:6], 4, v[9:10]
	v_mov_b32_e32 v7, s15
	v_add_co_u32_e32 v15, vcc, s14, v5
	v_addc_co_u32_e32 v16, vcc, v7, v6, vcc
	global_load_dwordx2 v[7:8], v[15:16], off
	s_mov_b64 s[10:11], 0
.LBB35_153:                             ; =>This Inner Loop Header: Depth=1
	s_waitcnt vmcnt(0)
	v_add_f64 v[5:6], v[7:8], v[13:14]
	global_atomic_cmpswap_x2 v[5:6], v[15:16], v[5:8], off glc
	s_waitcnt vmcnt(0)
	v_cmp_eq_u64_e32 vcc, v[5:6], v[7:8]
	v_mov_b32_e32 v8, v6
	s_or_b64 s[10:11], vcc, s[10:11]
	v_mov_b32_e32 v7, v5
	s_andn2_b64 exec, exec, s[10:11]
	s_cbranch_execnz .LBB35_153
; %bb.154:
	s_or_b64 exec, exec, s[10:11]
	global_load_dwordx2 v[7:8], v[15:16], off offset:8
	s_mov_b64 s[10:11], 0
.LBB35_155:                             ; =>This Inner Loop Header: Depth=1
	s_waitcnt vmcnt(0)
	v_add_f64 v[5:6], v[7:8], v[11:12]
	global_atomic_cmpswap_x2 v[5:6], v[15:16], v[5:8], off offset:8 glc
	s_waitcnt vmcnt(0)
	v_cmp_eq_u64_e32 vcc, v[5:6], v[7:8]
	v_mov_b32_e32 v8, v6
	s_or_b64 s[10:11], vcc, s[10:11]
	v_mov_b32_e32 v7, v5
	s_andn2_b64 exec, exec, s[10:11]
	s_cbranch_execnz .LBB35_155
; %bb.156:
	s_or_b64 exec, exec, s[10:11]
                                        ; implicit-def: $vgpr11_vgpr12
                                        ; implicit-def: $vgpr13_vgpr14
.LBB35_157:
	s_andn2_saveexec_b64 s[0:1], s[0:1]
	s_cbranch_execz .LBB35_163
; %bb.158:
	v_subrev_u32_e32 v5, s33, v9
	v_mov_b32_e32 v6, 0x4000
	v_lshl_add_u32 v7, v5, 4, v6
	ds_read_b64 v[5:6], v7
	s_mov_b64 s[0:1], 0
.LBB35_159:                             ; =>This Inner Loop Header: Depth=1
	s_waitcnt lgkmcnt(0)
	v_add_f64 v[15:16], v[5:6], v[13:14]
	ds_cmpst_rtn_b64 v[15:16], v7, v[5:6], v[15:16]
	s_waitcnt lgkmcnt(0)
	v_cmp_eq_u64_e32 vcc, v[15:16], v[5:6]
	v_mov_b32_e32 v5, v15
	s_or_b64 s[0:1], vcc, s[0:1]
	v_mov_b32_e32 v6, v16
	s_andn2_b64 exec, exec, s[0:1]
	s_cbranch_execnz .LBB35_159
; %bb.160:
	s_or_b64 exec, exec, s[0:1]
	ds_read_b64 v[5:6], v7 offset:8
	s_mov_b64 s[0:1], 0
.LBB35_161:                             ; =>This Inner Loop Header: Depth=1
	s_waitcnt lgkmcnt(0)
	v_add_f64 v[13:14], v[5:6], v[11:12]
	ds_cmpst_rtn_b64 v[13:14], v7, v[5:6], v[13:14] offset:8
	s_waitcnt lgkmcnt(0)
	v_cmp_eq_u64_e32 vcc, v[13:14], v[5:6]
	v_mov_b32_e32 v5, v13
	s_or_b64 s[0:1], vcc, s[0:1]
	v_mov_b32_e32 v6, v14
	s_andn2_b64 exec, exec, s[0:1]
	s_cbranch_execnz .LBB35_161
; %bb.162:
	s_or_b64 exec, exec, s[0:1]
.LBB35_163:
	s_or_b64 exec, exec, s[8:9]
.LBB35_164:
	s_andn2_saveexec_b64 s[0:1], s[2:3]
; %bb.165:
	ds_read_b128 v[1:4], v22 offset:12288
; %bb.166:
	s_or_b64 exec, exec, s[0:1]
	v_ashrrev_i32_e32 v10, 31, v9
	v_lshlrev_b64 v[5:6], 4, v[9:10]
	v_mov_b32_e32 v7, s23
	v_add_co_u32_e32 v5, vcc, s22, v5
	v_addc_co_u32_e32 v6, vcc, v7, v6, vcc
	global_load_dwordx4 v[5:8], v[5:6], off
	s_waitcnt vmcnt(0) lgkmcnt(0)
	v_mul_f64 v[9:10], v[7:8], -v[3:4]
	v_mul_f64 v[7:8], v[7:8], v[1:2]
	v_fma_f64 v[1:2], v[1:2], v[5:6], v[9:10]
	v_fma_f64 v[3:4], v[3:4], v[5:6], v[7:8]
	ds_write_b128 v22, v[1:4] offset:12288
.LBB35_167:
	s_or_b64 exec, exec, s[4:5]
	s_min_i32 s8, s29, s26
	s_sub_i32 s10, s8, s24
	v_cmp_gt_i32_e32 vcc, s10, v0
	s_waitcnt lgkmcnt(0)
	s_barrier
	s_and_saveexec_b64 s[0:1], vcc
	s_cbranch_execz .LBB35_174
; %bb.168:
	s_mov_b64 s[2:3], 0
	v_mov_b32_e32 v11, s15
	v_mov_b32_e32 v12, 0x4000
	;; [unrolled: 1-line block ×3, first 2 shown]
.LBB35_169:                             ; =>This Loop Header: Depth=1
                                        ;     Child Loop BB35_170 Depth 2
                                        ;     Child Loop BB35_172 Depth 2
	v_add_u32_e32 v1, s33, v13
	v_ashrrev_i32_e32 v2, 31, v1
	v_lshlrev_b64 v[1:2], 4, v[1:2]
	s_mov_b64 s[4:5], 0
	v_add_co_u32_e32 v9, vcc, s14, v1
	v_addc_co_u32_e32 v10, vcc, v11, v2, vcc
	global_load_dwordx2 v[7:8], v[9:10], off
	v_lshl_add_u32 v1, v13, 4, v12
	ds_read2_b64 v[1:4], v1 offset1:1
.LBB35_170:                             ;   Parent Loop BB35_169 Depth=1
                                        ; =>  This Inner Loop Header: Depth=2
	s_waitcnt vmcnt(0) lgkmcnt(0)
	v_add_f64 v[5:6], v[7:8], v[1:2]
	global_atomic_cmpswap_x2 v[5:6], v[9:10], v[5:8], off glc
	s_waitcnt vmcnt(0)
	v_cmp_eq_u64_e32 vcc, v[5:6], v[7:8]
	v_mov_b32_e32 v8, v6
	s_or_b64 s[4:5], vcc, s[4:5]
	v_mov_b32_e32 v7, v5
	s_andn2_b64 exec, exec, s[4:5]
	s_cbranch_execnz .LBB35_170
; %bb.171:                              ;   in Loop: Header=BB35_169 Depth=1
	s_or_b64 exec, exec, s[4:5]
	global_load_dwordx2 v[7:8], v[9:10], off offset:8
	s_mov_b64 s[4:5], 0
.LBB35_172:                             ;   Parent Loop BB35_169 Depth=1
                                        ; =>  This Inner Loop Header: Depth=2
	s_waitcnt vmcnt(0)
	v_add_f64 v[5:6], v[7:8], v[3:4]
	global_atomic_cmpswap_x2 v[1:2], v[9:10], v[5:8], off offset:8 glc
	s_waitcnt vmcnt(0)
	v_cmp_eq_u64_e32 vcc, v[1:2], v[7:8]
	v_mov_b32_e32 v8, v2
	s_or_b64 s[4:5], vcc, s[4:5]
	v_mov_b32_e32 v7, v1
	s_andn2_b64 exec, exec, s[4:5]
	s_cbranch_execnz .LBB35_172
; %bb.173:                              ;   in Loop: Header=BB35_169 Depth=1
	s_or_b64 exec, exec, s[4:5]
	v_add_u32_e32 v13, 0x100, v13
	v_cmp_le_i32_e32 vcc, s10, v13
	s_or_b64 s[2:3], vcc, s[2:3]
	s_andn2_b64 exec, exec, s[2:3]
	s_cbranch_execnz .LBB35_169
.LBB35_174:
	s_or_b64 exec, exec, s[0:1]
	s_mul_i32 s0, s31, s24
	s_sub_i32 s0, s25, s0
	s_add_i32 s1, s31, 1
	s_sub_i32 s2, s0, s24
	s_cmp_ge_u32 s0, s24
	s_cselect_b32 s1, s1, s31
	s_cselect_b32 s0, s2, s0
	s_add_i32 s2, s1, 1
	s_cmp_ge_u32 s0, s24
	s_cselect_b32 s0, s2, s1
	s_add_i32 s0, s0, -1
	s_ashr_i32 s1, s0, 1
	s_or_b32 s0, s1, s0
	s_ashr_i32 s1, s0, 2
	s_or_b32 s0, s1, s0
	;; [unrolled: 2-line block ×5, first 2 shown]
	s_add_i32 s0, s0, 1
	s_ashr_i32 s11, s0, 1
	v_add_u32_e32 v9, s28, v0
	s_cmp_gt_i32 s11, 1
	s_mov_b64 s[0:1], -1
	s_barrier
	s_cbranch_scc1 .LBB35_187
; %bb.175:
	v_cmp_gt_i32_e32 vcc, s29, v9
	s_and_saveexec_b64 s[0:1], vcc
	s_cbranch_execz .LBB35_186
; %bb.176:
	s_sub_i32 s2, s8, s29
	s_lshl_b32 s2, s2, 4
	s_add_i32 s12, s2, 0x4000
	s_lshl_b32 s2, s27, 4
	s_sub_i32 s13, 0, s2
	s_mov_b64 s[2:3], 0
	v_mov_b32_e32 v16, s17
	v_mov_b32_e32 v17, s15
	;; [unrolled: 1-line block ×3, first 2 shown]
.LBB35_177:                             ; =>This Loop Header: Depth=1
                                        ;     Child Loop BB35_179 Depth 2
                                        ;     Child Loop BB35_182 Depth 2
	;; [unrolled: 1-line block ×3, first 2 shown]
	v_ashrrev_i32_e32 v11, 31, v10
	v_lshlrev_b64 v[1:2], 2, v[10:11]
	v_mov_b32_e32 v12, 0
	v_add_co_u32_e32 v1, vcc, s16, v1
	v_addc_co_u32_e32 v2, vcc, v16, v2, vcc
	global_load_dwordx2 v[1:2], v[1:2], off
	v_mov_b32_e32 v5, 0
	v_mov_b32_e32 v13, 0
	;; [unrolled: 1-line block ×3, first 2 shown]
	s_waitcnt vmcnt(0)
	v_cmp_lt_i32_e32 vcc, v1, v2
	s_and_saveexec_b64 s[4:5], vcc
	s_cbranch_execz .LBB35_181
; %bb.178:                              ;   in Loop: Header=BB35_177 Depth=1
	v_mov_b32_e32 v12, 0
	v_mov_b32_e32 v5, 0
	v_subrev_u32_e32 v2, s27, v2
	v_subrev_u32_e32 v3, s27, v1
	v_lshl_add_u32 v1, v1, 4, s13
	v_mov_b32_e32 v13, 0
	v_mov_b32_e32 v6, 0
	s_mov_b64 s[8:9], 0
.LBB35_179:                             ;   Parent Loop BB35_177 Depth=1
                                        ; =>  This Inner Loop Header: Depth=2
	ds_read_b128 v[18:21], v1
	v_add_u32_e32 v3, 1, v3
	v_cmp_ge_i32_e32 vcc, v3, v2
	s_or_b64 s[8:9], vcc, s[8:9]
	v_add_u32_e32 v1, 16, v1
	s_waitcnt lgkmcnt(0)
	v_add_f64 v[5:6], v[5:6], v[18:19]
	v_add_f64 v[12:13], v[12:13], v[20:21]
	s_andn2_b64 exec, exec, s[8:9]
	s_cbranch_execnz .LBB35_179
; %bb.180:                              ;   in Loop: Header=BB35_177 Depth=1
	s_or_b64 exec, exec, s[8:9]
.LBB35_181:                             ;   in Loop: Header=BB35_177 Depth=1
	s_or_b64 exec, exec, s[4:5]
	v_lshlrev_b64 v[1:2], 4, v[10:11]
	s_mov_b64 s[4:5], 0
	v_add_co_u32_e32 v14, vcc, s14, v1
	v_addc_co_u32_e32 v15, vcc, v17, v2, vcc
	global_load_dwordx2 v[7:8], v[14:15], off
	v_lshl_add_u32 v1, v10, 4, s12
	ds_read2_b64 v[1:4], v1 offset1:1
	s_waitcnt lgkmcnt(0)
	v_add_f64 v[1:2], v[5:6], v[1:2]
.LBB35_182:                             ;   Parent Loop BB35_177 Depth=1
                                        ; =>  This Inner Loop Header: Depth=2
	s_waitcnt vmcnt(0)
	v_add_f64 v[5:6], v[7:8], v[1:2]
	global_atomic_cmpswap_x2 v[5:6], v[14:15], v[5:8], off glc
	s_waitcnt vmcnt(0)
	v_cmp_eq_u64_e32 vcc, v[5:6], v[7:8]
	v_mov_b32_e32 v8, v6
	s_or_b64 s[4:5], vcc, s[4:5]
	v_mov_b32_e32 v7, v5
	s_andn2_b64 exec, exec, s[4:5]
	s_cbranch_execnz .LBB35_182
; %bb.183:                              ;   in Loop: Header=BB35_177 Depth=1
	s_or_b64 exec, exec, s[4:5]
	global_load_dwordx2 v[5:6], v[14:15], off offset:8
	v_add_f64 v[1:2], v[12:13], v[3:4]
	s_mov_b64 s[4:5], 0
.LBB35_184:                             ;   Parent Loop BB35_177 Depth=1
                                        ; =>  This Inner Loop Header: Depth=2
	s_waitcnt vmcnt(0)
	v_add_f64 v[3:4], v[5:6], v[1:2]
	global_atomic_cmpswap_x2 v[3:4], v[14:15], v[3:6], off offset:8 glc
	s_waitcnt vmcnt(0)
	v_cmp_eq_u64_e32 vcc, v[3:4], v[5:6]
	v_mov_b32_e32 v6, v4
	s_or_b64 s[4:5], vcc, s[4:5]
	v_mov_b32_e32 v5, v3
	s_andn2_b64 exec, exec, s[4:5]
	s_cbranch_execnz .LBB35_184
; %bb.185:                              ;   in Loop: Header=BB35_177 Depth=1
	s_or_b64 exec, exec, s[4:5]
	v_add_u32_e32 v10, s25, v10
	v_cmp_le_i32_e32 vcc, s29, v10
	s_or_b64 s[2:3], vcc, s[2:3]
	s_andn2_b64 exec, exec, s[2:3]
	s_cbranch_execnz .LBB35_177
.LBB35_186:
	s_or_b64 exec, exec, s[0:1]
	s_mov_b64 s[0:1], 0
.LBB35_187:
	s_andn2_b64 vcc, exec, s[0:1]
	s_cbranch_vccnz .LBB35_203
; %bb.188:
	v_cvt_f32_u32_e32 v1, s11
	s_sub_i32 s0, 0, s11
	v_rcp_iflag_f32_e32 v1, v1
	v_mul_f32_e32 v1, 0x4f7ffffe, v1
	v_cvt_u32_f32_e32 v1, v1
	v_mul_lo_u32 v2, s0, v1
	v_mul_hi_u32 v2, v1, v2
	v_add_u32_e32 v1, v1, v2
	v_mul_hi_u32 v1, v0, v1
	v_mul_lo_u32 v2, v1, s11
	v_add_u32_e32 v3, 1, v1
	v_sub_u32_e32 v2, v0, v2
	v_cmp_le_u32_e32 vcc, s11, v2
	v_cndmask_b32_e32 v1, v1, v3, vcc
	v_subrev_u32_e32 v3, s11, v2
	v_cndmask_b32_e32 v2, v2, v3, vcc
	v_add_u32_e32 v3, 1, v1
	v_cmp_le_u32_e32 vcc, s11, v2
	v_cndmask_b32_e32 v7, v1, v3, vcc
	v_lshlrev_b32_e32 v1, 2, v7
	global_load_dwordx2 v[5:6], v1, s[6:7]
	v_mov_b32_e32 v3, 0
	v_mov_b32_e32 v1, 0
	;; [unrolled: 1-line block ×4, first 2 shown]
	v_cmp_gt_i32_e32 vcc, s24, v7
	s_and_saveexec_b64 s[0:1], vcc
	s_cbranch_execz .LBB35_196
; %bb.189:
	s_abs_i32 s4, s11
	v_cvt_f32_u32_e32 v1, s4
	s_sub_i32 s2, 0, s4
	s_waitcnt vmcnt(0)
	v_subrev_u32_e32 v5, s27, v5
	v_subrev_u32_e32 v7, s27, v6
	v_rcp_iflag_f32_e32 v1, v1
	v_sub_u32_e32 v6, v7, v5
	v_sub_u32_e32 v3, 0, v6
	v_max_i32_e32 v12, v6, v3
	v_mul_f32_e32 v1, 0x4f7ffffe, v1
	v_cvt_u32_f32_e32 v1, v1
	s_ashr_i32 s5, s11, 31
	v_ashrrev_i32_e32 v6, 31, v6
	v_xor_b32_e32 v6, s5, v6
	v_mul_lo_u32 v2, s2, v1
	s_add_i32 s6, s11, -1
	v_mov_b32_e32 v3, 0
	v_and_b32_e32 v8, s6, v0
	v_mul_hi_u32 v2, v1, v2
	v_mov_b32_e32 v4, 0
	v_add_u32_e32 v1, v1, v2
	v_mad_u64_u32 v[10:11], s[2:3], v12, v1, 0
	v_mov_b32_e32 v1, 0
	v_mov_b32_e32 v2, 0
	v_mul_lo_u32 v10, v11, s4
	v_add_u32_e32 v13, 1, v11
	v_sub_u32_e32 v10, v12, v10
	v_cmp_le_u32_e32 vcc, s4, v10
	v_subrev_u32_e32 v12, s4, v10
	v_cndmask_b32_e32 v11, v11, v13, vcc
	v_cndmask_b32_e32 v10, v10, v12, vcc
	v_add_u32_e32 v12, 1, v11
	v_cmp_le_u32_e32 vcc, s4, v10
	v_cndmask_b32_e32 v10, v11, v12, vcc
	v_xor_b32_e32 v10, v10, v6
	v_sub_u32_e32 v6, v10, v6
	v_cmp_lt_i32_e32 vcc, 0, v6
	v_lshlrev_b32_e32 v10, 4, v8
	s_and_saveexec_b64 s[2:3], vcc
	s_cbranch_execz .LBB35_193
; %bb.190:
	v_mov_b32_e32 v3, 0
	v_mov_b32_e32 v4, 0
	;; [unrolled: 1-line block ×3, first 2 shown]
	v_lshl_add_u32 v11, v5, 4, v10
	s_lshl_b32 s6, s11, 4
	s_mov_b64 s[4:5], 0
	v_mov_b32_e32 v12, v6
	v_mov_b32_e32 v2, v4
.LBB35_191:                             ; =>This Inner Loop Header: Depth=1
	ds_read_b128 v[13:16], v11
	v_add_u32_e32 v12, -1, v12
	v_cmp_eq_u32_e32 vcc, 0, v12
	s_or_b64 s[4:5], vcc, s[4:5]
	v_add_u32_e32 v11, s6, v11
	s_waitcnt lgkmcnt(0)
	v_add_f64 v[1:2], v[1:2], v[13:14]
	v_add_f64 v[3:4], v[3:4], v[15:16]
	s_andn2_b64 exec, exec, s[4:5]
	s_cbranch_execnz .LBB35_191
; %bb.192:
	s_or_b64 exec, exec, s[4:5]
.LBB35_193:
	s_or_b64 exec, exec, s[2:3]
	v_mad_u64_u32 v[5:6], s[2:3], v6, s11, v[5:6]
	v_sub_u32_e32 v6, v7, v5
	v_cmp_lt_i32_e32 vcc, v8, v6
	s_and_saveexec_b64 s[2:3], vcc
	s_cbranch_execz .LBB35_195
; %bb.194:
	v_lshl_add_u32 v5, v5, 4, v10
	ds_read_b128 v[5:8], v5
	s_waitcnt lgkmcnt(0)
	v_add_f64 v[1:2], v[1:2], v[5:6]
	v_add_f64 v[3:4], v[3:4], v[7:8]
.LBB35_195:
	s_or_b64 exec, exec, s[2:3]
.LBB35_196:
	s_or_b64 exec, exec, s[0:1]
	v_cmp_gt_i32_e32 vcc, s24, v0
	s_waitcnt vmcnt(0)
	s_barrier
	ds_write_b128 v22, v[1:4]
	s_waitcnt lgkmcnt(0)
	s_barrier
	s_and_b64 exec, exec, vcc
	s_cbranch_execz .LBB35_203
; %bb.197:
	v_mul_lo_u32 v1, s11, v0
	v_mov_b32_e32 v11, 0
	v_mov_b32_e32 v4, 0
	;; [unrolled: 1-line block ×4, first 2 shown]
	v_lshlrev_b32_e32 v1, 4, v1
.LBB35_198:                             ; =>This Inner Loop Header: Depth=1
	ds_read_b128 v[13:16], v1
	s_add_i32 s11, s11, -1
	s_cmp_eq_u32 s11, 0
	v_add_u32_e32 v1, 16, v1
	s_waitcnt lgkmcnt(0)
	v_add_f64 v[4:5], v[4:5], v[13:14]
	v_add_f64 v[11:12], v[11:12], v[15:16]
	s_cbranch_scc0 .LBB35_198
; %bb.199:
	v_ashrrev_i32_e32 v10, 31, v9
	v_lshlrev_b64 v[1:2], 4, v[9:10]
	v_mov_b32_e32 v3, s15
	v_add_co_u32_e32 v8, vcc, s14, v1
	v_addc_co_u32_e32 v9, vcc, v3, v2, vcc
	global_load_dwordx2 v[6:7], v[8:9], off
	s_lshl_b32 s0, s10, 4
	s_addk_i32 s0, 0x4000
	v_lshl_add_u32 v0, v0, 4, s0
	ds_read2_b64 v[0:3], v0 offset1:1
	s_mov_b64 s[0:1], 0
	s_waitcnt lgkmcnt(0)
	v_add_f64 v[0:1], v[4:5], v[0:1]
.LBB35_200:                             ; =>This Inner Loop Header: Depth=1
	s_waitcnt vmcnt(0)
	v_add_f64 v[4:5], v[6:7], v[0:1]
	global_atomic_cmpswap_x2 v[4:5], v[8:9], v[4:7], off glc
	s_waitcnt vmcnt(0)
	v_cmp_eq_u64_e32 vcc, v[4:5], v[6:7]
	v_mov_b32_e32 v7, v5
	s_or_b64 s[0:1], vcc, s[0:1]
	v_mov_b32_e32 v6, v4
	s_andn2_b64 exec, exec, s[0:1]
	s_cbranch_execnz .LBB35_200
; %bb.201:
	s_or_b64 exec, exec, s[0:1]
	global_load_dwordx2 v[4:5], v[8:9], off offset:8
	v_add_f64 v[0:1], v[11:12], v[2:3]
	s_mov_b64 s[0:1], 0
.LBB35_202:                             ; =>This Inner Loop Header: Depth=1
	s_waitcnt vmcnt(0)
	v_add_f64 v[2:3], v[4:5], v[0:1]
	global_atomic_cmpswap_x2 v[2:3], v[8:9], v[2:5], off offset:8 glc
	s_waitcnt vmcnt(0)
	v_cmp_eq_u64_e32 vcc, v[2:3], v[4:5]
	v_mov_b32_e32 v5, v3
	s_or_b64 s[0:1], vcc, s[0:1]
	v_mov_b32_e32 v4, v2
	s_andn2_b64 exec, exec, s[0:1]
	s_cbranch_execnz .LBB35_202
.LBB35_203:
	s_endpgm
	.section	.rodata,"a",@progbits
	.p2align	6, 0x0
	.amdhsa_kernel _ZN9rocsparseL27csrmvn_symm_adaptive_kernelIii21rocsparse_complex_numIdES2_S2_S2_EEvbT_S3_PKS3_NS_24const_host_device_scalarIT4_EES5_PKT0_PKT1_PKT2_S8_PT3_21rocsparse_index_base_b
		.amdhsa_group_segment_fixed_size 16384
		.amdhsa_private_segment_fixed_size 0
		.amdhsa_kernarg_size 360
		.amdhsa_user_sgpr_count 6
		.amdhsa_user_sgpr_private_segment_buffer 1
		.amdhsa_user_sgpr_dispatch_ptr 0
		.amdhsa_user_sgpr_queue_ptr 0
		.amdhsa_user_sgpr_kernarg_segment_ptr 1
		.amdhsa_user_sgpr_dispatch_id 0
		.amdhsa_user_sgpr_flat_scratch_init 0
		.amdhsa_user_sgpr_private_segment_size 0
		.amdhsa_uses_dynamic_stack 0
		.amdhsa_system_sgpr_private_segment_wavefront_offset 0
		.amdhsa_system_sgpr_workgroup_id_x 1
		.amdhsa_system_sgpr_workgroup_id_y 0
		.amdhsa_system_sgpr_workgroup_id_z 0
		.amdhsa_system_sgpr_workgroup_info 0
		.amdhsa_system_vgpr_workitem_id 0
		.amdhsa_next_free_vgpr 49
		.amdhsa_next_free_sgpr 98
		.amdhsa_reserve_vcc 1
		.amdhsa_reserve_flat_scratch 0
		.amdhsa_float_round_mode_32 0
		.amdhsa_float_round_mode_16_64 0
		.amdhsa_float_denorm_mode_32 3
		.amdhsa_float_denorm_mode_16_64 3
		.amdhsa_dx10_clamp 1
		.amdhsa_ieee_mode 1
		.amdhsa_fp16_overflow 0
		.amdhsa_exception_fp_ieee_invalid_op 0
		.amdhsa_exception_fp_denorm_src 0
		.amdhsa_exception_fp_ieee_div_zero 0
		.amdhsa_exception_fp_ieee_overflow 0
		.amdhsa_exception_fp_ieee_underflow 0
		.amdhsa_exception_fp_ieee_inexact 0
		.amdhsa_exception_int_div_zero 0
	.end_amdhsa_kernel
	.section	.text._ZN9rocsparseL27csrmvn_symm_adaptive_kernelIii21rocsparse_complex_numIdES2_S2_S2_EEvbT_S3_PKS3_NS_24const_host_device_scalarIT4_EES5_PKT0_PKT1_PKT2_S8_PT3_21rocsparse_index_base_b,"axG",@progbits,_ZN9rocsparseL27csrmvn_symm_adaptive_kernelIii21rocsparse_complex_numIdES2_S2_S2_EEvbT_S3_PKS3_NS_24const_host_device_scalarIT4_EES5_PKT0_PKT1_PKT2_S8_PT3_21rocsparse_index_base_b,comdat
.Lfunc_end35:
	.size	_ZN9rocsparseL27csrmvn_symm_adaptive_kernelIii21rocsparse_complex_numIdES2_S2_S2_EEvbT_S3_PKS3_NS_24const_host_device_scalarIT4_EES5_PKT0_PKT1_PKT2_S8_PT3_21rocsparse_index_base_b, .Lfunc_end35-_ZN9rocsparseL27csrmvn_symm_adaptive_kernelIii21rocsparse_complex_numIdES2_S2_S2_EEvbT_S3_PKS3_NS_24const_host_device_scalarIT4_EES5_PKT0_PKT1_PKT2_S8_PT3_21rocsparse_index_base_b
                                        ; -- End function
	.set _ZN9rocsparseL27csrmvn_symm_adaptive_kernelIii21rocsparse_complex_numIdES2_S2_S2_EEvbT_S3_PKS3_NS_24const_host_device_scalarIT4_EES5_PKT0_PKT1_PKT2_S8_PT3_21rocsparse_index_base_b.num_vgpr, 37
	.set _ZN9rocsparseL27csrmvn_symm_adaptive_kernelIii21rocsparse_complex_numIdES2_S2_S2_EEvbT_S3_PKS3_NS_24const_host_device_scalarIT4_EES5_PKT0_PKT1_PKT2_S8_PT3_21rocsparse_index_base_b.num_agpr, 0
	.set _ZN9rocsparseL27csrmvn_symm_adaptive_kernelIii21rocsparse_complex_numIdES2_S2_S2_EEvbT_S3_PKS3_NS_24const_host_device_scalarIT4_EES5_PKT0_PKT1_PKT2_S8_PT3_21rocsparse_index_base_b.numbered_sgpr, 42
	.set _ZN9rocsparseL27csrmvn_symm_adaptive_kernelIii21rocsparse_complex_numIdES2_S2_S2_EEvbT_S3_PKS3_NS_24const_host_device_scalarIT4_EES5_PKT0_PKT1_PKT2_S8_PT3_21rocsparse_index_base_b.num_named_barrier, 0
	.set _ZN9rocsparseL27csrmvn_symm_adaptive_kernelIii21rocsparse_complex_numIdES2_S2_S2_EEvbT_S3_PKS3_NS_24const_host_device_scalarIT4_EES5_PKT0_PKT1_PKT2_S8_PT3_21rocsparse_index_base_b.private_seg_size, 0
	.set _ZN9rocsparseL27csrmvn_symm_adaptive_kernelIii21rocsparse_complex_numIdES2_S2_S2_EEvbT_S3_PKS3_NS_24const_host_device_scalarIT4_EES5_PKT0_PKT1_PKT2_S8_PT3_21rocsparse_index_base_b.uses_vcc, 1
	.set _ZN9rocsparseL27csrmvn_symm_adaptive_kernelIii21rocsparse_complex_numIdES2_S2_S2_EEvbT_S3_PKS3_NS_24const_host_device_scalarIT4_EES5_PKT0_PKT1_PKT2_S8_PT3_21rocsparse_index_base_b.uses_flat_scratch, 0
	.set _ZN9rocsparseL27csrmvn_symm_adaptive_kernelIii21rocsparse_complex_numIdES2_S2_S2_EEvbT_S3_PKS3_NS_24const_host_device_scalarIT4_EES5_PKT0_PKT1_PKT2_S8_PT3_21rocsparse_index_base_b.has_dyn_sized_stack, 0
	.set _ZN9rocsparseL27csrmvn_symm_adaptive_kernelIii21rocsparse_complex_numIdES2_S2_S2_EEvbT_S3_PKS3_NS_24const_host_device_scalarIT4_EES5_PKT0_PKT1_PKT2_S8_PT3_21rocsparse_index_base_b.has_recursion, 0
	.set _ZN9rocsparseL27csrmvn_symm_adaptive_kernelIii21rocsparse_complex_numIdES2_S2_S2_EEvbT_S3_PKS3_NS_24const_host_device_scalarIT4_EES5_PKT0_PKT1_PKT2_S8_PT3_21rocsparse_index_base_b.has_indirect_call, 0
	.section	.AMDGPU.csdata,"",@progbits
; Kernel info:
; codeLenInByte = 8836
; TotalNumSgprs: 46
; NumVgprs: 37
; ScratchSize: 0
; MemoryBound: 0
; FloatMode: 240
; IeeeMode: 1
; LDSByteSize: 16384 bytes/workgroup (compile time only)
; SGPRBlocks: 12
; VGPRBlocks: 12
; NumSGPRsForWavesPerEU: 102
; NumVGPRsForWavesPerEU: 49
; Occupancy: 4
; WaveLimiterHint : 1
; COMPUTE_PGM_RSRC2:SCRATCH_EN: 0
; COMPUTE_PGM_RSRC2:USER_SGPR: 6
; COMPUTE_PGM_RSRC2:TRAP_HANDLER: 0
; COMPUTE_PGM_RSRC2:TGID_X_EN: 1
; COMPUTE_PGM_RSRC2:TGID_Y_EN: 0
; COMPUTE_PGM_RSRC2:TGID_Z_EN: 0
; COMPUTE_PGM_RSRC2:TIDIG_COMP_CNT: 0
	.section	.text._ZL33csrmvn_symm_large_adaptive_kernelIii21rocsparse_complex_numIdES1_S1_S1_EvbT_PKS2_N9rocsparse24const_host_device_scalarIT4_EES4_PKT0_PKT1_PKT2_S8_PT3_21rocsparse_index_base_b,"axG",@progbits,_ZL33csrmvn_symm_large_adaptive_kernelIii21rocsparse_complex_numIdES1_S1_S1_EvbT_PKS2_N9rocsparse24const_host_device_scalarIT4_EES4_PKT0_PKT1_PKT2_S8_PT3_21rocsparse_index_base_b,comdat
	.globl	_ZL33csrmvn_symm_large_adaptive_kernelIii21rocsparse_complex_numIdES1_S1_S1_EvbT_PKS2_N9rocsparse24const_host_device_scalarIT4_EES4_PKT0_PKT1_PKT2_S8_PT3_21rocsparse_index_base_b ; -- Begin function _ZL33csrmvn_symm_large_adaptive_kernelIii21rocsparse_complex_numIdES1_S1_S1_EvbT_PKS2_N9rocsparse24const_host_device_scalarIT4_EES4_PKT0_PKT1_PKT2_S8_PT3_21rocsparse_index_base_b
	.p2align	8
	.type	_ZL33csrmvn_symm_large_adaptive_kernelIii21rocsparse_complex_numIdES1_S1_S1_EvbT_PKS2_N9rocsparse24const_host_device_scalarIT4_EES4_PKT0_PKT1_PKT2_S8_PT3_21rocsparse_index_base_b,@function
_ZL33csrmvn_symm_large_adaptive_kernelIii21rocsparse_complex_numIdES1_S1_S1_EvbT_PKS2_N9rocsparse24const_host_device_scalarIT4_EES4_PKT0_PKT1_PKT2_S8_PT3_21rocsparse_index_base_b: ; @_ZL33csrmvn_symm_large_adaptive_kernelIii21rocsparse_complex_numIdES1_S1_S1_EvbT_PKS2_N9rocsparse24const_host_device_scalarIT4_EES4_PKT0_PKT1_PKT2_S8_PT3_21rocsparse_index_base_b
; %bb.0:
	s_load_dwordx2 s[20:21], s[4:5], 0x58
	s_load_dwordx2 s[0:1], s[4:5], 0x10
	s_add_u32 s7, s4, 16
	s_addc_u32 s10, s5, 0
	s_waitcnt lgkmcnt(0)
	s_bitcmp1_b32 s21, 0
	s_cselect_b64 s[8:9], -1, 0
	s_and_b64 s[2:3], s[8:9], exec
	s_cselect_b32 s1, s10, s1
	s_cselect_b32 s0, s7, s0
	v_mov_b32_e32 v1, s0
	v_mov_b32_e32 v2, s1
	flat_load_dwordx4 v[1:4], v[1:2]
	s_waitcnt vmcnt(0) lgkmcnt(0)
	v_cmp_eq_f64_e32 vcc, 0, v[1:2]
	v_cmp_eq_f64_e64 s[0:1], 0, v[3:4]
	s_and_b64 s[10:11], vcc, s[0:1]
	s_mov_b64 s[0:1], -1
	s_and_saveexec_b64 s[2:3], s[10:11]
	s_cbranch_execz .LBB36_2
; %bb.1:
	s_load_dwordx2 s[0:1], s[4:5], 0x40
	s_add_u32 s7, s4, 64
	s_addc_u32 s10, s5, 0
	s_and_b64 s[8:9], s[8:9], exec
	s_waitcnt lgkmcnt(0)
	s_cselect_b32 s1, s10, s1
	s_cselect_b32 s0, s7, s0
	v_mov_b32_e32 v5, s0
	v_mov_b32_e32 v6, s1
	flat_load_dwordx4 v[5:8], v[5:6]
	s_waitcnt vmcnt(0) lgkmcnt(0)
	v_cmp_neq_f64_e32 vcc, 1.0, v[5:6]
	v_cmp_neq_f64_e64 s[0:1], 0, v[7:8]
	s_or_b64 s[0:1], vcc, s[0:1]
	s_orn2_b64 s[0:1], s[0:1], exec
.LBB36_2:
	s_or_b64 exec, exec, s[2:3]
	s_and_saveexec_b64 s[2:3], s[0:1]
	s_cbranch_execz .LBB36_43
; %bb.3:
	s_load_dword s0, s[4:5], 0x0
	s_load_dwordx2 s[2:3], s[4:5], 0x8
	s_mov_b32 s8, 0
	s_mov_b32 s9, s8
	;; [unrolled: 1-line block ×3, first 2 shown]
	s_waitcnt lgkmcnt(0)
	s_bitcmp1_b32 s0, 0
	s_cselect_b64 s[0:1], -1, 0
	s_ashr_i32 s7, s6, 31
	s_lshl_b64 s[6:7], s[6:7], 2
	s_mov_b32 s11, s8
	v_mov_b32_e32 v5, s8
	s_add_u32 s2, s2, s6
	v_lshlrev_b32_e32 v15, 4, v0
	v_mov_b32_e32 v6, s9
	v_mov_b32_e32 v7, s10
	;; [unrolled: 1-line block ×3, first 2 shown]
	s_addc_u32 s3, s3, s7
	ds_write_b128 v15, v[5:8]
	ds_write_b128 v15, v[5:8] offset:4096
	ds_write_b128 v15, v[5:8] offset:8192
	;; [unrolled: 1-line block ×3, first 2 shown]
	s_waitcnt lgkmcnt(0)
	s_barrier
	s_load_dwordx2 s[22:23], s[2:3], 0x0
	s_load_dwordx2 s[24:25], s[4:5], 0x50
	s_load_dwordx8 s[12:19], s[4:5], 0x20
	v_subrev_u32_e32 v16, s20, v0
	s_waitcnt lgkmcnt(0)
	s_cmp_ge_i32 s22, s23
	s_cbranch_scc1 .LBB36_31
; %bb.4:
	s_add_u32 s21, s16, 8
	v_cmp_gt_u32_e64 s[2:3], 64, v0
	v_cmp_gt_u32_e64 s[4:5], 16, v0
	;; [unrolled: 1-line block ×3, first 2 shown]
	v_cmp_eq_u32_e64 s[8:9], 0, v0
	s_addc_u32 s33, s17, 0
	v_mov_b32_e32 v0, 0
	s_mov_b32 s26, s22
	s_branch .LBB36_6
.LBB36_5:                               ;   in Loop: Header=BB36_6 Depth=1
	s_or_b64 exec, exec, s[10:11]
	s_add_i32 s26, s26, 1
	s_cmp_ge_i32 s26, s23
	s_cbranch_scc1 .LBB36_31
.LBB36_6:                               ; =>This Loop Header: Depth=1
                                        ;     Child Loop BB36_8 Depth 2
                                        ;     Child Loop BB36_20 Depth 2
	;; [unrolled: 1-line block ×5, first 2 shown]
	s_ashr_i32 s27, s26, 31
	s_lshl_b64 s[10:11], s[26:27], 2
	s_add_u32 s10, s12, s10
	s_addc_u32 s11, s13, s11
	s_load_dwordx2 s[28:29], s[10:11], 0x0
	v_mov_b32_e32 v7, 0
	v_mov_b32_e32 v5, 0
	;; [unrolled: 1-line block ×4, first 2 shown]
	s_waitcnt lgkmcnt(0)
	s_sub_i32 s34, s29, s20
	v_add_u32_e32 v9, s28, v16
	v_cmp_gt_i32_e32 vcc, s34, v9
	s_and_saveexec_b64 s[28:29], vcc
	s_cbranch_execz .LBB36_10
; %bb.7:                                ;   in Loop: Header=BB36_6 Depth=1
	v_ashrrev_i32_e32 v10, 31, v9
	v_lshlrev_b64 v[5:6], 2, v[9:10]
	v_mov_b32_e32 v7, s15
	v_add_co_u32_e32 v11, vcc, s14, v5
	v_addc_co_u32_e32 v12, vcc, v7, v6, vcc
	v_lshlrev_b64 v[5:6], 4, v[9:10]
	v_mov_b32_e32 v7, s33
	v_add_co_u32_e32 v13, vcc, s21, v5
	v_addc_co_u32_e32 v14, vcc, v7, v6, vcc
	v_mov_b32_e32 v7, 0
	v_mov_b32_e32 v8, 0
	v_mov_b32_e32 v5, v7
	s_mov_b64 s[30:31], 0
	v_mov_b32_e32 v6, v8
.LBB36_8:                               ;   Parent Loop BB36_6 Depth=1
                                        ; =>  This Inner Loop Header: Depth=2
	global_load_dword v10, v[11:12], off
	global_load_dwordx4 v[17:20], v[13:14], off offset:-8
	v_mov_b32_e32 v23, s19
	v_add_u32_e32 v9, 0x100, v9
	v_cmp_le_i32_e64 s[10:11], s34, v9
	s_or_b64 s[30:31], s[10:11], s[30:31]
	s_waitcnt vmcnt(1)
	v_subrev_u32_e32 v21, s20, v10
	v_ashrrev_i32_e32 v22, 31, v21
	v_lshlrev_b64 v[21:22], 4, v[21:22]
	s_waitcnt vmcnt(0)
	v_xor_b32_e32 v10, 0x80000000, v20
	v_add_co_u32_e32 v21, vcc, s18, v21
	v_addc_co_u32_e32 v22, vcc, v23, v22, vcc
	global_load_dwordx4 v[21:24], v[21:22], off
	v_cndmask_b32_e64 v20, v20, v10, s[0:1]
	v_add_co_u32_e32 v11, vcc, 0x400, v11
	v_addc_co_u32_e32 v12, vcc, 0, v12, vcc
	v_add_co_u32_e32 v13, vcc, 0x1000, v13
	v_addc_co_u32_e32 v14, vcc, 0, v14, vcc
	s_waitcnt vmcnt(0)
	v_fma_f64 v[5:6], v[17:18], v[21:22], v[5:6]
	v_fma_f64 v[7:8], v[19:20], v[21:22], v[7:8]
	v_fma_f64 v[5:6], -v[19:20], v[23:24], v[5:6]
	v_fma_f64 v[7:8], v[17:18], v[23:24], v[7:8]
	s_andn2_b64 exec, exec, s[30:31]
	s_cbranch_execnz .LBB36_8
; %bb.9:                                ;   in Loop: Header=BB36_6 Depth=1
	s_or_b64 exec, exec, s[30:31]
.LBB36_10:                              ;   in Loop: Header=BB36_6 Depth=1
	s_or_b64 exec, exec, s[28:29]
	ds_write_b128 v15, v[5:8]
	s_waitcnt lgkmcnt(0)
	s_barrier
	ds_read_b128 v[5:8], v15 offset:4096
	ds_read_b128 v[9:12], v15 offset:8192
	ds_read_b128 v[17:20], v15 offset:12288
	ds_read_b128 v[21:24], v15
	s_waitcnt lgkmcnt(2)
	v_add_f64 v[5:6], v[9:10], v[5:6]
	v_add_f64 v[7:8], v[11:12], v[7:8]
	s_waitcnt lgkmcnt(1)
	v_add_f64 v[5:6], v[5:6], v[17:18]
	v_add_f64 v[7:8], v[7:8], v[19:20]
	s_waitcnt lgkmcnt(0)
	v_add_f64 v[5:6], v[5:6], v[21:22]
	v_add_f64 v[7:8], v[7:8], v[23:24]
	ds_write_b128 v15, v[5:8]
	s_waitcnt lgkmcnt(0)
	s_barrier
	s_and_saveexec_b64 s[10:11], s[2:3]
	s_cbranch_execz .LBB36_12
; %bb.11:                               ;   in Loop: Header=BB36_6 Depth=1
	ds_read_b128 v[5:8], v15 offset:1024
	ds_read_b128 v[9:12], v15 offset:2048
	ds_read_b128 v[17:20], v15 offset:3072
	ds_read_b128 v[21:24], v15
	s_waitcnt lgkmcnt(2)
	v_add_f64 v[5:6], v[9:10], v[5:6]
	v_add_f64 v[7:8], v[11:12], v[7:8]
	s_waitcnt lgkmcnt(1)
	v_add_f64 v[5:6], v[5:6], v[17:18]
	v_add_f64 v[7:8], v[7:8], v[19:20]
	s_waitcnt lgkmcnt(0)
	v_add_f64 v[5:6], v[5:6], v[21:22]
	v_add_f64 v[7:8], v[7:8], v[23:24]
	ds_write_b128 v15, v[5:8]
.LBB36_12:                              ;   in Loop: Header=BB36_6 Depth=1
	s_or_b64 exec, exec, s[10:11]
	s_waitcnt lgkmcnt(0)
	s_barrier
	s_and_saveexec_b64 s[10:11], s[4:5]
	s_cbranch_execz .LBB36_14
; %bb.13:                               ;   in Loop: Header=BB36_6 Depth=1
	ds_read_b128 v[5:8], v15 offset:256
	ds_read_b128 v[9:12], v15 offset:512
	ds_read_b128 v[17:20], v15 offset:768
	ds_read_b128 v[21:24], v15
	s_waitcnt lgkmcnt(2)
	v_add_f64 v[5:6], v[9:10], v[5:6]
	v_add_f64 v[7:8], v[11:12], v[7:8]
	s_waitcnt lgkmcnt(1)
	v_add_f64 v[5:6], v[5:6], v[17:18]
	v_add_f64 v[7:8], v[7:8], v[19:20]
	s_waitcnt lgkmcnt(0)
	v_add_f64 v[5:6], v[5:6], v[21:22]
	v_add_f64 v[7:8], v[7:8], v[23:24]
	ds_write_b128 v15, v[5:8]
.LBB36_14:                              ;   in Loop: Header=BB36_6 Depth=1
	s_or_b64 exec, exec, s[10:11]
	;; [unrolled: 21-line block ×4, first 2 shown]
	s_waitcnt lgkmcnt(0)
	s_barrier
	s_and_saveexec_b64 s[10:11], s[8:9]
	s_cbranch_execz .LBB36_5
; %bb.19:                               ;   in Loop: Header=BB36_6 Depth=1
	ds_read_b128 v[5:8], v0
	v_mov_b32_e32 v13, 0
	s_mov_b64 s[28:29], exec
	v_bfrev_b32_e32 v14, 1
	s_waitcnt lgkmcnt(0)
	v_mul_f64 v[9:10], v[7:8], -v[3:4]
	v_fma_f64 v[9:10], v[1:2], v[5:6], v[9:10]
.LBB36_20:                              ;   Parent Loop BB36_6 Depth=1
                                        ; =>  This Inner Loop Header: Depth=2
	s_ff1_i32_b64 s34, s[28:29]
	v_readlane_b32 s31, v10, s34
	v_readlane_b32 s30, v9, s34
	v_add_f64 v[13:14], v[13:14], s[30:31]
	s_lshl_b64 s[30:31], 1, s34
	s_andn2_b64 s[28:29], s[28:29], s[30:31]
	s_cmp_lg_u64 s[28:29], 0
	s_cbranch_scc1 .LBB36_20
; %bb.21:                               ;   in Loop: Header=BB36_6 Depth=1
	s_lshl_b64 s[28:29], s[26:27], 4
	v_mbcnt_lo_u32_b32 v9, exec_lo, 0
	s_add_u32 s28, s24, s28
	v_mbcnt_hi_u32_b32 v9, exec_hi, v9
	s_addc_u32 s29, s25, s29
	v_cmp_eq_u32_e32 vcc, 0, v9
	s_and_saveexec_b64 s[30:31], vcc
	s_xor_b64 s[30:31], exec, s[30:31]
	s_cbranch_execz .LBB36_25
; %bb.22:                               ;   in Loop: Header=BB36_6 Depth=1
	global_load_dwordx2 v[11:12], v0, s[28:29]
	s_mov_b64 s[34:35], 0
.LBB36_23:                              ;   Parent Loop BB36_6 Depth=1
                                        ; =>  This Inner Loop Header: Depth=2
	s_waitcnt vmcnt(0)
	v_add_f64 v[9:10], v[11:12], v[13:14]
	global_atomic_cmpswap_x2 v[9:10], v0, v[9:12], s[28:29] glc
	s_waitcnt vmcnt(0)
	v_cmp_eq_u64_e32 vcc, v[9:10], v[11:12]
	v_mov_b32_e32 v12, v10
	s_or_b64 s[34:35], vcc, s[34:35]
	v_mov_b32_e32 v11, v9
	s_andn2_b64 exec, exec, s[34:35]
	s_cbranch_execnz .LBB36_23
; %bb.24:                               ;   in Loop: Header=BB36_6 Depth=1
	s_or_b64 exec, exec, s[34:35]
.LBB36_25:                              ;   in Loop: Header=BB36_6 Depth=1
	s_or_b64 exec, exec, s[30:31]
	v_mul_f64 v[7:8], v[1:2], v[7:8]
	v_mov_b32_e32 v9, 0
	s_mov_b64 s[30:31], exec
	v_bfrev_b32_e32 v10, 1
	v_fma_f64 v[5:6], v[3:4], v[5:6], v[7:8]
.LBB36_26:                              ;   Parent Loop BB36_6 Depth=1
                                        ; =>  This Inner Loop Header: Depth=2
	s_ff1_i32_b64 s27, s[30:31]
	v_readlane_b32 s35, v6, s27
	v_readlane_b32 s34, v5, s27
	v_add_f64 v[9:10], v[9:10], s[34:35]
	s_lshl_b64 s[34:35], 1, s27
	s_andn2_b64 s[30:31], s[30:31], s[34:35]
	s_cmp_lg_u64 s[30:31], 0
	s_cbranch_scc1 .LBB36_26
; %bb.27:                               ;   in Loop: Header=BB36_6 Depth=1
	v_mbcnt_lo_u32_b32 v5, exec_lo, 0
	v_mbcnt_hi_u32_b32 v5, exec_hi, v5
	v_cmp_eq_u32_e32 vcc, 0, v5
	s_and_saveexec_b64 s[30:31], vcc
	s_xor_b64 s[30:31], exec, s[30:31]
	s_cbranch_execz .LBB36_5
; %bb.28:                               ;   in Loop: Header=BB36_6 Depth=1
	global_load_dwordx2 v[7:8], v0, s[28:29] offset:8
	s_mov_b64 s[30:31], 0
.LBB36_29:                              ;   Parent Loop BB36_6 Depth=1
                                        ; =>  This Inner Loop Header: Depth=2
	s_waitcnt vmcnt(0)
	v_add_f64 v[5:6], v[7:8], v[9:10]
	global_atomic_cmpswap_x2 v[5:6], v0, v[5:8], s[28:29] offset:8 glc
	s_waitcnt vmcnt(0)
	v_cmp_eq_u64_e32 vcc, v[5:6], v[7:8]
	v_mov_b32_e32 v8, v6
	s_or_b64 s[30:31], vcc, s[30:31]
	v_mov_b32_e32 v7, v5
	s_andn2_b64 exec, exec, s[30:31]
	s_cbranch_execnz .LBB36_29
; %bb.30:                               ;   in Loop: Header=BB36_6 Depth=1
	s_or_b64 exec, exec, s[30:31]
	s_branch .LBB36_5
.LBB36_31:
	s_ashr_i32 s3, s22, 31
	s_mov_b32 s2, s22
	s_lshl_b64 s[2:3], s[2:3], 2
	s_add_u32 s2, s12, s2
	s_addc_u32 s3, s13, s3
	s_ashr_i32 s5, s23, 31
	s_mov_b32 s4, s23
	s_lshl_b64 s[4:5], s[4:5], 2
	s_add_u32 s4, s12, s4
	s_addc_u32 s5, s13, s5
	s_load_dword s6, s[4:5], 0x0
	s_load_dword s7, s[2:3], 0x0
	s_waitcnt lgkmcnt(0)
	s_sub_i32 s10, s6, s20
	v_add_u32_e32 v13, s7, v16
	v_cmp_gt_i32_e32 vcc, s10, v13
	s_and_b64 exec, exec, vcc
	s_cbranch_execz .LBB36_43
; %bb.32:
	s_add_i32 s11, s23, -1
	s_cmp_lt_i32 s22, s11
	s_cselect_b64 s[2:3], -1, 0
	s_add_i32 s4, s23, -2
	s_cmp_lg_u32 s22, s4
	s_cselect_b64 s[4:5], -1, 0
	s_and_b64 s[2:3], s[2:3], s[4:5]
	v_cndmask_b32_e64 v0, 0, 1, s[2:3]
	s_mov_b64 s[6:7], 0
	v_cmp_ne_u32_e64 s[2:3], 1, v0
	v_mov_b32_e32 v0, s13
	v_mov_b32_e32 v22, s15
	s_branch .LBB36_34
.LBB36_33:                              ;   in Loop: Header=BB36_34 Depth=1
	s_or_b64 exec, exec, s[4:5]
	v_add_u32_e32 v13, 0x100, v13
	v_cmp_le_i32_e32 vcc, s10, v13
	s_or_b64 s[6:7], vcc, s[6:7]
	s_andn2_b64 exec, exec, s[6:7]
	s_cbranch_execz .LBB36_43
.LBB36_34:                              ; =>This Loop Header: Depth=1
                                        ;     Child Loop BB36_36 Depth 2
                                        ;     Child Loop BB36_40 Depth 2
	;; [unrolled: 1-line block ×3, first 2 shown]
	s_and_b64 vcc, exec, s[2:3]
	v_mov_b32_e32 v7, s22
	v_mov_b32_e32 v5, s11
	s_cbranch_vccnz .LBB36_38
; %bb.35:                               ;   in Loop: Header=BB36_34 Depth=1
	s_mov_b64 s[8:9], 0
	v_mov_b32_e32 v7, s22
	v_mov_b32_e32 v5, s11
.LBB36_36:                              ;   Parent Loop BB36_34 Depth=1
                                        ; =>  This Inner Loop Header: Depth=2
	v_add_u32_e32 v6, v5, v7
	v_lshrrev_b32_e32 v8, 31, v6
	v_add_u32_e32 v6, v6, v8
	v_ashrrev_i32_e32 v8, 1, v6
	v_ashrrev_i32_e32 v9, 31, v8
	v_lshlrev_b64 v[9:10], 2, v[8:9]
	v_mov_b32_e32 v11, s13
	v_add_co_u32_e32 v9, vcc, s12, v9
	v_addc_co_u32_e32 v10, vcc, v11, v10, vcc
	global_load_dword v6, v[9:10], off
	s_waitcnt vmcnt(0)
	v_subrev_u32_e32 v6, s20, v6
	v_cmp_lt_i32_e32 vcc, v13, v6
	v_cndmask_b32_e32 v5, v5, v8, vcc
	v_cndmask_b32_e32 v7, v8, v7, vcc
	v_add_u32_e32 v6, -1, v5
	v_cmp_ge_i32_e32 vcc, v7, v5
	v_cmp_eq_u32_e64 s[4:5], v7, v6
	s_or_b64 s[4:5], vcc, s[4:5]
	s_and_b64 s[4:5], exec, s[4:5]
	s_or_b64 s[8:9], s[4:5], s[8:9]
	s_andn2_b64 exec, exec, s[8:9]
	s_cbranch_execnz .LBB36_36
; %bb.37:                               ;   in Loop: Header=BB36_34 Depth=1
	s_or_b64 exec, exec, s[8:9]
.LBB36_38:                              ;   in Loop: Header=BB36_34 Depth=1
	v_ashrrev_i32_e32 v6, 31, v5
	v_lshlrev_b64 v[8:9], 2, v[5:6]
	v_ashrrev_i32_e32 v14, 31, v13
	v_add_co_u32_e32 v8, vcc, s12, v8
	v_addc_co_u32_e32 v9, vcc, v0, v9, vcc
	global_load_dword v6, v[8:9], off
	v_lshlrev_b64 v[8:9], 2, v[13:14]
	v_add_co_u32_e32 v8, vcc, s14, v8
	v_addc_co_u32_e32 v9, vcc, v22, v9, vcc
	global_load_dword v8, v[8:9], off
	s_waitcnt vmcnt(1)
	v_subrev_u32_e32 v6, s20, v6
	v_cmp_lt_i32_e32 vcc, v13, v6
	v_cndmask_b32_e32 v5, v5, v7, vcc
	s_waitcnt vmcnt(0)
	v_subrev_u32_e32 v9, s20, v8
	v_cmp_ne_u32_e32 vcc, v9, v5
	s_and_saveexec_b64 s[4:5], vcc
	s_cbranch_execz .LBB36_33
; %bb.39:                               ;   in Loop: Header=BB36_34 Depth=1
	v_lshlrev_b64 v[6:7], 4, v[13:14]
	v_mov_b32_e32 v8, s17
	v_add_co_u32_e32 v6, vcc, s16, v6
	v_addc_co_u32_e32 v7, vcc, v8, v7, vcc
	global_load_dwordx4 v[18:21], v[6:7], off
	v_ashrrev_i32_e32 v6, 31, v5
	v_lshlrev_b64 v[5:6], 4, v[5:6]
	v_mov_b32_e32 v7, s19
	v_add_co_u32_e32 v5, vcc, s18, v5
	v_addc_co_u32_e32 v6, vcc, v7, v6, vcc
	global_load_dwordx4 v[5:8], v[5:6], off
	v_ashrrev_i32_e32 v10, 31, v9
	v_lshlrev_b64 v[9:10], 4, v[9:10]
	v_mov_b32_e32 v11, s25
	v_add_co_u32_e32 v14, vcc, s24, v9
	v_addc_co_u32_e32 v15, vcc, v11, v10, vcc
	global_load_dwordx2 v[11:12], v[14:15], off
	s_mov_b64 s[8:9], 0
	s_waitcnt vmcnt(2)
	v_xor_b32_e32 v9, 0x80000000, v21
	v_cndmask_b32_e64 v21, v21, v9, s[0:1]
	v_mul_f64 v[9:10], v[1:2], v[20:21]
	v_mul_f64 v[20:21], v[20:21], -v[3:4]
	v_fma_f64 v[16:17], v[3:4], v[18:19], v[9:10]
	v_fma_f64 v[18:19], v[1:2], v[18:19], v[20:21]
	s_waitcnt vmcnt(1)
	v_mul_f64 v[9:10], v[7:8], -v[16:17]
	v_fma_f64 v[20:21], v[18:19], v[5:6], v[9:10]
.LBB36_40:                              ;   Parent Loop BB36_34 Depth=1
                                        ; =>  This Inner Loop Header: Depth=2
	s_waitcnt vmcnt(0)
	v_add_f64 v[9:10], v[11:12], v[20:21]
	global_atomic_cmpswap_x2 v[9:10], v[14:15], v[9:12], off glc
	s_waitcnt vmcnt(0)
	v_cmp_eq_u64_e32 vcc, v[9:10], v[11:12]
	v_mov_b32_e32 v12, v10
	s_or_b64 s[8:9], vcc, s[8:9]
	v_mov_b32_e32 v11, v9
	s_andn2_b64 exec, exec, s[8:9]
	s_cbranch_execnz .LBB36_40
; %bb.41:                               ;   in Loop: Header=BB36_34 Depth=1
	s_or_b64 exec, exec, s[8:9]
	global_load_dwordx2 v[9:10], v[14:15], off offset:8
	v_mul_f64 v[7:8], v[7:8], v[18:19]
	s_mov_b64 s[8:9], 0
	v_fma_f64 v[5:6], v[16:17], v[5:6], v[7:8]
.LBB36_42:                              ;   Parent Loop BB36_34 Depth=1
                                        ; =>  This Inner Loop Header: Depth=2
	s_waitcnt vmcnt(0)
	v_add_f64 v[7:8], v[9:10], v[5:6]
	global_atomic_cmpswap_x2 v[7:8], v[14:15], v[7:10], off offset:8 glc
	s_waitcnt vmcnt(0)
	v_cmp_eq_u64_e32 vcc, v[7:8], v[9:10]
	v_mov_b32_e32 v10, v8
	s_or_b64 s[8:9], vcc, s[8:9]
	v_mov_b32_e32 v9, v7
	s_andn2_b64 exec, exec, s[8:9]
	s_cbranch_execnz .LBB36_42
	s_branch .LBB36_33
.LBB36_43:
	s_endpgm
	.section	.rodata,"a",@progbits
	.p2align	6, 0x0
	.amdhsa_kernel _ZL33csrmvn_symm_large_adaptive_kernelIii21rocsparse_complex_numIdES1_S1_S1_EvbT_PKS2_N9rocsparse24const_host_device_scalarIT4_EES4_PKT0_PKT1_PKT2_S8_PT3_21rocsparse_index_base_b
		.amdhsa_group_segment_fixed_size 16384
		.amdhsa_private_segment_fixed_size 0
		.amdhsa_kernarg_size 96
		.amdhsa_user_sgpr_count 6
		.amdhsa_user_sgpr_private_segment_buffer 1
		.amdhsa_user_sgpr_dispatch_ptr 0
		.amdhsa_user_sgpr_queue_ptr 0
		.amdhsa_user_sgpr_kernarg_segment_ptr 1
		.amdhsa_user_sgpr_dispatch_id 0
		.amdhsa_user_sgpr_flat_scratch_init 0
		.amdhsa_user_sgpr_private_segment_size 0
		.amdhsa_uses_dynamic_stack 0
		.amdhsa_system_sgpr_private_segment_wavefront_offset 0
		.amdhsa_system_sgpr_workgroup_id_x 1
		.amdhsa_system_sgpr_workgroup_id_y 0
		.amdhsa_system_sgpr_workgroup_id_z 0
		.amdhsa_system_sgpr_workgroup_info 0
		.amdhsa_system_vgpr_workitem_id 0
		.amdhsa_next_free_vgpr 49
		.amdhsa_next_free_sgpr 98
		.amdhsa_reserve_vcc 1
		.amdhsa_reserve_flat_scratch 0
		.amdhsa_float_round_mode_32 0
		.amdhsa_float_round_mode_16_64 0
		.amdhsa_float_denorm_mode_32 3
		.amdhsa_float_denorm_mode_16_64 3
		.amdhsa_dx10_clamp 1
		.amdhsa_ieee_mode 1
		.amdhsa_fp16_overflow 0
		.amdhsa_exception_fp_ieee_invalid_op 0
		.amdhsa_exception_fp_denorm_src 0
		.amdhsa_exception_fp_ieee_div_zero 0
		.amdhsa_exception_fp_ieee_overflow 0
		.amdhsa_exception_fp_ieee_underflow 0
		.amdhsa_exception_fp_ieee_inexact 0
		.amdhsa_exception_int_div_zero 0
	.end_amdhsa_kernel
	.section	.text._ZL33csrmvn_symm_large_adaptive_kernelIii21rocsparse_complex_numIdES1_S1_S1_EvbT_PKS2_N9rocsparse24const_host_device_scalarIT4_EES4_PKT0_PKT1_PKT2_S8_PT3_21rocsparse_index_base_b,"axG",@progbits,_ZL33csrmvn_symm_large_adaptive_kernelIii21rocsparse_complex_numIdES1_S1_S1_EvbT_PKS2_N9rocsparse24const_host_device_scalarIT4_EES4_PKT0_PKT1_PKT2_S8_PT3_21rocsparse_index_base_b,comdat
.Lfunc_end36:
	.size	_ZL33csrmvn_symm_large_adaptive_kernelIii21rocsparse_complex_numIdES1_S1_S1_EvbT_PKS2_N9rocsparse24const_host_device_scalarIT4_EES4_PKT0_PKT1_PKT2_S8_PT3_21rocsparse_index_base_b, .Lfunc_end36-_ZL33csrmvn_symm_large_adaptive_kernelIii21rocsparse_complex_numIdES1_S1_S1_EvbT_PKS2_N9rocsparse24const_host_device_scalarIT4_EES4_PKT0_PKT1_PKT2_S8_PT3_21rocsparse_index_base_b
                                        ; -- End function
	.set _ZL33csrmvn_symm_large_adaptive_kernelIii21rocsparse_complex_numIdES1_S1_S1_EvbT_PKS2_N9rocsparse24const_host_device_scalarIT4_EES4_PKT0_PKT1_PKT2_S8_PT3_21rocsparse_index_base_b.num_vgpr, 25
	.set _ZL33csrmvn_symm_large_adaptive_kernelIii21rocsparse_complex_numIdES1_S1_S1_EvbT_PKS2_N9rocsparse24const_host_device_scalarIT4_EES4_PKT0_PKT1_PKT2_S8_PT3_21rocsparse_index_base_b.num_agpr, 0
	.set _ZL33csrmvn_symm_large_adaptive_kernelIii21rocsparse_complex_numIdES1_S1_S1_EvbT_PKS2_N9rocsparse24const_host_device_scalarIT4_EES4_PKT0_PKT1_PKT2_S8_PT3_21rocsparse_index_base_b.numbered_sgpr, 36
	.set _ZL33csrmvn_symm_large_adaptive_kernelIii21rocsparse_complex_numIdES1_S1_S1_EvbT_PKS2_N9rocsparse24const_host_device_scalarIT4_EES4_PKT0_PKT1_PKT2_S8_PT3_21rocsparse_index_base_b.num_named_barrier, 0
	.set _ZL33csrmvn_symm_large_adaptive_kernelIii21rocsparse_complex_numIdES1_S1_S1_EvbT_PKS2_N9rocsparse24const_host_device_scalarIT4_EES4_PKT0_PKT1_PKT2_S8_PT3_21rocsparse_index_base_b.private_seg_size, 0
	.set _ZL33csrmvn_symm_large_adaptive_kernelIii21rocsparse_complex_numIdES1_S1_S1_EvbT_PKS2_N9rocsparse24const_host_device_scalarIT4_EES4_PKT0_PKT1_PKT2_S8_PT3_21rocsparse_index_base_b.uses_vcc, 1
	.set _ZL33csrmvn_symm_large_adaptive_kernelIii21rocsparse_complex_numIdES1_S1_S1_EvbT_PKS2_N9rocsparse24const_host_device_scalarIT4_EES4_PKT0_PKT1_PKT2_S8_PT3_21rocsparse_index_base_b.uses_flat_scratch, 0
	.set _ZL33csrmvn_symm_large_adaptive_kernelIii21rocsparse_complex_numIdES1_S1_S1_EvbT_PKS2_N9rocsparse24const_host_device_scalarIT4_EES4_PKT0_PKT1_PKT2_S8_PT3_21rocsparse_index_base_b.has_dyn_sized_stack, 0
	.set _ZL33csrmvn_symm_large_adaptive_kernelIii21rocsparse_complex_numIdES1_S1_S1_EvbT_PKS2_N9rocsparse24const_host_device_scalarIT4_EES4_PKT0_PKT1_PKT2_S8_PT3_21rocsparse_index_base_b.has_recursion, 0
	.set _ZL33csrmvn_symm_large_adaptive_kernelIii21rocsparse_complex_numIdES1_S1_S1_EvbT_PKS2_N9rocsparse24const_host_device_scalarIT4_EES4_PKT0_PKT1_PKT2_S8_PT3_21rocsparse_index_base_b.has_indirect_call, 0
	.section	.AMDGPU.csdata,"",@progbits
; Kernel info:
; codeLenInByte = 2388
; TotalNumSgprs: 40
; NumVgprs: 25
; ScratchSize: 0
; MemoryBound: 0
; FloatMode: 240
; IeeeMode: 1
; LDSByteSize: 16384 bytes/workgroup (compile time only)
; SGPRBlocks: 12
; VGPRBlocks: 12
; NumSGPRsForWavesPerEU: 102
; NumVGPRsForWavesPerEU: 49
; Occupancy: 4
; WaveLimiterHint : 1
; COMPUTE_PGM_RSRC2:SCRATCH_EN: 0
; COMPUTE_PGM_RSRC2:USER_SGPR: 6
; COMPUTE_PGM_RSRC2:TRAP_HANDLER: 0
; COMPUTE_PGM_RSRC2:TGID_X_EN: 1
; COMPUTE_PGM_RSRC2:TGID_Y_EN: 0
; COMPUTE_PGM_RSRC2:TGID_Z_EN: 0
; COMPUTE_PGM_RSRC2:TIDIG_COMP_CNT: 0
	.section	.text._ZN9rocsparseL22csrmvn_adaptive_kernelIli21rocsparse_complex_numIdES2_S2_S2_EEvbT_PKS3_PjPKT0_NS_24const_host_device_scalarIT4_EES5_S9_PKT1_PKT2_SC_PT3_21rocsparse_index_base_b,"axG",@progbits,_ZN9rocsparseL22csrmvn_adaptive_kernelIli21rocsparse_complex_numIdES2_S2_S2_EEvbT_PKS3_PjPKT0_NS_24const_host_device_scalarIT4_EES5_S9_PKT1_PKT2_SC_PT3_21rocsparse_index_base_b,comdat
	.globl	_ZN9rocsparseL22csrmvn_adaptive_kernelIli21rocsparse_complex_numIdES2_S2_S2_EEvbT_PKS3_PjPKT0_NS_24const_host_device_scalarIT4_EES5_S9_PKT1_PKT2_SC_PT3_21rocsparse_index_base_b ; -- Begin function _ZN9rocsparseL22csrmvn_adaptive_kernelIli21rocsparse_complex_numIdES2_S2_S2_EEvbT_PKS3_PjPKT0_NS_24const_host_device_scalarIT4_EES5_S9_PKT1_PKT2_SC_PT3_21rocsparse_index_base_b
	.p2align	8
	.type	_ZN9rocsparseL22csrmvn_adaptive_kernelIli21rocsparse_complex_numIdES2_S2_S2_EEvbT_PKS3_PjPKT0_NS_24const_host_device_scalarIT4_EES5_S9_PKT1_PKT2_SC_PT3_21rocsparse_index_base_b,@function
_ZN9rocsparseL22csrmvn_adaptive_kernelIli21rocsparse_complex_numIdES2_S2_S2_EEvbT_PKS3_PjPKT0_NS_24const_host_device_scalarIT4_EES5_S9_PKT1_PKT2_SC_PT3_21rocsparse_index_base_b: ; @_ZN9rocsparseL22csrmvn_adaptive_kernelIli21rocsparse_complex_numIdES2_S2_S2_EEvbT_PKS3_PjPKT0_NS_24const_host_device_scalarIT4_EES5_S9_PKT1_PKT2_SC_PT3_21rocsparse_index_base_b
; %bb.0:
	s_load_dwordx2 s[0:1], s[4:5], 0x28
	s_load_dwordx2 s[44:45], s[4:5], 0x70
	s_add_u32 s7, s4, 40
	s_addc_u32 s8, s5, 0
	s_add_u32 s9, s4, 0x58
	s_addc_u32 s10, s5, 0
	s_waitcnt lgkmcnt(0)
	s_bitcmp1_b32 s45, 0
	s_cselect_b32 s1, s8, s1
	s_cselect_b32 s0, s7, s0
	v_mov_b32_e32 v1, s0
	v_mov_b32_e32 v2, s1
	flat_load_dwordx4 v[5:8], v[1:2]
	s_load_dwordx2 s[2:3], s[4:5], 0x58
	s_waitcnt lgkmcnt(0)
	s_cselect_b32 s0, s10, s3
	s_cselect_b32 s1, s9, s2
	v_mov_b32_e32 v1, s1
	v_mov_b32_e32 v2, s0
	flat_load_dwordx4 v[1:4], v[1:2]
	s_waitcnt vmcnt(0)
	v_cmp_eq_f64_e32 vcc, 0, v[5:6]
	v_cmp_eq_f64_e64 s[0:1], 0, v[7:8]
	s_and_b64 s[8:9], vcc, s[0:1]
	s_mov_b64 s[0:1], -1
	s_and_saveexec_b64 s[2:3], s[8:9]
	s_cbranch_execz .LBB37_2
; %bb.1:
	s_waitcnt lgkmcnt(0)
	v_cmp_neq_f64_e32 vcc, 1.0, v[1:2]
	v_cmp_neq_f64_e64 s[0:1], 0, v[3:4]
	s_or_b64 s[0:1], vcc, s[0:1]
	s_orn2_b64 s[0:1], s[0:1], exec
.LBB37_2:
	s_or_b64 exec, exec, s[2:3]
	s_and_saveexec_b64 s[2:3], s[0:1]
	s_cbranch_execz .LBB37_117
; %bb.3:
	s_load_dwordx2 s[2:3], s[4:5], 0x20
	s_load_dword s0, s[4:5], 0x0
	s_load_dwordx2 s[8:9], s[4:5], 0x10
	s_waitcnt lgkmcnt(0)
	s_bitcmp1_b32 s0, 0
	s_cselect_b64 s[0:1], -1, 0
	s_ashr_i32 s7, s6, 31
	s_lshl_b64 s[10:11], s[6:7], 3
	s_add_u32 s8, s8, s10
	s_addc_u32 s9, s9, s11
	s_load_dwordx4 s[36:39], s[8:9], 0x0
	s_load_dwordx2 s[34:35], s[4:5], 0x68
	s_load_dwordx8 s[24:31], s[4:5], 0x38
	s_lshl_b64 s[46:47], s[6:7], 2
	s_waitcnt lgkmcnt(0)
	s_sub_i32 s7, s38, s36
	s_add_u32 s2, s2, s46
	s_addc_u32 s3, s3, s47
	s_lshl_b64 s[8:9], s[36:37], 3
	s_add_u32 s42, s24, s8
	s_addc_u32 s43, s25, s9
	s_load_dword s33, s[2:3], 0x0
	s_load_dwordx2 s[40:41], s[42:43], 0x0
	s_cmp_lt_i32 s7, 2
	s_mov_b64 s[2:3], -1
	s_cbranch_scc0 .LBB37_73
; %bb.4:
	s_cmp_lg_u32 s7, 1
	s_cselect_b64 s[2:3], -1, 0
	s_waitcnt lgkmcnt(0)
	s_cmp_lg_u32 s33, 0
	s_cselect_b64 s[8:9], -1, 0
	s_or_b64 s[8:9], s[2:3], s[8:9]
	s_mov_b64 s[2:3], -1
	s_and_b64 vcc, exec, s[8:9]
	s_cbranch_vccnz .LBB37_33
; %bb.5:
	v_mov_b32_e32 v9, s36
	v_mov_b32_e32 v10, s37
	v_cmp_le_i64_e32 vcc, s[38:39], v[9:10]
	s_cbranch_vccnz .LBB37_32
; %bb.6:
	v_subrev_co_u32_e32 v22, vcc, s44, v0
	v_subb_co_u32_e64 v23, s[2:3], 0, 0, vcc
	v_cmp_neq_f64_e32 vcc, 0, v[1:2]
	v_cmp_neq_f64_e64 s[22:23], 0, v[3:4]
	s_movk_i32 s2, 0x80
	v_mov_b32_e32 v13, s38
	v_mov_b32_e32 v21, 0
	v_lshlrev_b32_e32 v24, 4, v0
	v_cmp_gt_u32_e64 s[2:3], s2, v0
	v_cmp_gt_u32_e64 s[8:9], 64, v0
	;; [unrolled: 1-line block ×3, first 2 shown]
	s_or_b64 s[48:49], vcc, s[22:23]
	s_add_u32 s7, s28, 8
	v_cmp_gt_u32_e64 s[12:13], 16, v0
	v_cmp_gt_u32_e64 s[14:15], 8, v0
	v_cmp_gt_u32_e64 s[16:17], 4, v0
	v_cmp_gt_u32_e64 s[18:19], 2, v0
	v_cmp_eq_u32_e64 s[20:21], 0, v0
	s_addc_u32 s45, s29, 0
	s_movk_i32 s58, 0x100
	v_mov_b32_e32 v14, s39
	s_mov_b64 s[50:51], s[36:37]
	s_branch .LBB37_9
.LBB37_7:                               ;   in Loop: Header=BB37_9 Depth=1
	s_or_b64 exec, exec, s[52:53]
	s_lshl_b64 s[52:53], s[50:51], 4
	s_add_u32 s52, s34, s52
	s_addc_u32 s53, s35, s53
	s_waitcnt lgkmcnt(0)
	global_store_dwordx4 v21, v[9:12], s[52:53]
.LBB37_8:                               ;   in Loop: Header=BB37_9 Depth=1
	s_or_b64 exec, exec, s[22:23]
	s_add_u32 s50, s50, 1
	s_addc_u32 s51, s51, 0
	v_cmp_ge_i64_e32 vcc, s[50:51], v[13:14]
	s_cbranch_vccnz .LBB37_32
.LBB37_9:                               ; =>This Loop Header: Depth=1
                                        ;     Child Loop BB37_11 Depth 2
	s_lshl_b64 s[22:23], s[50:51], 3
	s_add_u32 s22, s24, s22
	s_addc_u32 s23, s25, s23
	s_load_dwordx4 s[60:63], s[22:23], 0x0
	v_mov_b32_e32 v11, 0
	v_mov_b32_e32 v12, 0
	s_waitcnt lgkmcnt(0)
	s_sub_u32 s52, s62, s44
	v_mov_b32_e32 v9, s61
	v_add_co_u32_e32 v15, vcc, s60, v22
	s_subb_u32 s53, s63, 0
	v_addc_co_u32_e32 v16, vcc, v9, v23, vcc
	v_cmp_gt_i64_e32 vcc, s[52:53], v[15:16]
	v_mov_b32_e32 v9, 0
	v_mov_b32_e32 v10, 0
	s_and_saveexec_b64 s[54:55], vcc
	s_cbranch_execz .LBB37_13
; %bb.10:                               ;   in Loop: Header=BB37_9 Depth=1
	v_lshlrev_b64 v[9:10], 4, v[15:16]
	v_mov_b32_e32 v11, s45
	v_add_co_u32_e32 v17, vcc, s7, v9
	v_addc_co_u32_e32 v18, vcc, v11, v10, vcc
	v_lshlrev_b64 v[9:10], 2, v[15:16]
	v_mov_b32_e32 v11, s27
	v_add_co_u32_e32 v19, vcc, s26, v9
	v_addc_co_u32_e32 v20, vcc, v11, v10, vcc
	v_mov_b32_e32 v11, 0
	v_mov_b32_e32 v12, 0
	;; [unrolled: 1-line block ×3, first 2 shown]
	s_mov_b64 s[56:57], 0
	v_mov_b32_e32 v10, v12
.LBB37_11:                              ;   Parent Loop BB37_9 Depth=1
                                        ; =>  This Inner Loop Header: Depth=2
	global_load_dword v29, v[19:20], off
	global_load_dwordx4 v[25:28], v[17:18], off offset:-8
	v_mov_b32_e32 v31, s31
	s_waitcnt vmcnt(1)
	v_subrev_u32_e32 v29, s44, v29
	v_ashrrev_i32_e32 v30, 31, v29
	v_lshlrev_b64 v[29:30], 4, v[29:30]
	s_waitcnt vmcnt(0)
	v_xor_b32_e32 v33, 0x80000000, v28
	v_add_co_u32_e32 v29, vcc, s30, v29
	v_addc_co_u32_e32 v30, vcc, v31, v30, vcc
	global_load_dwordx4 v[29:32], v[29:30], off
	v_cndmask_b32_e64 v28, v28, v33, s[0:1]
	v_mul_f64 v[33:34], v[27:28], -v[7:8]
	v_mul_f64 v[27:28], v[5:6], v[27:28]
	v_add_co_u32_e32 v15, vcc, s58, v15
	v_addc_co_u32_e32 v16, vcc, 0, v16, vcc
	v_add_co_u32_e32 v17, vcc, 0x1000, v17
	v_fma_f64 v[33:34], v[5:6], v[25:26], v[33:34]
	v_fma_f64 v[25:26], v[7:8], v[25:26], v[27:28]
	v_addc_co_u32_e32 v18, vcc, 0, v18, vcc
	v_cmp_le_i64_e64 s[22:23], s[52:53], v[15:16]
	v_add_co_u32_e32 v19, vcc, 0x400, v19
	s_or_b64 s[56:57], s[22:23], s[56:57]
	v_addc_co_u32_e32 v20, vcc, 0, v20, vcc
	s_waitcnt vmcnt(0)
	v_fma_f64 v[9:10], v[33:34], v[29:30], v[9:10]
	v_fma_f64 v[11:12], v[25:26], v[29:30], v[11:12]
	v_fma_f64 v[9:10], -v[25:26], v[31:32], v[9:10]
	v_fma_f64 v[11:12], v[33:34], v[31:32], v[11:12]
	s_andn2_b64 exec, exec, s[56:57]
	s_cbranch_execnz .LBB37_11
; %bb.12:                               ;   in Loop: Header=BB37_9 Depth=1
	s_or_b64 exec, exec, s[56:57]
.LBB37_13:                              ;   in Loop: Header=BB37_9 Depth=1
	s_or_b64 exec, exec, s[54:55]
	ds_write_b128 v24, v[9:12]
	s_waitcnt vmcnt(0) lgkmcnt(0)
	s_barrier
	s_and_saveexec_b64 s[22:23], s[2:3]
	s_cbranch_execz .LBB37_15
; %bb.14:                               ;   in Loop: Header=BB37_9 Depth=1
	ds_read_b128 v[9:12], v24 offset:2048
	ds_read_b128 v[15:18], v24
	s_waitcnt lgkmcnt(0)
	v_add_f64 v[9:10], v[9:10], v[15:16]
	v_add_f64 v[11:12], v[11:12], v[17:18]
	ds_write_b128 v24, v[9:12]
.LBB37_15:                              ;   in Loop: Header=BB37_9 Depth=1
	s_or_b64 exec, exec, s[22:23]
	s_waitcnt lgkmcnt(0)
	s_barrier
	s_and_saveexec_b64 s[22:23], s[8:9]
	s_cbranch_execz .LBB37_17
; %bb.16:                               ;   in Loop: Header=BB37_9 Depth=1
	ds_read_b128 v[9:12], v24 offset:1024
	ds_read_b128 v[15:18], v24
	s_waitcnt lgkmcnt(0)
	v_add_f64 v[9:10], v[9:10], v[15:16]
	v_add_f64 v[11:12], v[11:12], v[17:18]
	ds_write_b128 v24, v[9:12]
.LBB37_17:                              ;   in Loop: Header=BB37_9 Depth=1
	s_or_b64 exec, exec, s[22:23]
	s_waitcnt lgkmcnt(0)
	;; [unrolled: 13-line block ×6, first 2 shown]
	s_barrier
	s_and_saveexec_b64 s[22:23], s[18:19]
	s_cbranch_execz .LBB37_27
; %bb.26:                               ;   in Loop: Header=BB37_9 Depth=1
	ds_read_b128 v[9:12], v24
	ds_read_b128 v[15:18], v24 offset:32
	s_waitcnt lgkmcnt(0)
	v_add_f64 v[9:10], v[15:16], v[9:10]
	v_add_f64 v[11:12], v[17:18], v[11:12]
	ds_write_b128 v24, v[9:12]
.LBB37_27:                              ;   in Loop: Header=BB37_9 Depth=1
	s_or_b64 exec, exec, s[22:23]
	s_waitcnt lgkmcnt(0)
	s_barrier
	s_and_saveexec_b64 s[22:23], s[20:21]
	s_cbranch_execz .LBB37_29
; %bb.28:                               ;   in Loop: Header=BB37_9 Depth=1
	ds_read_b128 v[9:12], v21
	ds_read_b128 v[15:18], v21 offset:16
	s_waitcnt lgkmcnt(0)
	v_add_f64 v[9:10], v[15:16], v[9:10]
	v_add_f64 v[11:12], v[17:18], v[11:12]
	ds_write_b128 v21, v[9:12]
.LBB37_29:                              ;   in Loop: Header=BB37_9 Depth=1
	s_or_b64 exec, exec, s[22:23]
	s_waitcnt lgkmcnt(0)
	s_barrier
	s_and_saveexec_b64 s[22:23], s[20:21]
	s_cbranch_execz .LBB37_8
; %bb.30:                               ;   in Loop: Header=BB37_9 Depth=1
	ds_read_b128 v[9:12], v21
	s_and_saveexec_b64 s[52:53], s[48:49]
	s_cbranch_execz .LBB37_7
; %bb.31:                               ;   in Loop: Header=BB37_9 Depth=1
	s_lshl_b64 s[54:55], s[50:51], 4
	s_add_u32 s54, s34, s54
	s_addc_u32 s55, s35, s55
	global_load_dwordx4 v[15:18], v21, s[54:55]
	s_waitcnt vmcnt(0) lgkmcnt(0)
	v_fma_f64 v[9:10], v[1:2], v[15:16], v[9:10]
	v_fma_f64 v[11:12], v[3:4], v[15:16], v[11:12]
	v_fma_f64 v[9:10], -v[3:4], v[17:18], v[9:10]
	v_fma_f64 v[11:12], v[1:2], v[17:18], v[11:12]
	s_branch .LBB37_7
.LBB37_32:
	s_mov_b64 s[2:3], 0
.LBB37_33:
	s_andn2_b64 vcc, exec, s[2:3]
	s_cbranch_vccnz .LBB37_72
; %bb.34:
	s_load_dwordx2 s[8:9], s[4:5], 0x18
	s_sub_i32 s10, s6, s33
	v_mov_b32_e32 v13, 0
	v_or_b32_e32 v14, s33, v0
	v_mov_b32_e32 v9, 0
	s_waitcnt lgkmcnt(0)
	s_add_u32 s6, s8, s46
	s_addc_u32 s7, s9, s47
	global_load_dword v19, v13, s[6:7]
	v_mov_b32_e32 v11, 0
	v_mov_b32_e32 v10, 0
	v_mov_b32_e32 v12, 0
	v_cmp_eq_u32_e32 vcc, 0, v14
	s_and_saveexec_b64 s[2:3], vcc
	s_cbranch_execz .LBB37_38
; %bb.35:
	s_lshl_b64 s[14:15], s[36:37], 4
	s_add_u32 s14, s34, s14
	s_addc_u32 s15, s35, s15
	global_load_dwordx4 v[11:14], v13, s[14:15]
	v_add_f64 v[9:10], v[1:2], -1.0
	s_mov_b64 s[12:13], exec
	v_mbcnt_lo_u32_b32 v17, s12, 0
	v_mbcnt_hi_u32_b32 v17, s13, v17
	v_cmp_eq_u32_e32 vcc, 0, v17
	s_waitcnt vmcnt(0) expcnt(0) lgkmcnt(0)
	v_mul_f64 v[15:16], v[13:14], -v[3:4]
	v_mul_f64 v[13:14], v[9:10], v[13:14]
	s_and_saveexec_b64 s[14:15], vcc
	s_cbranch_execz .LBB37_37
; %bb.36:
	s_ashr_i32 s11, s10, 31
	s_lshl_b64 s[16:17], s[10:11], 2
	s_add_u32 s16, s8, s16
	s_addc_u32 s17, s9, s17
	s_bcnt1_i32_b64 s11, s[12:13]
	s_and_b32 s11, s11, 1
	v_mov_b32_e32 v17, 0
	v_mov_b32_e32 v18, s11
	global_atomic_xor v17, v18, s[16:17]
.LBB37_37:
	s_or_b64 exec, exec, s[14:15]
	v_fma_f64 v[9:10], v[9:10], v[11:12], v[15:16]
	v_fma_f64 v[11:12], v[3:4], v[11:12], v[13:14]
.LBB37_38:
	s_or_b64 exec, exec, s[2:3]
	s_load_dwordx2 s[2:3], s[42:43], 0x8
	s_sub_u32 s13, s40, s44
	s_mul_i32 s11, s33, 0xc00
	s_subb_u32 s14, s41, 0
	s_mul_hi_i32 s12, s33, 0xc00
	s_add_u32 s11, s13, s11
	s_addc_u32 s14, s14, s12
	s_waitcnt lgkmcnt(0)
	s_sub_u32 s2, s2, s44
	v_mov_b32_e32 v14, s14
	v_add_co_u32_e32 v13, vcc, s11, v0
	s_subb_u32 s3, s3, 0
	v_addc_co_u32_e32 v14, vcc, 0, v14, vcc
	v_cmp_gt_i64_e32 vcc, s[2:3], v[13:14]
	s_and_saveexec_b64 s[12:13], vcc
	s_cbranch_execz .LBB37_42
; %bb.39:
	s_add_u32 s16, s11, 0xc00
	v_mov_b32_e32 v16, s3
	s_addc_u32 s17, s14, 0
	v_mov_b32_e32 v15, s2
	v_cmp_lt_i64_e32 vcc, s[16:17], v[15:16]
	v_lshlrev_b64 v[15:16], 4, v[13:14]
	s_and_b64 s[14:15], vcc, exec
	v_mov_b32_e32 v17, s29
	v_add_co_u32_e32 v15, vcc, s28, v15
	v_addc_co_u32_e32 v16, vcc, v17, v16, vcc
	v_add_co_u32_e32 v15, vcc, 8, v15
	v_lshlrev_b64 v[17:18], 2, v[13:14]
	v_addc_co_u32_e32 v16, vcc, 0, v16, vcc
	v_mov_b32_e32 v20, s27
	v_add_co_u32_e32 v17, vcc, s26, v17
	s_cselect_b32 s15, s17, s3
	s_cselect_b32 s14, s16, s2
	v_addc_co_u32_e32 v18, vcc, v20, v18, vcc
	s_mov_b64 s[16:17], 0
	v_mov_b32_e32 v20, s31
	s_movk_i32 s11, 0x100
.LBB37_40:                              ; =>This Inner Loop Header: Depth=1
	global_load_dword v25, v[17:18], off
	global_load_dwordx4 v[21:24], v[15:16], off offset:-8
	s_waitcnt vmcnt(1)
	v_subrev_u32_e32 v25, s44, v25
	v_ashrrev_i32_e32 v26, 31, v25
	v_lshlrev_b64 v[25:26], 4, v[25:26]
	s_waitcnt vmcnt(0)
	v_xor_b32_e32 v29, 0x80000000, v24
	v_add_co_u32_e32 v25, vcc, s30, v25
	v_addc_co_u32_e32 v26, vcc, v20, v26, vcc
	global_load_dwordx4 v[25:28], v[25:26], off
	v_cndmask_b32_e64 v24, v24, v29, s[0:1]
	v_mul_f64 v[29:30], v[23:24], -v[7:8]
	v_mul_f64 v[23:24], v[5:6], v[23:24]
	v_add_co_u32_e32 v13, vcc, s11, v13
	v_addc_co_u32_e32 v14, vcc, 0, v14, vcc
	v_add_co_u32_e32 v15, vcc, 0x1000, v15
	v_fma_f64 v[29:30], v[5:6], v[21:22], v[29:30]
	v_fma_f64 v[21:22], v[7:8], v[21:22], v[23:24]
	v_addc_co_u32_e32 v16, vcc, 0, v16, vcc
	v_cmp_le_i64_e64 s[2:3], s[14:15], v[13:14]
	v_add_co_u32_e32 v17, vcc, 0x400, v17
	s_or_b64 s[16:17], s[2:3], s[16:17]
	v_addc_co_u32_e32 v18, vcc, 0, v18, vcc
	s_waitcnt vmcnt(0)
	v_fma_f64 v[9:10], v[29:30], v[25:26], v[9:10]
	v_fma_f64 v[11:12], v[21:22], v[25:26], v[11:12]
	v_fma_f64 v[9:10], -v[21:22], v[27:28], v[9:10]
	v_fma_f64 v[11:12], v[29:30], v[27:28], v[11:12]
	s_andn2_b64 exec, exec, s[16:17]
	s_cbranch_execnz .LBB37_40
; %bb.41:
	s_or_b64 exec, exec, s[16:17]
.LBB37_42:
	s_or_b64 exec, exec, s[12:13]
	s_movk_i32 s2, 0x80
	v_lshlrev_b32_e32 v13, 4, v0
	v_cmp_gt_u32_e32 vcc, s2, v0
	ds_write_b128 v13, v[9:12]
	s_waitcnt vmcnt(0) lgkmcnt(0)
	s_barrier
	s_and_saveexec_b64 s[2:3], vcc
	s_cbranch_execz .LBB37_44
; %bb.43:
	ds_read_b128 v[9:12], v13 offset:2048
	ds_read_b128 v[14:17], v13
	s_waitcnt lgkmcnt(0)
	v_add_f64 v[9:10], v[9:10], v[14:15]
	v_add_f64 v[11:12], v[11:12], v[16:17]
	ds_write_b128 v13, v[9:12]
.LBB37_44:
	s_or_b64 exec, exec, s[2:3]
	v_cmp_gt_u32_e32 vcc, 64, v0
	s_waitcnt lgkmcnt(0)
	s_barrier
	s_and_saveexec_b64 s[2:3], vcc
	s_cbranch_execz .LBB37_46
; %bb.45:
	ds_read_b128 v[9:12], v13 offset:1024
	ds_read_b128 v[14:17], v13
	s_waitcnt lgkmcnt(0)
	v_add_f64 v[9:10], v[9:10], v[14:15]
	v_add_f64 v[11:12], v[11:12], v[16:17]
	ds_write_b128 v13, v[9:12]
.LBB37_46:
	s_or_b64 exec, exec, s[2:3]
	v_cmp_gt_u32_e32 vcc, 32, v0
	s_waitcnt lgkmcnt(0)
	;; [unrolled: 14-line block ×6, first 2 shown]
	s_barrier
	s_and_saveexec_b64 s[2:3], vcc
	s_cbranch_execz .LBB37_56
; %bb.55:
	ds_read_b128 v[9:12], v13
	ds_read_b128 v[14:17], v13 offset:32
	s_waitcnt lgkmcnt(0)
	v_add_f64 v[9:10], v[14:15], v[9:10]
	v_add_f64 v[11:12], v[16:17], v[11:12]
	ds_write_b128 v13, v[9:12]
.LBB37_56:
	s_or_b64 exec, exec, s[2:3]
	v_cmp_eq_u32_e32 vcc, 0, v0
	s_waitcnt lgkmcnt(0)
	s_barrier
	s_and_saveexec_b64 s[2:3], vcc
	s_cbranch_execz .LBB37_58
; %bb.57:
	v_mov_b32_e32 v17, 0
	ds_read_b128 v[9:12], v17
	ds_read_b128 v[13:16], v17 offset:16
	s_waitcnt lgkmcnt(0)
	v_add_f64 v[9:10], v[13:14], v[9:10]
	v_add_f64 v[11:12], v[15:16], v[11:12]
	ds_write_b128 v17, v[9:12]
.LBB37_58:
	s_or_b64 exec, exec, s[2:3]
	s_waitcnt lgkmcnt(0)
	s_barrier
	s_and_saveexec_b64 s[2:3], vcc
	s_cbranch_execz .LBB37_71
; %bb.59:
	s_cmp_eq_u32 s33, 0
	s_cbranch_scc1 .LBB37_65
; %bb.60:
	s_ashr_i32 s11, s10, 31
	s_lshl_b64 s[10:11], s[10:11], 2
	s_add_u32 s8, s8, s10
	s_addc_u32 s9, s9, s11
	v_mov_b32_e32 v9, 0
	s_branch .LBB37_62
.LBB37_61:                              ;   in Loop: Header=BB37_62 Depth=1
	s_or_b64 exec, exec, s[10:11]
	s_waitcnt vmcnt(0)
	v_readfirstlane_b32 s10, v10
	v_cmp_eq_u32_e32 vcc, s10, v19
	s_cbranch_vccz .LBB37_64
.LBB37_62:                              ; =>This Inner Loop Header: Depth=1
	v_mbcnt_lo_u32_b32 v10, exec_lo, 0
	v_mbcnt_hi_u32_b32 v10, exec_hi, v10
	v_cmp_eq_u32_e32 vcc, 0, v10
                                        ; implicit-def: $vgpr10
	s_and_saveexec_b64 s[10:11], vcc
	s_cbranch_execz .LBB37_61
; %bb.63:                               ;   in Loop: Header=BB37_62 Depth=1
	global_load_dword v10, v9, s[8:9] glc
	s_branch .LBB37_61
.LBB37_64:
	v_mov_b32_e32 v9, 0
	global_load_ushort v10, v9, s[6:7]
	s_waitcnt vmcnt(0)
	v_xor_b32_e32 v10, 1, v10
	global_store_short v9, v10, s[6:7]
.LBB37_65:
	v_mov_b32_e32 v17, 0
	ds_read_b128 v[9:12], v17
	s_mov_b64 s[10:11], exec
	s_lshl_b64 s[6:7], s[36:37], 4
	v_mbcnt_lo_u32_b32 v13, s10, 0
	s_add_u32 s6, s34, s6
	v_mbcnt_hi_u32_b32 v13, s11, v13
	s_addc_u32 s7, s35, s7
	v_cmp_eq_u32_e32 vcc, 0, v13
	s_and_saveexec_b64 s[8:9], vcc
	s_cbranch_execz .LBB37_68
; %bb.66:
	global_load_dwordx2 v[15:16], v17, s[6:7]
	s_bcnt1_i32_b64 s10, s[10:11]
	v_cvt_f64_u32_e32 v[13:14], s10
	s_mov_b64 s[10:11], 0
	s_waitcnt lgkmcnt(0)
	v_mul_f64 v[9:10], v[9:10], v[13:14]
.LBB37_67:                              ; =>This Inner Loop Header: Depth=1
	s_waitcnt vmcnt(0)
	v_add_f64 v[13:14], v[15:16], v[9:10]
	global_atomic_cmpswap_x2 v[13:14], v17, v[13:16], s[6:7] glc
	s_waitcnt vmcnt(0)
	v_cmp_eq_u64_e32 vcc, v[13:14], v[15:16]
	v_mov_b32_e32 v16, v14
	s_or_b64 s[10:11], vcc, s[10:11]
	v_mov_b32_e32 v15, v13
	s_andn2_b64 exec, exec, s[10:11]
	s_cbranch_execnz .LBB37_67
.LBB37_68:
	s_or_b64 exec, exec, s[8:9]
	s_mov_b64 s[8:9], exec
	s_waitcnt lgkmcnt(0)
	v_mbcnt_lo_u32_b32 v9, s8, 0
	v_mbcnt_hi_u32_b32 v9, s9, v9
	v_cmp_eq_u32_e32 vcc, 0, v9
	s_and_b64 s[10:11], exec, vcc
	s_mov_b64 exec, s[10:11]
	s_cbranch_execz .LBB37_71
; %bb.69:
	v_mov_b32_e32 v15, 0
	global_load_dwordx2 v[13:14], v15, s[6:7] offset:8
	s_bcnt1_i32_b64 s8, s[8:9]
	v_cvt_f64_u32_e32 v[9:10], s8
	s_mov_b64 s[8:9], 0
	v_mul_f64 v[9:10], v[11:12], v[9:10]
.LBB37_70:                              ; =>This Inner Loop Header: Depth=1
	s_waitcnt vmcnt(0)
	v_add_f64 v[11:12], v[13:14], v[9:10]
	global_atomic_cmpswap_x2 v[11:12], v15, v[11:14], s[6:7] offset:8 glc
	s_waitcnt vmcnt(0)
	v_cmp_eq_u64_e32 vcc, v[11:12], v[13:14]
	v_mov_b32_e32 v14, v12
	s_or_b64 s[8:9], vcc, s[8:9]
	v_mov_b32_e32 v13, v11
	s_andn2_b64 exec, exec, s[8:9]
	s_cbranch_execnz .LBB37_70
.LBB37_71:
	s_or_b64 exec, exec, s[2:3]
.LBB37_72:
	s_mov_b64 s[2:3], 0
.LBB37_73:
	s_andn2_b64 vcc, exec, s[2:3]
	s_cbranch_vccnz .LBB37_117
; %bb.74:
	s_load_dwordx2 s[2:3], s[4:5], 0x8
	v_subrev_co_u32_e32 v9, vcc, s44, v0
	v_subb_co_u32_e64 v10, s[4:5], 0, 0, vcc
	s_waitcnt lgkmcnt(0)
	v_mov_b32_e32 v11, s41
	v_add_co_u32_e32 v9, vcc, s40, v9
	v_addc_co_u32_e32 v10, vcc, v11, v10, vcc
	v_add_co_u32_e32 v11, vcc, 0x300, v9
	v_addc_co_u32_e32 v12, vcc, 0, v10, vcc
	v_cmp_le_i64_e32 vcc, s[2:3], v[11:12]
	s_and_saveexec_b64 s[2:3], vcc
	s_xor_b64 s[4:5], exec, s[2:3]
	s_cbranch_execz .LBB37_79
; %bb.75:
	s_lshl_b64 s[2:3], s[38:39], 3
	s_add_u32 s2, s24, s2
	s_addc_u32 s3, s25, s3
	s_load_dwordx2 s[2:3], s[2:3], 0x0
	s_waitcnt lgkmcnt(0)
	s_sub_u32 s6, s2, s44
	s_subb_u32 s7, s3, 0
	v_cmp_gt_i64_e32 vcc, s[6:7], v[9:10]
	s_and_saveexec_b64 s[8:9], vcc
	s_cbranch_execz .LBB37_78
; %bb.76:
	v_lshlrev_b64 v[11:12], 4, v[9:10]
	v_mov_b32_e32 v13, s29
	v_add_co_u32_e32 v11, vcc, s28, v11
	v_addc_co_u32_e32 v12, vcc, v13, v12, vcc
	v_add_co_u32_e32 v11, vcc, 8, v11
	v_lshlrev_b64 v[13:14], 2, v[9:10]
	v_addc_co_u32_e32 v12, vcc, 0, v12, vcc
	v_mov_b32_e32 v16, s27
	v_add_co_u32_e32 v13, vcc, s26, v13
	v_lshlrev_b32_e32 v15, 4, v0
	v_addc_co_u32_e32 v14, vcc, v16, v14, vcc
	s_mov_b64 s[10:11], 0
	v_mov_b32_e32 v16, s31
	s_movk_i32 s12, 0x100
.LBB37_77:                              ; =>This Inner Loop Header: Depth=1
	global_load_dword v21, v[13:14], off
	global_load_dwordx4 v[17:20], v[11:12], off offset:-8
	s_waitcnt vmcnt(1)
	v_subrev_u32_e32 v21, s44, v21
	v_ashrrev_i32_e32 v22, 31, v21
	v_lshlrev_b64 v[21:22], 4, v[21:22]
	s_waitcnt vmcnt(0)
	v_xor_b32_e32 v25, 0x80000000, v20
	v_add_co_u32_e32 v21, vcc, s30, v21
	v_addc_co_u32_e32 v22, vcc, v16, v22, vcc
	global_load_dwordx4 v[21:24], v[21:22], off
	v_cndmask_b32_e64 v20, v20, v25, s[0:1]
	v_mul_f64 v[25:26], v[5:6], v[19:20]
	v_mul_f64 v[19:20], v[19:20], -v[7:8]
	v_add_co_u32_e32 v9, vcc, s12, v9
	v_addc_co_u32_e32 v10, vcc, 0, v10, vcc
	v_add_co_u32_e32 v11, vcc, 0x1000, v11
	v_fma_f64 v[25:26], v[7:8], v[17:18], v[25:26]
	v_fma_f64 v[17:18], v[5:6], v[17:18], v[19:20]
	v_addc_co_u32_e32 v12, vcc, 0, v12, vcc
	v_cmp_le_i64_e64 s[2:3], s[6:7], v[9:10]
	v_add_co_u32_e32 v13, vcc, 0x400, v13
	v_addc_co_u32_e32 v14, vcc, 0, v14, vcc
	s_or_b64 s[10:11], s[2:3], s[10:11]
	s_waitcnt vmcnt(0)
	v_mul_f64 v[19:20], v[23:24], -v[25:26]
	v_mul_f64 v[23:24], v[23:24], v[17:18]
	v_fma_f64 v[17:18], v[17:18], v[21:22], v[19:20]
	v_fma_f64 v[19:20], v[25:26], v[21:22], v[23:24]
	ds_write_b128 v15, v[17:20]
	v_add_u32_e32 v15, 0x1000, v15
	s_andn2_b64 exec, exec, s[10:11]
	s_cbranch_execnz .LBB37_77
.LBB37_78:
	s_or_b64 exec, exec, s[8:9]
                                        ; implicit-def: $vgpr9_vgpr10
                                        ; implicit-def: $vgpr7_vgpr8
.LBB37_79:
	s_or_saveexec_b64 s[2:3], s[4:5]
	v_lshlrev_b32_e32 v15, 4, v0
	s_xor_b64 exec, exec, s[2:3]
	s_cbranch_execz .LBB37_81
; %bb.80:
	v_lshlrev_b64 v[11:12], 2, v[9:10]
	v_mov_b32_e32 v13, s27
	v_add_co_u32_e32 v11, vcc, s26, v11
	v_addc_co_u32_e32 v12, vcc, v13, v12, vcc
	global_load_dword v30, v[11:12], off
	global_load_dword v31, v[11:12], off offset:1024
	global_load_dword v32, v[11:12], off offset:2048
	;; [unrolled: 1-line block ×3, first 2 shown]
	v_lshlrev_b64 v[9:10], 4, v[9:10]
	v_mov_b32_e32 v11, s29
	v_add_co_u32_e32 v13, vcc, s28, v9
	s_movk_i32 s4, 0x2000
	v_addc_co_u32_e32 v14, vcc, v11, v10, vcc
	global_load_dwordx4 v[9:12], v[13:14], off
	v_add_co_u32_e32 v28, vcc, s4, v13
	s_movk_i32 s5, 0x3000
	v_addc_co_u32_e32 v29, vcc, 0, v14, vcc
	v_add_co_u32_e32 v13, vcc, s5, v13
	v_addc_co_u32_e32 v14, vcc, 0, v14, vcc
	global_load_dwordx4 v[16:19], v[28:29], off offset:-4096
	global_load_dwordx4 v[20:23], v[28:29], off
	global_load_dwordx4 v[24:27], v[13:14], off
	v_mov_b32_e32 v34, s31
	v_mov_b32_e32 v35, s31
	;; [unrolled: 1-line block ×4, first 2 shown]
	s_waitcnt vmcnt(7)
	v_subrev_u32_e32 v13, s44, v30
	v_ashrrev_i32_e32 v14, 31, v13
	s_waitcnt vmcnt(6)
	v_subrev_u32_e32 v28, s44, v31
	v_lshlrev_b64 v[13:14], 4, v[13:14]
	v_ashrrev_i32_e32 v29, 31, v28
	s_waitcnt vmcnt(5)
	v_subrev_u32_e32 v30, s44, v32
	v_lshlrev_b64 v[28:29], 4, v[28:29]
	v_add_co_u32_e32 v13, vcc, s30, v13
	v_ashrrev_i32_e32 v31, 31, v30
	v_addc_co_u32_e32 v14, vcc, v34, v14, vcc
	s_waitcnt vmcnt(4)
	v_subrev_u32_e32 v32, s44, v33
	v_lshlrev_b64 v[30:31], 4, v[30:31]
	v_add_co_u32_e32 v42, vcc, s30, v28
	v_ashrrev_i32_e32 v33, 31, v32
	v_addc_co_u32_e32 v43, vcc, v35, v29, vcc
	v_lshlrev_b64 v[40:41], 4, v[32:33]
	v_add_co_u32_e32 v44, vcc, s30, v30
	v_addc_co_u32_e32 v45, vcc, v36, v31, vcc
	global_load_dwordx4 v[28:31], v[13:14], off
	global_load_dwordx4 v[32:35], v[42:43], off
	;; [unrolled: 1-line block ×3, first 2 shown]
	v_add_co_u32_e32 v13, vcc, s30, v40
	v_addc_co_u32_e32 v14, vcc, v46, v41, vcc
	global_load_dwordx4 v[40:43], v[13:14], off
	s_waitcnt vmcnt(7)
	v_xor_b32_e32 v13, 0x80000000, v12
	v_cndmask_b32_e64 v12, v12, v13, s[0:1]
	s_waitcnt vmcnt(6)
	v_xor_b32_e32 v44, 0x80000000, v19
	s_waitcnt vmcnt(5)
	v_xor_b32_e32 v45, 0x80000000, v23
	v_mul_f64 v[13:14], v[11:12], -v[7:8]
	v_mul_f64 v[11:12], v[5:6], v[11:12]
	v_cndmask_b32_e64 v19, v19, v44, s[0:1]
	s_waitcnt vmcnt(4)
	v_xor_b32_e32 v46, 0x80000000, v27
	v_cndmask_b32_e64 v23, v23, v45, s[0:1]
	v_mul_f64 v[44:45], v[5:6], v[18:19]
	v_mul_f64 v[18:19], v[18:19], -v[7:8]
	v_cndmask_b32_e64 v27, v27, v46, s[0:1]
	v_mul_f64 v[46:47], v[5:6], v[22:23]
	v_mul_f64 v[22:23], v[22:23], -v[7:8]
	v_mul_f64 v[48:49], v[5:6], v[26:27]
	v_mul_f64 v[26:27], v[26:27], -v[7:8]
	v_fma_f64 v[11:12], v[7:8], v[9:10], v[11:12]
	v_fma_f64 v[9:10], v[5:6], v[9:10], v[13:14]
	;; [unrolled: 1-line block ×8, first 2 shown]
	s_waitcnt vmcnt(3)
	v_mul_f64 v[5:6], v[30:31], -v[11:12]
	v_mul_f64 v[7:8], v[30:31], v[9:10]
	s_waitcnt vmcnt(2)
	v_mul_f64 v[26:27], v[34:35], -v[13:14]
	v_mul_f64 v[30:31], v[34:35], v[16:17]
	;; [unrolled: 3-line block ×4, first 2 shown]
	v_fma_f64 v[5:6], v[9:10], v[28:29], v[5:6]
	v_fma_f64 v[7:8], v[11:12], v[28:29], v[7:8]
	;; [unrolled: 1-line block ×8, first 2 shown]
	ds_write_b128 v15, v[5:8]
	ds_write_b128 v15, v[9:12] offset:4096
	ds_write_b128 v15, v[16:19] offset:8192
	;; [unrolled: 1-line block ×3, first 2 shown]
.LBB37_81:
	s_or_b64 exec, exec, s[2:3]
	s_cmp_lt_i32 s33, 2
	s_mov_b64 s[0:1], -1
	s_waitcnt vmcnt(0) lgkmcnt(0)
	s_barrier
	s_cbranch_scc0 .LBB37_92
; %bb.82:
	v_mov_b32_e32 v5, s37
	v_add_co_u32_e32 v13, vcc, s36, v0
	v_addc_co_u32_e32 v14, vcc, 0, v5, vcc
	v_cmp_gt_i64_e32 vcc, s[38:39], v[13:14]
	s_and_saveexec_b64 s[2:3], vcc
	s_cbranch_execz .LBB37_91
; %bb.83:
	v_cmp_neq_f64_e32 vcc, 0, v[1:2]
	v_cmp_neq_f64_e64 s[0:1], 0, v[3:4]
	s_lshl_b32 s6, s40, 4
	s_mov_b64 s[4:5], 0
	v_mov_b32_e32 v16, s25
	s_sub_i32 s10, 0, s6
	v_mov_b32_e32 v17, s35
	s_or_b64 s[6:7], vcc, s[0:1]
	s_branch .LBB37_85
.LBB37_84:                              ;   in Loop: Header=BB37_85 Depth=1
	s_or_b64 exec, exec, s[0:1]
	v_add_co_u32_e32 v13, vcc, 0x100, v13
	v_addc_co_u32_e32 v14, vcc, 0, v14, vcc
	v_cmp_le_i64_e32 vcc, s[38:39], v[13:14]
	v_add_co_u32_e64 v9, s[0:1], s34, v9
	v_addc_co_u32_e64 v10, s[0:1], v17, v10, s[0:1]
	s_or_b64 s[4:5], vcc, s[4:5]
	global_store_dwordx4 v[9:10], v[5:8], off
	s_andn2_b64 exec, exec, s[4:5]
	s_cbranch_execz .LBB37_91
.LBB37_85:                              ; =>This Loop Header: Depth=1
                                        ;     Child Loop BB37_87 Depth 2
	v_lshlrev_b64 v[5:6], 3, v[13:14]
	v_mov_b32_e32 v7, 0
	v_add_co_u32_e32 v5, vcc, s24, v5
	v_addc_co_u32_e32 v6, vcc, v16, v6, vcc
	global_load_dwordx4 v[9:12], v[5:6], off
	v_mov_b32_e32 v5, 0
	v_mov_b32_e32 v8, 0
	v_mov_b32_e32 v6, 0
	s_waitcnt vmcnt(0)
	v_subrev_u32_e32 v10, s40, v9
	v_subrev_u32_e32 v11, s40, v11
	v_cmp_lt_i32_e32 vcc, v10, v11
	s_and_saveexec_b64 s[0:1], vcc
	s_cbranch_execz .LBB37_89
; %bb.86:                               ;   in Loop: Header=BB37_85 Depth=1
	v_mov_b32_e32 v7, 0
	v_mov_b32_e32 v8, 0
	;; [unrolled: 1-line block ×3, first 2 shown]
	v_lshl_add_u32 v9, v9, 4, s10
	s_mov_b64 s[8:9], 0
	v_mov_b32_e32 v6, v8
.LBB37_87:                              ;   Parent Loop BB37_85 Depth=1
                                        ; =>  This Inner Loop Header: Depth=2
	ds_read_b128 v[18:21], v9
	v_add_u32_e32 v10, 1, v10
	v_cmp_ge_i32_e32 vcc, v10, v11
	s_or_b64 s[8:9], vcc, s[8:9]
	v_add_u32_e32 v9, 16, v9
	s_waitcnt lgkmcnt(0)
	v_add_f64 v[5:6], v[5:6], v[18:19]
	v_add_f64 v[7:8], v[7:8], v[20:21]
	s_andn2_b64 exec, exec, s[8:9]
	s_cbranch_execnz .LBB37_87
; %bb.88:                               ;   in Loop: Header=BB37_85 Depth=1
	s_or_b64 exec, exec, s[8:9]
.LBB37_89:                              ;   in Loop: Header=BB37_85 Depth=1
	s_or_b64 exec, exec, s[0:1]
	v_lshlrev_b64 v[9:10], 4, v[13:14]
	s_and_saveexec_b64 s[0:1], s[6:7]
	s_cbranch_execz .LBB37_84
; %bb.90:                               ;   in Loop: Header=BB37_85 Depth=1
	v_mov_b32_e32 v12, s35
	v_add_co_u32_e32 v11, vcc, s34, v9
	v_addc_co_u32_e32 v12, vcc, v12, v10, vcc
	global_load_dwordx4 v[18:21], v[11:12], off
	s_waitcnt vmcnt(0)
	v_fma_f64 v[5:6], v[1:2], v[18:19], v[5:6]
	v_fma_f64 v[7:8], v[3:4], v[18:19], v[7:8]
	v_fma_f64 v[5:6], -v[3:4], v[20:21], v[5:6]
	v_fma_f64 v[7:8], v[1:2], v[20:21], v[7:8]
	s_branch .LBB37_84
.LBB37_91:
	s_or_b64 exec, exec, s[2:3]
	s_mov_b64 s[0:1], 0
.LBB37_92:
	s_andn2_b64 vcc, exec, s[0:1]
	s_cbranch_vccnz .LBB37_117
; %bb.93:
	s_flbit_i32_b32 s0, s33
	s_xor_b32 s0, s0, 31
	v_lshrrev_b32_e32 v11, s0, v0
	v_mov_b32_e32 v5, s37
	v_add_co_u32_e32 v9, vcc, s36, v11
	v_addc_co_u32_e32 v10, vcc, 0, v5, vcc
	v_mov_b32_e32 v5, 0
	s_add_i32 s0, s33, -1
	v_mov_b32_e32 v6, 0
	v_and_b32_e32 v0, s0, v0
	v_cmp_le_i64_e32 vcc, s[38:39], v[9:10]
	v_cmp_gt_i64_e64 s[0:1], s[38:39], v[9:10]
	v_mov_b32_e32 v8, v6
	v_mov_b32_e32 v7, v5
	s_and_saveexec_b64 s[2:3], s[0:1]
	s_cbranch_execz .LBB37_99
; %bb.94:
	v_lshlrev_b32_e32 v5, 3, v11
	global_load_dword v6, v5, s[42:43] offset:8
	global_load_dword v12, v5, s[42:43]
	v_mov_b32_e32 v7, 0
	v_mov_b32_e32 v8, 0
	s_waitcnt vmcnt(1)
	v_subrev_u32_e32 v11, s40, v6
	s_waitcnt vmcnt(0)
	v_subrev_u32_e32 v5, s40, v12
	v_add_u32_e32 v12, v0, v5
	v_mov_b32_e32 v5, 0
	v_mov_b32_e32 v6, 0
	v_cmp_lt_i32_e64 s[0:1], v12, v11
	s_and_saveexec_b64 s[4:5], s[0:1]
	s_cbranch_execz .LBB37_98
; %bb.95:
	v_mov_b32_e32 v7, 0
	v_mov_b32_e32 v8, 0
	;; [unrolled: 1-line block ×3, first 2 shown]
	v_lshlrev_b32_e32 v13, 4, v12
	s_lshl_b32 s8, s33, 4
	s_mov_b64 s[6:7], 0
	v_mov_b32_e32 v6, v8
.LBB37_96:                              ; =>This Inner Loop Header: Depth=1
	ds_read_b128 v[16:19], v13
	v_add_u32_e32 v12, s33, v12
	v_cmp_ge_i32_e64 s[0:1], v12, v11
	s_or_b64 s[6:7], s[0:1], s[6:7]
	v_add_u32_e32 v13, s8, v13
	s_waitcnt lgkmcnt(0)
	v_add_f64 v[5:6], v[5:6], v[16:17]
	v_add_f64 v[7:8], v[7:8], v[18:19]
	s_andn2_b64 exec, exec, s[6:7]
	s_cbranch_execnz .LBB37_96
; %bb.97:
	s_or_b64 exec, exec, s[6:7]
.LBB37_98:
	s_or_b64 exec, exec, s[4:5]
.LBB37_99:
	s_or_b64 exec, exec, s[2:3]
	s_cmpk_lt_u32 s33, 0x81
	s_waitcnt vmcnt(0)
	s_barrier
	ds_write_b128 v15, v[5:8]
	s_waitcnt lgkmcnt(0)
	s_barrier
	s_cbranch_scc1 .LBB37_101
; %bb.100:
	ds_read_b128 v[11:14], v15 offset:2048
	s_waitcnt lgkmcnt(0)
	s_barrier
	v_add_f64 v[5:6], v[5:6], v[11:12]
	v_add_f64 v[7:8], v[7:8], v[13:14]
	ds_write_b128 v15, v[5:8]
.LBB37_101:
	s_cmpk_lt_u32 s33, 0x41
	s_waitcnt lgkmcnt(0)
	s_barrier
	s_cbranch_scc1 .LBB37_103
; %bb.102:
	ds_read_b128 v[11:14], v15 offset:1024
	s_waitcnt lgkmcnt(0)
	s_barrier
	v_add_f64 v[5:6], v[5:6], v[11:12]
	v_add_f64 v[7:8], v[7:8], v[13:14]
	ds_write_b128 v15, v[5:8]
.LBB37_103:
	s_cmp_lt_u32 s33, 33
	s_waitcnt lgkmcnt(0)
	s_barrier
	s_cbranch_scc1 .LBB37_105
; %bb.104:
	ds_read_b128 v[11:14], v15 offset:512
	s_waitcnt lgkmcnt(0)
	s_barrier
	v_add_f64 v[5:6], v[5:6], v[11:12]
	v_add_f64 v[7:8], v[7:8], v[13:14]
	ds_write_b128 v15, v[5:8]
.LBB37_105:
	s_cmp_lt_u32 s33, 17
	;; [unrolled: 12-line block ×4, first 2 shown]
	s_waitcnt lgkmcnt(0)
	s_barrier
	s_cbranch_scc1 .LBB37_111
; %bb.110:
	ds_read_b128 v[11:14], v15 offset:64
	s_waitcnt lgkmcnt(0)
	s_barrier
	v_add_f64 v[5:6], v[5:6], v[11:12]
	v_add_f64 v[7:8], v[7:8], v[13:14]
	ds_write_b128 v15, v[5:8]
.LBB37_111:
	s_cmp_eq_u32 s33, 2
	s_waitcnt lgkmcnt(0)
	s_barrier
	s_cbranch_scc1 .LBB37_113
; %bb.112:
	ds_read_b128 v[11:14], v15 offset:32
	s_waitcnt lgkmcnt(0)
	s_barrier
	v_add_f64 v[5:6], v[5:6], v[11:12]
	v_add_f64 v[7:8], v[7:8], v[13:14]
	ds_write_b128 v15, v[5:8]
.LBB37_113:
	s_waitcnt lgkmcnt(0)
	s_barrier
	ds_read_b128 v[11:14], v15 offset:16
	v_cmp_eq_u32_e64 s[0:1], 0, v0
	s_xor_b64 s[2:3], vcc, -1
	s_and_b64 s[0:1], s[0:1], s[2:3]
	s_waitcnt lgkmcnt(0)
	v_add_f64 v[5:6], v[5:6], v[11:12]
	v_add_f64 v[7:8], v[7:8], v[13:14]
	s_barrier
	ds_write_b128 v15, v[5:8]
	s_and_b64 exec, exec, s[0:1]
	s_cbranch_execz .LBB37_117
; %bb.114:
	v_cmp_neq_f64_e32 vcc, 0, v[1:2]
	v_cmp_neq_f64_e64 s[0:1], 0, v[3:4]
	v_lshlrev_b64 v[9:10], 4, v[9:10]
	s_or_b64 s[2:3], vcc, s[0:1]
	s_and_saveexec_b64 s[0:1], s[2:3]
	s_cbranch_execz .LBB37_116
; %bb.115:
	v_mov_b32_e32 v0, s35
	v_add_co_u32_e32 v11, vcc, s34, v9
	v_addc_co_u32_e32 v12, vcc, v0, v10, vcc
	global_load_dwordx4 v[11:14], v[11:12], off
	s_waitcnt vmcnt(0)
	v_fma_f64 v[5:6], v[1:2], v[11:12], v[5:6]
	v_fma_f64 v[7:8], v[3:4], v[11:12], v[7:8]
	v_fma_f64 v[5:6], -v[3:4], v[13:14], v[5:6]
	v_fma_f64 v[7:8], v[1:2], v[13:14], v[7:8]
.LBB37_116:
	s_or_b64 exec, exec, s[0:1]
	v_mov_b32_e32 v1, s35
	v_add_co_u32_e32 v0, vcc, s34, v9
	v_addc_co_u32_e32 v1, vcc, v1, v10, vcc
	global_store_dwordx4 v[0:1], v[5:8], off
.LBB37_117:
	s_endpgm
	.section	.rodata,"a",@progbits
	.p2align	6, 0x0
	.amdhsa_kernel _ZN9rocsparseL22csrmvn_adaptive_kernelIli21rocsparse_complex_numIdES2_S2_S2_EEvbT_PKS3_PjPKT0_NS_24const_host_device_scalarIT4_EES5_S9_PKT1_PKT2_SC_PT3_21rocsparse_index_base_b
		.amdhsa_group_segment_fixed_size 16384
		.amdhsa_private_segment_fixed_size 0
		.amdhsa_kernarg_size 120
		.amdhsa_user_sgpr_count 6
		.amdhsa_user_sgpr_private_segment_buffer 1
		.amdhsa_user_sgpr_dispatch_ptr 0
		.amdhsa_user_sgpr_queue_ptr 0
		.amdhsa_user_sgpr_kernarg_segment_ptr 1
		.amdhsa_user_sgpr_dispatch_id 0
		.amdhsa_user_sgpr_flat_scratch_init 0
		.amdhsa_user_sgpr_private_segment_size 0
		.amdhsa_uses_dynamic_stack 0
		.amdhsa_system_sgpr_private_segment_wavefront_offset 0
		.amdhsa_system_sgpr_workgroup_id_x 1
		.amdhsa_system_sgpr_workgroup_id_y 0
		.amdhsa_system_sgpr_workgroup_id_z 0
		.amdhsa_system_sgpr_workgroup_info 0
		.amdhsa_system_vgpr_workitem_id 0
		.amdhsa_next_free_vgpr 50
		.amdhsa_next_free_sgpr 98
		.amdhsa_reserve_vcc 1
		.amdhsa_reserve_flat_scratch 0
		.amdhsa_float_round_mode_32 0
		.amdhsa_float_round_mode_16_64 0
		.amdhsa_float_denorm_mode_32 3
		.amdhsa_float_denorm_mode_16_64 3
		.amdhsa_dx10_clamp 1
		.amdhsa_ieee_mode 1
		.amdhsa_fp16_overflow 0
		.amdhsa_exception_fp_ieee_invalid_op 0
		.amdhsa_exception_fp_denorm_src 0
		.amdhsa_exception_fp_ieee_div_zero 0
		.amdhsa_exception_fp_ieee_overflow 0
		.amdhsa_exception_fp_ieee_underflow 0
		.amdhsa_exception_fp_ieee_inexact 0
		.amdhsa_exception_int_div_zero 0
	.end_amdhsa_kernel
	.section	.text._ZN9rocsparseL22csrmvn_adaptive_kernelIli21rocsparse_complex_numIdES2_S2_S2_EEvbT_PKS3_PjPKT0_NS_24const_host_device_scalarIT4_EES5_S9_PKT1_PKT2_SC_PT3_21rocsparse_index_base_b,"axG",@progbits,_ZN9rocsparseL22csrmvn_adaptive_kernelIli21rocsparse_complex_numIdES2_S2_S2_EEvbT_PKS3_PjPKT0_NS_24const_host_device_scalarIT4_EES5_S9_PKT1_PKT2_SC_PT3_21rocsparse_index_base_b,comdat
.Lfunc_end37:
	.size	_ZN9rocsparseL22csrmvn_adaptive_kernelIli21rocsparse_complex_numIdES2_S2_S2_EEvbT_PKS3_PjPKT0_NS_24const_host_device_scalarIT4_EES5_S9_PKT1_PKT2_SC_PT3_21rocsparse_index_base_b, .Lfunc_end37-_ZN9rocsparseL22csrmvn_adaptive_kernelIli21rocsparse_complex_numIdES2_S2_S2_EEvbT_PKS3_PjPKT0_NS_24const_host_device_scalarIT4_EES5_S9_PKT1_PKT2_SC_PT3_21rocsparse_index_base_b
                                        ; -- End function
	.set _ZN9rocsparseL22csrmvn_adaptive_kernelIli21rocsparse_complex_numIdES2_S2_S2_EEvbT_PKS3_PjPKT0_NS_24const_host_device_scalarIT4_EES5_S9_PKT1_PKT2_SC_PT3_21rocsparse_index_base_b.num_vgpr, 50
	.set _ZN9rocsparseL22csrmvn_adaptive_kernelIli21rocsparse_complex_numIdES2_S2_S2_EEvbT_PKS3_PjPKT0_NS_24const_host_device_scalarIT4_EES5_S9_PKT1_PKT2_SC_PT3_21rocsparse_index_base_b.num_agpr, 0
	.set _ZN9rocsparseL22csrmvn_adaptive_kernelIli21rocsparse_complex_numIdES2_S2_S2_EEvbT_PKS3_PjPKT0_NS_24const_host_device_scalarIT4_EES5_S9_PKT1_PKT2_SC_PT3_21rocsparse_index_base_b.numbered_sgpr, 64
	.set _ZN9rocsparseL22csrmvn_adaptive_kernelIli21rocsparse_complex_numIdES2_S2_S2_EEvbT_PKS3_PjPKT0_NS_24const_host_device_scalarIT4_EES5_S9_PKT1_PKT2_SC_PT3_21rocsparse_index_base_b.num_named_barrier, 0
	.set _ZN9rocsparseL22csrmvn_adaptive_kernelIli21rocsparse_complex_numIdES2_S2_S2_EEvbT_PKS3_PjPKT0_NS_24const_host_device_scalarIT4_EES5_S9_PKT1_PKT2_SC_PT3_21rocsparse_index_base_b.private_seg_size, 0
	.set _ZN9rocsparseL22csrmvn_adaptive_kernelIli21rocsparse_complex_numIdES2_S2_S2_EEvbT_PKS3_PjPKT0_NS_24const_host_device_scalarIT4_EES5_S9_PKT1_PKT2_SC_PT3_21rocsparse_index_base_b.uses_vcc, 1
	.set _ZN9rocsparseL22csrmvn_adaptive_kernelIli21rocsparse_complex_numIdES2_S2_S2_EEvbT_PKS3_PjPKT0_NS_24const_host_device_scalarIT4_EES5_S9_PKT1_PKT2_SC_PT3_21rocsparse_index_base_b.uses_flat_scratch, 0
	.set _ZN9rocsparseL22csrmvn_adaptive_kernelIli21rocsparse_complex_numIdES2_S2_S2_EEvbT_PKS3_PjPKT0_NS_24const_host_device_scalarIT4_EES5_S9_PKT1_PKT2_SC_PT3_21rocsparse_index_base_b.has_dyn_sized_stack, 0
	.set _ZN9rocsparseL22csrmvn_adaptive_kernelIli21rocsparse_complex_numIdES2_S2_S2_EEvbT_PKS3_PjPKT0_NS_24const_host_device_scalarIT4_EES5_S9_PKT1_PKT2_SC_PT3_21rocsparse_index_base_b.has_recursion, 0
	.set _ZN9rocsparseL22csrmvn_adaptive_kernelIli21rocsparse_complex_numIdES2_S2_S2_EEvbT_PKS3_PjPKT0_NS_24const_host_device_scalarIT4_EES5_S9_PKT1_PKT2_SC_PT3_21rocsparse_index_base_b.has_indirect_call, 0
	.section	.AMDGPU.csdata,"",@progbits
; Kernel info:
; codeLenInByte = 5352
; TotalNumSgprs: 68
; NumVgprs: 50
; ScratchSize: 0
; MemoryBound: 0
; FloatMode: 240
; IeeeMode: 1
; LDSByteSize: 16384 bytes/workgroup (compile time only)
; SGPRBlocks: 12
; VGPRBlocks: 12
; NumSGPRsForWavesPerEU: 102
; NumVGPRsForWavesPerEU: 50
; Occupancy: 4
; WaveLimiterHint : 1
; COMPUTE_PGM_RSRC2:SCRATCH_EN: 0
; COMPUTE_PGM_RSRC2:USER_SGPR: 6
; COMPUTE_PGM_RSRC2:TRAP_HANDLER: 0
; COMPUTE_PGM_RSRC2:TGID_X_EN: 1
; COMPUTE_PGM_RSRC2:TGID_Y_EN: 0
; COMPUTE_PGM_RSRC2:TGID_Z_EN: 0
; COMPUTE_PGM_RSRC2:TIDIG_COMP_CNT: 0
	.section	.text._ZN9rocsparseL27csrmvn_symm_adaptive_kernelIli21rocsparse_complex_numIdES2_S2_S2_EEvbT_S3_PKS3_NS_24const_host_device_scalarIT4_EES5_PKT0_PKT1_PKT2_S8_PT3_21rocsparse_index_base_b,"axG",@progbits,_ZN9rocsparseL27csrmvn_symm_adaptive_kernelIli21rocsparse_complex_numIdES2_S2_S2_EEvbT_S3_PKS3_NS_24const_host_device_scalarIT4_EES5_PKT0_PKT1_PKT2_S8_PT3_21rocsparse_index_base_b,comdat
	.globl	_ZN9rocsparseL27csrmvn_symm_adaptive_kernelIli21rocsparse_complex_numIdES2_S2_S2_EEvbT_S3_PKS3_NS_24const_host_device_scalarIT4_EES5_PKT0_PKT1_PKT2_S8_PT3_21rocsparse_index_base_b ; -- Begin function _ZN9rocsparseL27csrmvn_symm_adaptive_kernelIli21rocsparse_complex_numIdES2_S2_S2_EEvbT_S3_PKS3_NS_24const_host_device_scalarIT4_EES5_PKT0_PKT1_PKT2_S8_PT3_21rocsparse_index_base_b
	.p2align	8
	.type	_ZN9rocsparseL27csrmvn_symm_adaptive_kernelIli21rocsparse_complex_numIdES2_S2_S2_EEvbT_S3_PKS3_NS_24const_host_device_scalarIT4_EES5_PKT0_PKT1_PKT2_S8_PT3_21rocsparse_index_base_b,@function
_ZN9rocsparseL27csrmvn_symm_adaptive_kernelIli21rocsparse_complex_numIdES2_S2_S2_EEvbT_S3_PKS3_NS_24const_host_device_scalarIT4_EES5_PKT0_PKT1_PKT2_S8_PT3_21rocsparse_index_base_b: ; @_ZN9rocsparseL27csrmvn_symm_adaptive_kernelIli21rocsparse_complex_numIdES2_S2_S2_EEvbT_S3_PKS3_NS_24const_host_device_scalarIT4_EES5_PKT0_PKT1_PKT2_S8_PT3_21rocsparse_index_base_b
; %bb.0:
	s_load_dwordx2 s[34:35], s[4:5], 0x68
	s_load_dwordx2 s[0:1], s[4:5], 0x20
	s_add_u32 s7, s4, 32
	s_addc_u32 s10, s5, 0
	s_waitcnt lgkmcnt(0)
	s_bitcmp1_b32 s35, 0
	s_cselect_b64 s[8:9], -1, 0
	s_and_b64 s[2:3], s[8:9], exec
	s_cselect_b32 s1, s10, s1
	s_cselect_b32 s0, s7, s0
	v_mov_b32_e32 v1, s0
	v_mov_b32_e32 v2, s1
	flat_load_dwordx4 v[2:5], v[1:2]
	s_waitcnt vmcnt(0) lgkmcnt(0)
	v_cmp_eq_f64_e32 vcc, 0, v[2:3]
	v_cmp_eq_f64_e64 s[0:1], 0, v[4:5]
	s_and_b64 s[10:11], vcc, s[0:1]
	s_mov_b64 s[0:1], -1
	s_and_saveexec_b64 s[2:3], s[10:11]
	s_cbranch_execz .LBB38_2
; %bb.1:
	s_load_dwordx2 s[0:1], s[4:5], 0x50
	s_add_u32 s7, s4, 0x50
	s_addc_u32 s10, s5, 0
	s_and_b64 s[8:9], s[8:9], exec
	s_waitcnt lgkmcnt(0)
	s_cselect_b32 s1, s10, s1
	s_cselect_b32 s0, s7, s0
	v_mov_b32_e32 v6, s0
	v_mov_b32_e32 v7, s1
	flat_load_dwordx4 v[6:9], v[6:7]
	s_waitcnt vmcnt(0) lgkmcnt(0)
	v_cmp_neq_f64_e32 vcc, 1.0, v[6:7]
	v_cmp_neq_f64_e64 s[0:1], 0, v[8:9]
	s_or_b64 s[0:1], vcc, s[0:1]
	s_orn2_b64 s[0:1], s[0:1], exec
.LBB38_2:
	s_or_b64 exec, exec, s[2:3]
	s_and_saveexec_b64 s[2:3], s[0:1]
	s_cbranch_execz .LBB38_199
; %bb.3:
	s_load_dword s0, s[4:5], 0x0
	s_load_dwordx2 s[2:3], s[4:5], 0x18
	s_mov_b32 s8, 0
	s_mov_b32 s9, s8
	s_mov_b32 s10, s8
	s_waitcnt lgkmcnt(0)
	s_bitcmp1_b32 s0, 0
	s_cselect_b64 s[0:1], -1, 0
	s_ashr_i32 s7, s6, 31
	s_lshl_b64 s[6:7], s[6:7], 3
	s_mov_b32 s11, s8
	v_mov_b32_e32 v6, s8
	s_add_u32 s2, s2, s6
	v_lshlrev_b32_e32 v26, 4, v0
	v_mov_b32_e32 v7, s9
	v_mov_b32_e32 v8, s10
	;; [unrolled: 1-line block ×3, first 2 shown]
	s_addc_u32 s3, s3, s7
	ds_write_b128 v26, v[6:9]
	ds_write_b128 v26, v[6:9] offset:4096
	ds_write_b128 v26, v[6:9] offset:8192
	;; [unrolled: 1-line block ×3, first 2 shown]
	s_waitcnt lgkmcnt(0)
	s_barrier
	s_load_dwordx4 s[24:27], s[2:3], 0x0
	s_load_dwordx2 s[28:29], s[4:5], 0x60
	s_load_dwordx8 s[16:23], s[4:5], 0x30
	s_mov_b64 s[2:3], -1
	s_waitcnt lgkmcnt(0)
	s_sub_u32 s30, s26, s24
	s_subb_u32 s31, s27, s25
	v_cmp_gt_i64_e64 s[6:7], s[30:31], 2
	s_and_b64 vcc, exec, s[6:7]
	s_cbranch_vccnz .LBB38_47
; %bb.4:
	v_mov_b32_e32 v6, s24
	v_mov_b32_e32 v7, s25
	v_cmp_le_i64_e32 vcc, s[26:27], v[6:7]
	v_subrev_co_u32_e64 v1, s[2:3], s34, v0
	v_mov_b32_e32 v19, 0
	v_subb_co_u32_e64 v18, s[2:3], 0, 0, s[2:3]
	s_cbranch_vccnz .LBB38_34
; %bb.5:
	s_movk_i32 s33, 0x100
	s_add_u32 s35, s20, 8
	v_mov_b32_e32 v14, s26
	v_cmp_gt_u32_e64 s[2:3], s33, v0
	v_cmp_gt_u32_e64 s[6:7], 64, v0
	;; [unrolled: 1-line block ×4, first 2 shown]
	v_cmp_eq_u32_e64 s[12:13], 0, v0
	s_addc_u32 s44, s21, 0
	v_mov_b32_e32 v15, s27
	s_mov_b64 s[36:37], s[24:25]
	s_branch .LBB38_7
.LBB38_6:                               ;   in Loop: Header=BB38_7 Depth=1
	s_or_b64 exec, exec, s[14:15]
	s_add_u32 s36, s36, 1
	s_addc_u32 s37, s37, 0
	v_cmp_ge_i64_e32 vcc, s[36:37], v[14:15]
	s_cbranch_vccnz .LBB38_34
.LBB38_7:                               ; =>This Loop Header: Depth=1
                                        ;     Child Loop BB38_9 Depth 2
                                        ;     Child Loop BB38_23 Depth 2
	;; [unrolled: 1-line block ×5, first 2 shown]
	s_lshl_b64 s[14:15], s[36:37], 3
	s_add_u32 s14, s16, s14
	s_addc_u32 s15, s17, s15
	s_load_dwordx4 s[40:43], s[14:15], 0x0
	v_mov_b32_e32 v8, 0
	v_mov_b32_e32 v9, 0
	s_waitcnt lgkmcnt(0)
	s_sub_u32 s38, s42, s34
	v_mov_b32_e32 v6, s41
	v_add_co_u32_e32 v10, vcc, s40, v1
	s_subb_u32 s39, s43, 0
	v_addc_co_u32_e32 v11, vcc, v6, v18, vcc
	v_cmp_gt_i64_e32 vcc, s[38:39], v[10:11]
	v_mov_b32_e32 v6, 0
	v_mov_b32_e32 v7, 0
	s_and_saveexec_b64 s[40:41], vcc
	s_cbranch_execz .LBB38_11
; %bb.8:                                ;   in Loop: Header=BB38_7 Depth=1
	v_lshlrev_b64 v[6:7], 2, v[10:11]
	v_mov_b32_e32 v8, s19
	v_add_co_u32_e32 v12, vcc, s18, v6
	v_addc_co_u32_e32 v13, vcc, v8, v7, vcc
	v_lshlrev_b64 v[6:7], 4, v[10:11]
	v_mov_b32_e32 v8, s44
	v_add_co_u32_e32 v16, vcc, s35, v6
	v_addc_co_u32_e32 v17, vcc, v8, v7, vcc
	v_mov_b32_e32 v8, 0
	v_mov_b32_e32 v9, 0
	;; [unrolled: 1-line block ×3, first 2 shown]
	s_mov_b64 s[42:43], 0
	v_mov_b32_e32 v7, v9
.LBB38_9:                               ;   Parent Loop BB38_7 Depth=1
                                        ; =>  This Inner Loop Header: Depth=2
	global_load_dword v24, v[12:13], off
	global_load_dwordx4 v[20:23], v[16:17], off offset:-8
	v_mov_b32_e32 v27, s23
	s_waitcnt vmcnt(1)
	v_subrev_u32_e32 v24, s34, v24
	v_ashrrev_i32_e32 v25, 31, v24
	v_lshlrev_b64 v[24:25], 4, v[24:25]
	v_add_co_u32_e32 v24, vcc, s22, v24
	v_addc_co_u32_e32 v25, vcc, v27, v25, vcc
	global_load_dwordx4 v[27:30], v[24:25], off
	s_waitcnt vmcnt(1)
	v_xor_b32_e32 v24, 0x80000000, v23
	v_cndmask_b32_e64 v23, v23, v24, s[0:1]
	v_add_co_u32_e32 v10, vcc, s33, v10
	v_addc_co_u32_e32 v11, vcc, 0, v11, vcc
	v_add_co_u32_e32 v12, vcc, 0x400, v12
	v_addc_co_u32_e32 v13, vcc, 0, v13, vcc
	v_cmp_le_i64_e64 s[14:15], s[38:39], v[10:11]
	v_add_co_u32_e32 v16, vcc, 0x1000, v16
	s_or_b64 s[42:43], s[14:15], s[42:43]
	v_addc_co_u32_e32 v17, vcc, 0, v17, vcc
	s_waitcnt vmcnt(0)
	v_fma_f64 v[6:7], v[20:21], v[27:28], v[6:7]
	v_fma_f64 v[8:9], v[22:23], v[27:28], v[8:9]
	v_fma_f64 v[6:7], -v[22:23], v[29:30], v[6:7]
	v_fma_f64 v[8:9], v[20:21], v[29:30], v[8:9]
	s_andn2_b64 exec, exec, s[42:43]
	s_cbranch_execnz .LBB38_9
; %bb.10:                               ;   in Loop: Header=BB38_7 Depth=1
	s_or_b64 exec, exec, s[42:43]
.LBB38_11:                              ;   in Loop: Header=BB38_7 Depth=1
	s_or_b64 exec, exec, s[40:41]
	ds_write_b128 v26, v[6:9]
	s_waitcnt lgkmcnt(0)
	s_barrier
	s_and_saveexec_b64 s[14:15], s[2:3]
	s_cbranch_execz .LBB38_13
; %bb.12:                               ;   in Loop: Header=BB38_7 Depth=1
	ds_read_b128 v[6:9], v26 offset:4096
	ds_read_b128 v[10:13], v26 offset:8192
	ds_read_b128 v[20:23], v26 offset:12288
	ds_read_b128 v[27:30], v26
	s_waitcnt lgkmcnt(2)
	v_add_f64 v[6:7], v[10:11], v[6:7]
	v_add_f64 v[8:9], v[12:13], v[8:9]
	s_waitcnt lgkmcnt(1)
	v_add_f64 v[6:7], v[6:7], v[20:21]
	v_add_f64 v[8:9], v[8:9], v[22:23]
	s_waitcnt lgkmcnt(0)
	v_add_f64 v[6:7], v[6:7], v[27:28]
	v_add_f64 v[8:9], v[8:9], v[29:30]
	ds_write_b128 v26, v[6:9]
.LBB38_13:                              ;   in Loop: Header=BB38_7 Depth=1
	s_or_b64 exec, exec, s[14:15]
	s_waitcnt lgkmcnt(0)
	s_barrier
	s_and_saveexec_b64 s[14:15], s[6:7]
	s_cbranch_execz .LBB38_15
; %bb.14:                               ;   in Loop: Header=BB38_7 Depth=1
	ds_read_b128 v[6:9], v26 offset:1024
	ds_read_b128 v[10:13], v26 offset:2048
	ds_read_b128 v[20:23], v26 offset:3072
	ds_read_b128 v[27:30], v26
	s_waitcnt lgkmcnt(2)
	v_add_f64 v[6:7], v[10:11], v[6:7]
	v_add_f64 v[8:9], v[12:13], v[8:9]
	s_waitcnt lgkmcnt(1)
	v_add_f64 v[6:7], v[6:7], v[20:21]
	v_add_f64 v[8:9], v[8:9], v[22:23]
	s_waitcnt lgkmcnt(0)
	v_add_f64 v[6:7], v[6:7], v[27:28]
	v_add_f64 v[8:9], v[8:9], v[29:30]
	ds_write_b128 v26, v[6:9]
.LBB38_15:                              ;   in Loop: Header=BB38_7 Depth=1
	s_or_b64 exec, exec, s[14:15]
	;; [unrolled: 21-line block ×5, first 2 shown]
	s_waitcnt lgkmcnt(0)
	s_barrier
	s_and_saveexec_b64 s[14:15], s[12:13]
	s_cbranch_execz .LBB38_6
; %bb.22:                               ;   in Loop: Header=BB38_7 Depth=1
	ds_read_b128 v[6:9], v19
	v_mov_b32_e32 v16, 0
	s_mov_b64 s[38:39], exec
	v_bfrev_b32_e32 v17, 1
	s_waitcnt lgkmcnt(0)
	v_mul_f64 v[10:11], v[8:9], -v[4:5]
	v_fma_f64 v[10:11], v[2:3], v[6:7], v[10:11]
.LBB38_23:                              ;   Parent Loop BB38_7 Depth=1
                                        ; =>  This Inner Loop Header: Depth=2
	s_ff1_i32_b64 s42, s[38:39]
	v_readlane_b32 s41, v11, s42
	v_readlane_b32 s40, v10, s42
	v_add_f64 v[16:17], v[16:17], s[40:41]
	s_lshl_b64 s[40:41], 1, s42
	s_andn2_b64 s[38:39], s[38:39], s[40:41]
	s_cmp_lg_u64 s[38:39], 0
	s_cbranch_scc1 .LBB38_23
; %bb.24:                               ;   in Loop: Header=BB38_7 Depth=1
	s_lshl_b64 s[38:39], s[36:37], 4
	v_mbcnt_lo_u32_b32 v10, exec_lo, 0
	s_add_u32 s38, s28, s38
	v_mbcnt_hi_u32_b32 v10, exec_hi, v10
	s_addc_u32 s39, s29, s39
	v_cmp_eq_u32_e32 vcc, 0, v10
	s_and_saveexec_b64 s[40:41], vcc
	s_xor_b64 s[40:41], exec, s[40:41]
	s_cbranch_execz .LBB38_28
; %bb.25:                               ;   in Loop: Header=BB38_7 Depth=1
	global_load_dwordx2 v[12:13], v19, s[38:39]
	s_mov_b64 s[42:43], 0
.LBB38_26:                              ;   Parent Loop BB38_7 Depth=1
                                        ; =>  This Inner Loop Header: Depth=2
	s_waitcnt vmcnt(0)
	v_add_f64 v[10:11], v[12:13], v[16:17]
	global_atomic_cmpswap_x2 v[10:11], v19, v[10:13], s[38:39] glc
	s_waitcnt vmcnt(0)
	v_cmp_eq_u64_e32 vcc, v[10:11], v[12:13]
	v_mov_b32_e32 v13, v11
	s_or_b64 s[42:43], vcc, s[42:43]
	v_mov_b32_e32 v12, v10
	s_andn2_b64 exec, exec, s[42:43]
	s_cbranch_execnz .LBB38_26
; %bb.27:                               ;   in Loop: Header=BB38_7 Depth=1
	s_or_b64 exec, exec, s[42:43]
.LBB38_28:                              ;   in Loop: Header=BB38_7 Depth=1
	s_or_b64 exec, exec, s[40:41]
	v_mul_f64 v[8:9], v[2:3], v[8:9]
	v_mov_b32_e32 v10, 0
	s_mov_b64 s[40:41], exec
	v_bfrev_b32_e32 v11, 1
	v_fma_f64 v[6:7], v[4:5], v[6:7], v[8:9]
.LBB38_29:                              ;   Parent Loop BB38_7 Depth=1
                                        ; =>  This Inner Loop Header: Depth=2
	s_ff1_i32_b64 s45, s[40:41]
	v_readlane_b32 s43, v7, s45
	v_readlane_b32 s42, v6, s45
	v_add_f64 v[10:11], v[10:11], s[42:43]
	s_lshl_b64 s[42:43], 1, s45
	s_andn2_b64 s[40:41], s[40:41], s[42:43]
	s_cmp_lg_u64 s[40:41], 0
	s_cbranch_scc1 .LBB38_29
; %bb.30:                               ;   in Loop: Header=BB38_7 Depth=1
	v_mbcnt_lo_u32_b32 v6, exec_lo, 0
	v_mbcnt_hi_u32_b32 v6, exec_hi, v6
	v_cmp_eq_u32_e32 vcc, 0, v6
	s_and_saveexec_b64 s[40:41], vcc
	s_xor_b64 s[40:41], exec, s[40:41]
	s_cbranch_execz .LBB38_6
; %bb.31:                               ;   in Loop: Header=BB38_7 Depth=1
	global_load_dwordx2 v[8:9], v19, s[38:39] offset:8
	s_mov_b64 s[40:41], 0
.LBB38_32:                              ;   Parent Loop BB38_7 Depth=1
                                        ; =>  This Inner Loop Header: Depth=2
	s_waitcnt vmcnt(0)
	v_add_f64 v[6:7], v[8:9], v[10:11]
	global_atomic_cmpswap_x2 v[6:7], v19, v[6:9], s[38:39] offset:8 glc
	s_waitcnt vmcnt(0)
	v_cmp_eq_u64_e32 vcc, v[6:7], v[8:9]
	v_mov_b32_e32 v9, v7
	s_or_b64 s[40:41], vcc, s[40:41]
	v_mov_b32_e32 v8, v6
	s_andn2_b64 exec, exec, s[40:41]
	s_cbranch_execnz .LBB38_32
; %bb.33:                               ;   in Loop: Header=BB38_7 Depth=1
	s_or_b64 exec, exec, s[40:41]
	s_branch .LBB38_6
.LBB38_34:
	s_lshl_b64 s[2:3], s[24:25], 3
	s_add_u32 s2, s16, s2
	s_addc_u32 s3, s17, s3
	s_lshl_b64 s[6:7], s[26:27], 3
	s_add_u32 s6, s16, s6
	s_addc_u32 s7, s17, s7
	s_load_dwordx2 s[10:11], s[2:3], 0x0
	s_load_dwordx2 s[8:9], s[6:7], 0x0
	s_waitcnt lgkmcnt(0)
	v_mov_b32_e32 v6, s11
	s_sub_u32 s8, s8, s34
	v_add_co_u32_e32 v14, vcc, s10, v1
	s_subb_u32 s9, s9, 0
	v_addc_co_u32_e32 v15, vcc, v6, v18, vcc
	v_cmp_gt_i64_e32 vcc, s[8:9], v[14:15]
	s_and_saveexec_b64 s[10:11], vcc
	s_cbranch_execz .LBB38_46
; %bb.35:
	s_add_u32 s12, s26, -1
	s_addc_u32 s13, s27, -1
	v_mov_b32_e32 v6, s12
	s_add_u32 s2, s26, -2
	v_mov_b32_e32 v7, s13
	s_addc_u32 s3, s27, -1
	v_cmp_lt_i64_e32 vcc, s[24:25], v[6:7]
	s_cmp_lg_u64 s[24:25], s[2:3]
	s_cselect_b64 s[2:3], -1, 0
	s_and_b64 s[2:3], vcc, s[2:3]
	v_cndmask_b32_e64 v1, 0, 1, s[2:3]
	s_mov_b64 s[14:15], 0
	v_cmp_ne_u32_e64 s[2:3], 1, v1
	v_mov_b32_e32 v1, s17
	v_mov_b32_e32 v24, s19
	s_branch .LBB38_37
.LBB38_36:                              ;   in Loop: Header=BB38_37 Depth=1
	s_or_b64 exec, exec, s[6:7]
	v_add_co_u32_e32 v14, vcc, 0x100, v14
	v_addc_co_u32_e32 v15, vcc, 0, v15, vcc
	v_cmp_le_i64_e32 vcc, s[8:9], v[14:15]
	s_or_b64 s[14:15], vcc, s[14:15]
	s_andn2_b64 exec, exec, s[14:15]
	s_cbranch_execz .LBB38_46
.LBB38_37:                              ; =>This Loop Header: Depth=1
                                        ;     Child Loop BB38_39 Depth 2
                                        ;     Child Loop BB38_43 Depth 2
                                        ;     Child Loop BB38_45 Depth 2
	v_mov_b32_e32 v6, s24
	v_mov_b32_e32 v8, s12
	s_and_b64 vcc, exec, s[2:3]
	v_mov_b32_e32 v7, s25
	v_mov_b32_e32 v9, s13
	s_cbranch_vccnz .LBB38_41
; %bb.38:                               ;   in Loop: Header=BB38_37 Depth=1
	v_mov_b32_e32 v6, s24
	v_mov_b32_e32 v8, s12
	s_mov_b64 s[36:37], 0
	v_mov_b32_e32 v7, s25
	v_mov_b32_e32 v9, s13
.LBB38_39:                              ;   Parent Loop BB38_37 Depth=1
                                        ; =>  This Inner Loop Header: Depth=2
	v_add_co_u32_e32 v10, vcc, v8, v6
	v_addc_co_u32_e32 v11, vcc, v9, v7, vcc
	v_lshrrev_b32_e32 v12, 31, v11
	v_add_co_u32_e32 v10, vcc, v10, v12
	v_addc_co_u32_e32 v11, vcc, 0, v11, vcc
	v_ashrrev_i64 v[10:11], 1, v[10:11]
	v_mov_b32_e32 v16, s17
	v_lshlrev_b64 v[12:13], 3, v[10:11]
	v_add_co_u32_e32 v12, vcc, s16, v12
	v_addc_co_u32_e32 v13, vcc, v16, v13, vcc
	global_load_dwordx2 v[12:13], v[12:13], off
	s_waitcnt vmcnt(0)
	v_subrev_co_u32_e32 v12, vcc, s34, v12
	v_subbrev_co_u32_e32 v13, vcc, 0, v13, vcc
	v_cmp_lt_i64_e32 vcc, v[14:15], v[12:13]
	v_cndmask_b32_e32 v8, v8, v10, vcc
	v_cndmask_b32_e32 v9, v9, v11, vcc
	;; [unrolled: 1-line block ×3, first 2 shown]
	v_add_co_u32_e64 v10, s[6:7], -1, v8
	v_cndmask_b32_e32 v7, v11, v7, vcc
	v_addc_co_u32_e64 v11, s[6:7], -1, v9, s[6:7]
	v_cmp_ge_i64_e32 vcc, v[6:7], v[8:9]
	v_cmp_eq_u64_e64 s[6:7], v[6:7], v[10:11]
	s_or_b64 s[6:7], vcc, s[6:7]
	s_and_b64 s[6:7], exec, s[6:7]
	s_or_b64 s[36:37], s[6:7], s[36:37]
	s_andn2_b64 exec, exec, s[36:37]
	s_cbranch_execnz .LBB38_39
; %bb.40:                               ;   in Loop: Header=BB38_37 Depth=1
	s_or_b64 exec, exec, s[36:37]
.LBB38_41:                              ;   in Loop: Header=BB38_37 Depth=1
	v_lshlrev_b64 v[10:11], 3, v[8:9]
	v_lshlrev_b64 v[12:13], 2, v[14:15]
	v_add_co_u32_e32 v10, vcc, s16, v10
	v_addc_co_u32_e32 v11, vcc, v1, v11, vcc
	global_load_dwordx2 v[10:11], v[10:11], off
	v_add_co_u32_e32 v12, vcc, s18, v12
	v_addc_co_u32_e32 v13, vcc, v24, v13, vcc
	global_load_dword v16, v[12:13], off
	s_waitcnt vmcnt(1)
	v_subrev_co_u32_e32 v12, vcc, s34, v10
	v_subbrev_co_u32_e32 v13, vcc, 0, v11, vcc
	v_cmp_lt_i64_e32 vcc, v[14:15], v[12:13]
	s_waitcnt vmcnt(0)
	v_subrev_u32_e32 v10, s34, v16
	v_cndmask_b32_e32 v7, v9, v7, vcc
	v_cndmask_b32_e32 v6, v8, v6, vcc
	v_ashrrev_i32_e32 v11, 31, v10
	v_cmp_ne_u64_e32 vcc, v[6:7], v[10:11]
	s_and_saveexec_b64 s[6:7], vcc
	s_cbranch_execz .LBB38_36
; %bb.42:                               ;   in Loop: Header=BB38_37 Depth=1
	v_lshlrev_b64 v[8:9], 4, v[14:15]
	v_mov_b32_e32 v12, s21
	v_add_co_u32_e32 v8, vcc, s20, v8
	v_addc_co_u32_e32 v9, vcc, v12, v9, vcc
	global_load_dwordx4 v[20:23], v[8:9], off
	v_lshlrev_b64 v[6:7], 4, v[6:7]
	v_mov_b32_e32 v8, s23
	v_add_co_u32_e32 v6, vcc, s22, v6
	v_addc_co_u32_e32 v7, vcc, v8, v7, vcc
	global_load_dwordx4 v[6:9], v[6:7], off
	v_lshlrev_b64 v[10:11], 4, v[10:11]
	v_mov_b32_e32 v12, s29
	v_add_co_u32_e32 v16, vcc, s28, v10
	v_addc_co_u32_e32 v17, vcc, v12, v11, vcc
	global_load_dwordx2 v[12:13], v[16:17], off
	s_mov_b64 s[36:37], 0
	s_waitcnt vmcnt(2)
	v_xor_b32_e32 v10, 0x80000000, v23
	v_cndmask_b32_e64 v23, v23, v10, s[0:1]
	v_mul_f64 v[10:11], v[2:3], v[22:23]
	v_mul_f64 v[22:23], v[22:23], -v[4:5]
	v_fma_f64 v[18:19], v[4:5], v[20:21], v[10:11]
	v_fma_f64 v[20:21], v[2:3], v[20:21], v[22:23]
	s_waitcnt vmcnt(1)
	v_mul_f64 v[10:11], v[8:9], -v[18:19]
	v_fma_f64 v[22:23], v[20:21], v[6:7], v[10:11]
.LBB38_43:                              ;   Parent Loop BB38_37 Depth=1
                                        ; =>  This Inner Loop Header: Depth=2
	s_waitcnt vmcnt(0)
	v_add_f64 v[10:11], v[12:13], v[22:23]
	global_atomic_cmpswap_x2 v[10:11], v[16:17], v[10:13], off glc
	s_waitcnt vmcnt(0)
	v_cmp_eq_u64_e32 vcc, v[10:11], v[12:13]
	v_mov_b32_e32 v13, v11
	s_or_b64 s[36:37], vcc, s[36:37]
	v_mov_b32_e32 v12, v10
	s_andn2_b64 exec, exec, s[36:37]
	s_cbranch_execnz .LBB38_43
; %bb.44:                               ;   in Loop: Header=BB38_37 Depth=1
	s_or_b64 exec, exec, s[36:37]
	global_load_dwordx2 v[10:11], v[16:17], off offset:8
	v_mul_f64 v[8:9], v[8:9], v[20:21]
	s_mov_b64 s[36:37], 0
	v_fma_f64 v[6:7], v[18:19], v[6:7], v[8:9]
.LBB38_45:                              ;   Parent Loop BB38_37 Depth=1
                                        ; =>  This Inner Loop Header: Depth=2
	s_waitcnt vmcnt(0)
	v_add_f64 v[8:9], v[10:11], v[6:7]
	global_atomic_cmpswap_x2 v[8:9], v[16:17], v[8:11], off offset:8 glc
	s_waitcnt vmcnt(0)
	v_cmp_eq_u64_e32 vcc, v[8:9], v[10:11]
	v_mov_b32_e32 v11, v9
	s_or_b64 s[36:37], vcc, s[36:37]
	v_mov_b32_e32 v10, v8
	s_andn2_b64 exec, exec, s[36:37]
	s_cbranch_execnz .LBB38_45
	s_branch .LBB38_36
.LBB38_46:
	s_or_b64 exec, exec, s[10:11]
	s_mov_b64 s[2:3], 0
.LBB38_47:
	s_and_b64 vcc, exec, s[2:3]
	s_cbranch_vccz .LBB38_199
; %bb.48:
	s_load_dword s2, s[4:5], 0x7c
	v_mov_b32_e32 v6, s30
	s_mov_b32 s13, 0
	v_mov_b32_e32 v7, s31
	s_mov_b64 s[36:37], 0
	s_waitcnt lgkmcnt(0)
	s_and_b32 s12, s2, 0xffff
	v_cmp_lt_u64_e32 vcc, s[12:13], v[6:7]
	s_cbranch_vccnz .LBB38_50
; %bb.49:
	v_cvt_f32_u32_e32 v1, s30
	s_sub_i32 s2, 0, s30
	v_rcp_iflag_f32_e32 v1, v1
	v_mul_f32_e32 v1, 0x4f7ffffe, v1
	v_cvt_u32_f32_e32 v1, v1
	v_readfirstlane_b32 s3, v1
	s_mul_i32 s2, s2, s3
	s_mul_hi_u32 s2, s3, s2
	s_add_i32 s3, s3, s2
	s_mul_hi_u32 s2, s12, s3
	s_mul_i32 s6, s2, s30
	s_sub_i32 s6, s12, s6
	s_add_i32 s3, s2, 1
	s_sub_i32 s7, s6, s30
	s_cmp_ge_u32 s6, s30
	s_cselect_b32 s2, s3, s2
	s_cselect_b32 s6, s7, s6
	s_add_i32 s3, s2, 1
	s_cmp_ge_u32 s6, s30
	s_cselect_b32 s36, s3, s2
.LBB38_50:
	s_lshl_b64 s[2:3], s[24:25], 3
	s_add_u32 s14, s16, s2
	s_addc_u32 s15, s17, s3
	s_load_dwordx2 s[6:7], s[14:15], 0x0
	s_load_dwordx4 s[8:11], s[4:5], 0x8
	v_subrev_co_u32_e32 v1, vcc, s34, v0
	v_subb_co_u32_e64 v6, s[2:3], 0, 0, vcc
	s_waitcnt lgkmcnt(0)
	v_mov_b32_e32 v7, s7
	v_add_co_u32_e32 v14, vcc, s6, v1
	v_addc_co_u32_e32 v15, vcc, v7, v6, vcc
	v_add_co_u32_e32 v16, vcc, 0x300, v14
	v_addc_co_u32_e32 v17, vcc, 0, v15, vcc
	v_cmp_le_i64_e64 s[2:3], s[8:9], v[16:17]
	v_mov_b32_e32 v1, 0
	s_and_saveexec_b64 s[4:5], s[2:3]
	s_xor_b64 s[4:5], exec, s[4:5]
	s_cbranch_execnz .LBB38_53
; %bb.51:
	s_andn2_saveexec_b64 s[4:5], s[4:5]
	s_cbranch_execnz .LBB38_57
.LBB38_52:
	s_or_b64 exec, exec, s[4:5]
	v_cmp_gt_i64_e32 vcc, s[10:11], v[0:1]
	s_and_saveexec_b64 s[0:1], vcc
	s_cbranch_execnz .LBB38_58
	s_branch .LBB38_60
.LBB38_53:
	s_lshl_b64 s[8:9], s[26:27], 3
	s_add_u32 s8, s16, s8
	s_addc_u32 s9, s17, s9
	s_load_dwordx2 s[8:9], s[8:9], 0x0
	s_waitcnt lgkmcnt(0)
	s_sub_u32 s8, s8, s6
	s_subb_u32 s9, s9, s7
	v_cmp_gt_i64_e32 vcc, s[8:9], v[0:1]
	s_and_saveexec_b64 s[38:39], vcc
	s_cbranch_execz .LBB38_56
; %bb.54:
	v_lshlrev_b64 v[6:7], 4, v[14:15]
	v_mov_b32_e32 v8, s21
	v_add_co_u32_e32 v6, vcc, s20, v6
	v_addc_co_u32_e32 v7, vcc, v8, v7, vcc
	v_add_co_u32_e32 v6, vcc, 8, v6
	v_mov_b32_e32 v9, v1
	v_addc_co_u32_e32 v7, vcc, 0, v7, vcc
	s_mov_b64 s[40:41], 0
	v_mov_b32_e32 v10, v26
	v_mov_b32_e32 v8, v0
.LBB38_55:                              ; =>This Inner Loop Header: Depth=1
	global_load_dwordx4 v[18:21], v[6:7], off offset:-8
	v_add_co_u32_e32 v6, vcc, 0x1000, v6
	v_addc_co_u32_e32 v7, vcc, 0, v7, vcc
	v_add_co_u32_e32 v8, vcc, 0x100, v8
	v_addc_co_u32_e32 v9, vcc, 0, v9, vcc
	v_cmp_le_i64_e32 vcc, s[8:9], v[8:9]
	s_or_b64 s[40:41], vcc, s[40:41]
	s_waitcnt vmcnt(0)
	v_xor_b32_e32 v11, 0x80000000, v21
	v_cndmask_b32_e64 v21, v21, v11, s[0:1]
	v_mul_f64 v[11:12], v[20:21], -v[4:5]
	v_mul_f64 v[22:23], v[2:3], v[20:21]
	v_fma_f64 v[20:21], v[2:3], v[18:19], v[11:12]
	v_fma_f64 v[22:23], v[4:5], v[18:19], v[22:23]
	ds_write_b128 v10, v[20:23]
	v_add_u32_e32 v10, 0x1000, v10
	s_andn2_b64 exec, exec, s[40:41]
	s_cbranch_execnz .LBB38_55
.LBB38_56:
	s_or_b64 exec, exec, s[38:39]
                                        ; implicit-def: $vgpr4_vgpr5
	s_andn2_saveexec_b64 s[4:5], s[4:5]
	s_cbranch_execz .LBB38_52
.LBB38_57:
	v_lshlrev_b64 v[6:7], 4, v[14:15]
	v_mov_b32_e32 v8, s21
	v_add_co_u32_e32 v22, vcc, s20, v6
	v_addc_co_u32_e32 v23, vcc, v8, v7, vcc
	s_movk_i32 s8, 0x2000
	v_add_co_u32_e32 v24, vcc, s8, v22
	global_load_dwordx4 v[6:9], v[22:23], off
	v_addc_co_u32_e32 v25, vcc, 0, v23, vcc
	s_movk_i32 s8, 0x3000
	v_add_co_u32_e32 v22, vcc, s8, v22
	global_load_dwordx4 v[10:13], v[24:25], off offset:-4096
	global_load_dwordx4 v[18:21], v[24:25], off
	v_addc_co_u32_e32 v23, vcc, 0, v23, vcc
	global_load_dwordx4 v[22:25], v[22:23], off
	s_waitcnt vmcnt(3)
	v_xor_b32_e32 v27, 0x80000000, v9
	v_cndmask_b32_e64 v9, v9, v27, s[0:1]
	v_mul_f64 v[27:28], v[8:9], -v[4:5]
	v_mul_f64 v[8:9], v[2:3], v[8:9]
	s_waitcnt vmcnt(2)
	v_xor_b32_e32 v29, 0x80000000, v13
	s_waitcnt vmcnt(1)
	v_xor_b32_e32 v30, 0x80000000, v21
	v_cndmask_b32_e64 v13, v13, v29, s[0:1]
	v_cndmask_b32_e64 v21, v21, v30, s[0:1]
	s_waitcnt vmcnt(0)
	v_xor_b32_e32 v29, 0x80000000, v25
	v_mul_f64 v[31:32], v[12:13], -v[4:5]
	v_mul_f64 v[12:13], v[2:3], v[12:13]
	v_mul_f64 v[33:34], v[20:21], -v[4:5]
	v_mul_f64 v[20:21], v[2:3], v[20:21]
	v_cndmask_b32_e64 v25, v25, v29, s[0:1]
	v_mul_f64 v[35:36], v[24:25], -v[4:5]
	v_mul_f64 v[24:25], v[2:3], v[24:25]
	v_fma_f64 v[27:28], v[2:3], v[6:7], v[27:28]
	v_fma_f64 v[29:30], v[4:5], v[6:7], v[8:9]
	;; [unrolled: 1-line block ×8, first 2 shown]
	ds_write_b128 v26, v[27:30]
	ds_write_b128 v26, v[6:9] offset:4096
	ds_write_b128 v26, v[10:13] offset:8192
	;; [unrolled: 1-line block ×3, first 2 shown]
	s_or_b64 exec, exec, s[4:5]
	v_cmp_gt_i64_e32 vcc, s[10:11], v[0:1]
	s_and_saveexec_b64 s[0:1], vcc
	s_cbranch_execz .LBB38_60
.LBB38_58:
	s_mov_b32 s8, 0
	v_mov_b32_e32 v2, 0x4000
	s_mov_b32 s20, s8
	v_lshl_add_u32 v8, v0, 4, v2
	s_mov_b32 s9, s8
	s_mov_b32 s21, s8
	v_mov_b32_e32 v2, s8
	v_mov_b32_e32 v4, s20
	;; [unrolled: 1-line block ×3, first 2 shown]
	s_mov_b64 s[4:5], 0
	v_mov_b32_e32 v3, s9
	v_mov_b32_e32 v5, s21
	;; [unrolled: 1-line block ×3, first 2 shown]
.LBB38_59:                              ; =>This Inner Loop Header: Depth=1
	v_add_co_u32_e32 v6, vcc, 0x100, v6
	v_addc_co_u32_e32 v7, vcc, 0, v7, vcc
	v_cmp_le_i64_e32 vcc, s[10:11], v[6:7]
	ds_write2_b64 v8, v[2:3], v[4:5] offset1:1
	s_or_b64 s[4:5], vcc, s[4:5]
	v_add_u32_e32 v8, 0x1000, v8
	s_andn2_b64 exec, exec, s[4:5]
	s_cbranch_execnz .LBB38_59
.LBB38_60:
	s_or_b64 exec, exec, s[0:1]
	v_mov_b32_e32 v2, s10
	v_mov_b32_e32 v3, s11
	s_sub_u32 s4, s26, s10
	v_cmp_ge_i64_e32 vcc, s[26:27], v[2:3]
	s_subb_u32 s5, s27, s11
	s_and_b64 s[0:1], vcc, exec
	s_cselect_b32 s9, s5, 0
	s_cselect_b32 s8, s4, 0
	s_waitcnt lgkmcnt(0)
	s_barrier
	s_and_saveexec_b64 s[0:1], s[2:3]
	s_xor_b64 s[20:21], exec, s[0:1]
	s_cbranch_execz .LBB38_85
; %bb.61:
	s_lshl_b64 s[0:1], s[26:27], 3
	s_add_u32 s0, s16, s0
	s_addc_u32 s1, s17, s1
	s_load_dwordx2 s[0:1], s[0:1], 0x0
	s_waitcnt lgkmcnt(0)
	s_sub_u32 s38, s0, s6
	s_subb_u32 s39, s1, s7
	v_cmp_gt_i64_e32 vcc, s[38:39], v[0:1]
	s_and_saveexec_b64 s[40:41], vcc
	s_cbranch_execz .LBB38_84
; %bb.62:
	s_add_u32 s42, s26, -1
	s_addc_u32 s43, s27, -1
	s_add_u32 s2, s26, -2
	s_addc_u32 s3, s27, -1
	s_cmp_lg_u64 s[24:25], s[2:3]
	s_cselect_b64 s[2:3], -1, 0
	s_sub_u32 s44, s0, s34
	v_cndmask_b32_e64 v2, 0, 1, s[2:3]
	s_subb_u32 s45, s1, 0
	s_mov_b64 s[46:47], 0
	v_cmp_ne_u32_e64 s[0:1], 1, v2
	v_mov_b32_e32 v24, s17
	v_mov_b32_e32 v25, s19
	;; [unrolled: 1-line block ×4, first 2 shown]
	s_mov_b64 s[48:49], 0
	s_branch .LBB38_65
.LBB38_63:                              ;   in Loop: Header=BB38_65 Depth=1
	s_or_b64 exec, exec, s[2:3]
.LBB38_64:                              ;   in Loop: Header=BB38_65 Depth=1
	s_or_b64 exec, exec, s[4:5]
	v_lshlrev_b64 v[6:7], 4, v[16:17]
	s_add_u32 s48, s48, 0x100
	v_add_co_u32_e32 v6, vcc, s22, v6
	v_addc_co_u32_e32 v7, vcc, v27, v7, vcc
	global_load_dwordx4 v[6:9], v[6:7], off
	s_addc_u32 s49, s49, 0
	s_waitcnt vmcnt(0)
	v_mul_f64 v[10:11], v[8:9], v[18:19]
	v_mul_f64 v[8:9], v[8:9], v[2:3]
	v_fma_f64 v[2:3], v[2:3], v[6:7], v[10:11]
	v_fma_f64 v[4:5], v[4:5], v[6:7], v[8:9]
	v_mov_b32_e32 v7, s49
	v_add_co_u32_e32 v6, vcc, s48, v0
	v_addc_co_u32_e32 v7, vcc, 0, v7, vcc
	v_cmp_le_i64_e32 vcc, s[38:39], v[6:7]
	v_lshlrev_b32_e32 v6, 4, v29
	s_or_b64 s[46:47], vcc, s[46:47]
	ds_write_b128 v6, v[2:5]
	s_andn2_b64 exec, exec, s[46:47]
	s_cbranch_execz .LBB38_84
.LBB38_65:                              ; =>This Loop Header: Depth=1
                                        ;     Child Loop BB38_67 Depth 2
                                        ;     Child Loop BB38_74 Depth 2
	;; [unrolled: 1-line block ×5, first 2 shown]
	v_mov_b32_e32 v3, s49
	v_add_co_u32_e32 v2, vcc, s48, v14
	v_addc_co_u32_e32 v3, vcc, v3, v15, vcc
	v_mov_b32_e32 v4, s24
	v_mov_b32_e32 v6, s42
	s_and_b64 vcc, exec, s[0:1]
	v_mov_b32_e32 v5, s25
	v_mov_b32_e32 v7, s43
	s_cbranch_vccnz .LBB38_69
; %bb.66:                               ;   in Loop: Header=BB38_65 Depth=1
	v_mov_b32_e32 v4, s24
	v_mov_b32_e32 v6, s42
	s_mov_b64 s[4:5], 0
	v_mov_b32_e32 v5, s25
	v_mov_b32_e32 v7, s43
.LBB38_67:                              ;   Parent Loop BB38_65 Depth=1
                                        ; =>  This Inner Loop Header: Depth=2
	v_add_co_u32_e32 v8, vcc, v6, v4
	v_addc_co_u32_e32 v9, vcc, v7, v5, vcc
	v_lshrrev_b32_e32 v10, 31, v9
	v_add_co_u32_e32 v8, vcc, v8, v10
	v_addc_co_u32_e32 v9, vcc, 0, v9, vcc
	v_ashrrev_i64 v[8:9], 1, v[8:9]
	v_mov_b32_e32 v12, s17
	v_lshlrev_b64 v[10:11], 3, v[8:9]
	v_add_co_u32_e32 v10, vcc, s16, v10
	v_addc_co_u32_e32 v11, vcc, v12, v11, vcc
	global_load_dwordx2 v[10:11], v[10:11], off
	s_waitcnt vmcnt(0)
	v_subrev_co_u32_e32 v10, vcc, s34, v10
	v_subbrev_co_u32_e32 v11, vcc, 0, v11, vcc
	v_cmp_lt_i64_e32 vcc, v[2:3], v[10:11]
	v_cndmask_b32_e32 v6, v6, v8, vcc
	v_cndmask_b32_e32 v7, v7, v9, vcc
	;; [unrolled: 1-line block ×3, first 2 shown]
	v_add_co_u32_e64 v8, s[2:3], -1, v6
	v_cndmask_b32_e32 v5, v9, v5, vcc
	v_addc_co_u32_e64 v9, s[2:3], -1, v7, s[2:3]
	v_cmp_ge_i64_e32 vcc, v[4:5], v[6:7]
	v_cmp_eq_u64_e64 s[2:3], v[4:5], v[8:9]
	s_or_b64 s[2:3], vcc, s[2:3]
	s_and_b64 s[2:3], exec, s[2:3]
	s_or_b64 s[4:5], s[2:3], s[4:5]
	s_andn2_b64 exec, exec, s[4:5]
	s_cbranch_execnz .LBB38_67
; %bb.68:                               ;   in Loop: Header=BB38_65 Depth=1
	s_or_b64 exec, exec, s[4:5]
.LBB38_69:                              ;   in Loop: Header=BB38_65 Depth=1
	v_lshlrev_b64 v[8:9], 3, v[6:7]
	v_lshlrev_b64 v[10:11], 2, v[2:3]
	v_add_co_u32_e32 v8, vcc, s16, v8
	v_addc_co_u32_e32 v9, vcc, v24, v9, vcc
	global_load_dwordx2 v[8:9], v[8:9], off
	v_add_co_u32_e32 v10, vcc, s18, v10
	v_addc_co_u32_e32 v11, vcc, v25, v11, vcc
	global_load_dword v10, v[10:11], off
	v_cmp_le_i64_e32 vcc, s[44:45], v[2:3]
	v_add_co_u32_e64 v29, s[4:5], s48, v0
                                        ; implicit-def: $vgpr18_vgpr19
	s_waitcnt vmcnt(1)
	v_subrev_co_u32_e64 v8, s[2:3], s34, v8
	v_subbrev_co_u32_e64 v9, s[2:3], 0, v9, s[2:3]
	v_cmp_lt_i64_e64 s[2:3], v[2:3], v[8:9]
	s_waitcnt vmcnt(0)
	v_subrev_u32_e32 v16, s34, v10
	v_cndmask_b32_e64 v7, v7, v5, s[2:3]
	v_ashrrev_i32_e32 v17, 31, v16
	v_cndmask_b32_e64 v6, v6, v4, s[2:3]
	v_cmp_eq_u64_e64 s[2:3], v[6:7], v[16:17]
	v_lshlrev_b32_e32 v10, 4, v29
	s_or_b64 s[2:3], s[2:3], vcc
                                        ; implicit-def: $vgpr2_vgpr3
	s_and_saveexec_b64 s[4:5], s[2:3]
	s_xor_b64 s[2:3], exec, s[4:5]
	s_cbranch_execz .LBB38_71
; %bb.70:                               ;   in Loop: Header=BB38_65 Depth=1
	ds_read_b128 v[2:5], v10
                                        ; implicit-def: $vgpr6_vgpr7
                                        ; implicit-def: $vgpr10
	s_waitcnt lgkmcnt(0)
	v_xor_b32_e32 v19, 0x80000000, v5
	v_mov_b32_e32 v18, v4
.LBB38_71:                              ;   in Loop: Header=BB38_65 Depth=1
	s_andn2_saveexec_b64 s[4:5], s[2:3]
	s_cbranch_execz .LBB38_64
; %bb.72:                               ;   in Loop: Header=BB38_65 Depth=1
	v_cmp_gt_i64_e32 vcc, s[8:9], v[16:17]
	v_cmp_le_i64_e64 s[2:3], s[26:27], v[16:17]
	v_lshlrev_b64 v[6:7], 4, v[6:7]
	s_or_b64 s[2:3], vcc, s[2:3]
                                        ; implicit-def: $vgpr2_vgpr3
                                        ; implicit-def: $vgpr18_vgpr19
	s_and_saveexec_b64 s[50:51], s[2:3]
	s_xor_b64 s[2:3], exec, s[50:51]
	s_cbranch_execz .LBB38_78
; %bb.73:                               ;   in Loop: Header=BB38_65 Depth=1
	v_mov_b32_e32 v3, s23
	v_add_co_u32_e32 v2, vcc, s22, v6
	v_addc_co_u32_e32 v3, vcc, v3, v7, vcc
	global_load_dwordx4 v[6:9], v[2:3], off
	v_lshlrev_b64 v[2:3], 4, v[16:17]
	v_mov_b32_e32 v4, s29
	v_add_co_u32_e32 v20, vcc, s28, v2
	v_addc_co_u32_e32 v21, vcc, v4, v3, vcc
	global_load_dwordx2 v[12:13], v[20:21], off
	ds_read_b128 v[2:5], v10
	s_mov_b64 s[50:51], 0
	s_waitcnt lgkmcnt(0)
	v_xor_b32_e32 v19, 0x80000000, v5
	v_mov_b32_e32 v18, v4
	s_waitcnt vmcnt(1)
	v_mul_f64 v[10:11], v[8:9], -v[4:5]
	v_fma_f64 v[22:23], v[2:3], v[6:7], v[10:11]
.LBB38_74:                              ;   Parent Loop BB38_65 Depth=1
                                        ; =>  This Inner Loop Header: Depth=2
	s_waitcnt vmcnt(0)
	v_add_f64 v[10:11], v[12:13], v[22:23]
	global_atomic_cmpswap_x2 v[10:11], v[20:21], v[10:13], off glc
	s_waitcnt vmcnt(0)
	v_cmp_eq_u64_e32 vcc, v[10:11], v[12:13]
	v_mov_b32_e32 v13, v11
	s_or_b64 s[50:51], vcc, s[50:51]
	v_mov_b32_e32 v12, v10
	s_andn2_b64 exec, exec, s[50:51]
	s_cbranch_execnz .LBB38_74
; %bb.75:                               ;   in Loop: Header=BB38_65 Depth=1
	s_or_b64 exec, exec, s[50:51]
	global_load_dwordx2 v[10:11], v[20:21], off offset:8
	v_mul_f64 v[8:9], v[8:9], v[2:3]
	s_mov_b64 s[50:51], 0
	v_fma_f64 v[6:7], v[4:5], v[6:7], v[8:9]
.LBB38_76:                              ;   Parent Loop BB38_65 Depth=1
                                        ; =>  This Inner Loop Header: Depth=2
	s_waitcnt vmcnt(0)
	v_add_f64 v[8:9], v[10:11], v[6:7]
	global_atomic_cmpswap_x2 v[8:9], v[20:21], v[8:11], off offset:8 glc
	s_waitcnt vmcnt(0)
	v_cmp_eq_u64_e32 vcc, v[8:9], v[10:11]
	v_mov_b32_e32 v11, v9
	s_or_b64 s[50:51], vcc, s[50:51]
	v_mov_b32_e32 v10, v8
	s_andn2_b64 exec, exec, s[50:51]
	s_cbranch_execnz .LBB38_76
; %bb.77:                               ;   in Loop: Header=BB38_65 Depth=1
	s_or_b64 exec, exec, s[50:51]
                                        ; implicit-def: $vgpr6_vgpr7
                                        ; implicit-def: $vgpr10
.LBB38_78:                              ;   in Loop: Header=BB38_65 Depth=1
	s_andn2_saveexec_b64 s[2:3], s[2:3]
	s_cbranch_execz .LBB38_63
; %bb.79:                               ;   in Loop: Header=BB38_65 Depth=1
	v_add_co_u32_e32 v2, vcc, s22, v6
	v_addc_co_u32_e32 v3, vcc, v27, v7, vcc
	global_load_dwordx4 v[6:9], v[2:3], off
	ds_read_b128 v[2:5], v10
	v_subrev_u32_e32 v12, s8, v16
	v_lshl_add_u32 v20, v12, 4, v28
	ds_read_b64 v[12:13], v20
	s_mov_b64 s[50:51], 0
	s_waitcnt lgkmcnt(1)
	v_xor_b32_e32 v19, 0x80000000, v5
	v_mov_b32_e32 v18, v4
	s_waitcnt vmcnt(0)
	v_mul_f64 v[10:11], v[8:9], -v[4:5]
	v_fma_f64 v[10:11], v[2:3], v[6:7], v[10:11]
.LBB38_80:                              ;   Parent Loop BB38_65 Depth=1
                                        ; =>  This Inner Loop Header: Depth=2
	s_waitcnt lgkmcnt(0)
	v_add_f64 v[21:22], v[12:13], v[10:11]
	ds_cmpst_rtn_b64 v[21:22], v20, v[12:13], v[21:22]
	s_waitcnt lgkmcnt(0)
	v_cmp_eq_u64_e32 vcc, v[21:22], v[12:13]
	v_mov_b32_e32 v12, v21
	s_or_b64 s[50:51], vcc, s[50:51]
	v_mov_b32_e32 v13, v22
	s_andn2_b64 exec, exec, s[50:51]
	s_cbranch_execnz .LBB38_80
; %bb.81:                               ;   in Loop: Header=BB38_65 Depth=1
	s_or_b64 exec, exec, s[50:51]
	v_mul_f64 v[8:9], v[8:9], v[2:3]
	s_mov_b64 s[50:51], 0
	v_fma_f64 v[6:7], v[4:5], v[6:7], v[8:9]
	ds_read_b64 v[8:9], v20 offset:8
.LBB38_82:                              ;   Parent Loop BB38_65 Depth=1
                                        ; =>  This Inner Loop Header: Depth=2
	s_waitcnt lgkmcnt(0)
	v_add_f64 v[10:11], v[8:9], v[6:7]
	ds_cmpst_rtn_b64 v[10:11], v20, v[8:9], v[10:11] offset:8
	s_waitcnt lgkmcnt(0)
	v_cmp_eq_u64_e32 vcc, v[10:11], v[8:9]
	v_mov_b32_e32 v8, v10
	s_or_b64 s[50:51], vcc, s[50:51]
	v_mov_b32_e32 v9, v11
	s_andn2_b64 exec, exec, s[50:51]
	s_cbranch_execnz .LBB38_82
; %bb.83:                               ;   in Loop: Header=BB38_65 Depth=1
	s_or_b64 exec, exec, s[50:51]
	s_branch .LBB38_63
.LBB38_84:
	s_or_b64 exec, exec, s[40:41]
                                        ; implicit-def: $vgpr16_vgpr17
                                        ; implicit-def: $vgpr14
.LBB38_85:
	s_andn2_saveexec_b64 s[4:5], s[20:21]
	s_cbranch_execz .LBB38_159
; %bb.86:
	s_add_u32 s20, s26, -1
	s_addc_u32 s21, s27, -1
	s_add_u32 s0, s26, -2
	s_addc_u32 s1, s27, -1
	s_cmp_lg_u64 s[24:25], s[0:1]
	v_mov_b32_e32 v2, s24
	v_mov_b32_e32 v4, s20
	s_cselect_b64 s[2:3], -1, 0
	s_cmp_eq_u64 s[24:25], s[0:1]
	v_mov_b32_e32 v3, s25
	v_mov_b32_e32 v5, s21
	s_cbranch_scc1 .LBB38_90
; %bb.87:
	v_mov_b32_e32 v2, s24
	v_mov_b32_e32 v4, s20
	s_mov_b64 s[38:39], 0
	v_mov_b32_e32 v3, s25
	v_mov_b32_e32 v5, s21
	;; [unrolled: 1-line block ×3, first 2 shown]
.LBB38_88:                              ; =>This Inner Loop Header: Depth=1
	v_add_co_u32_e32 v7, vcc, v4, v2
	v_addc_co_u32_e32 v8, vcc, v5, v3, vcc
	v_lshrrev_b32_e32 v9, 31, v8
	v_add_co_u32_e32 v7, vcc, v7, v9
	v_addc_co_u32_e32 v8, vcc, 0, v8, vcc
	v_ashrrev_i64 v[7:8], 1, v[7:8]
	v_lshlrev_b64 v[9:10], 3, v[7:8]
	v_add_co_u32_e32 v9, vcc, s16, v9
	v_addc_co_u32_e32 v10, vcc, v6, v10, vcc
	global_load_dwordx2 v[9:10], v[9:10], off
	s_waitcnt vmcnt(0)
	v_subrev_co_u32_e32 v9, vcc, s34, v9
	v_subbrev_co_u32_e32 v10, vcc, 0, v10, vcc
	v_cmp_lt_i64_e32 vcc, v[14:15], v[9:10]
	v_cndmask_b32_e32 v4, v4, v7, vcc
	v_cndmask_b32_e32 v5, v5, v8, vcc
	;; [unrolled: 1-line block ×3, first 2 shown]
	v_add_co_u32_e64 v7, s[0:1], -1, v4
	v_cndmask_b32_e32 v3, v8, v3, vcc
	v_addc_co_u32_e64 v8, s[0:1], -1, v5, s[0:1]
	v_cmp_ge_i64_e32 vcc, v[2:3], v[4:5]
	v_cmp_eq_u64_e64 s[0:1], v[2:3], v[7:8]
	s_or_b64 s[0:1], vcc, s[0:1]
	s_and_b64 s[0:1], exec, s[0:1]
	s_or_b64 s[38:39], s[0:1], s[38:39]
	s_andn2_b64 exec, exec, s[38:39]
	s_cbranch_execnz .LBB38_88
; %bb.89:
	s_or_b64 exec, exec, s[38:39]
.LBB38_90:
	v_lshlrev_b64 v[6:7], 3, v[4:5]
	v_mov_b32_e32 v8, s17
	v_add_co_u32_e32 v6, vcc, s16, v6
	v_addc_co_u32_e32 v7, vcc, v8, v7, vcc
	v_lshlrev_b64 v[8:9], 2, v[14:15]
	global_load_dwordx2 v[6:7], v[6:7], off
	v_mov_b32_e32 v10, s19
	v_add_co_u32_e32 v18, vcc, s18, v8
	v_addc_co_u32_e32 v19, vcc, v10, v9, vcc
	global_load_dword v8, v[18:19], off
	s_lshl_b64 s[0:1], s[26:27], 3
	s_add_u32 s18, s16, s0
	s_addc_u32 s19, s17, s1
	s_waitcnt vmcnt(1)
	v_subrev_co_u32_e32 v6, vcc, s34, v6
	v_subbrev_co_u32_e32 v7, vcc, 0, v7, vcc
	v_cmp_lt_i64_e32 vcc, v[14:15], v[6:7]
	s_waitcnt vmcnt(0)
	v_subrev_u32_e32 v20, s34, v8
	v_cndmask_b32_e32 v3, v5, v3, vcc
	v_cndmask_b32_e32 v2, v4, v2, vcc
	v_ashrrev_i32_e32 v21, 31, v20
	v_cmp_ne_u64_e32 vcc, v[2:3], v[20:21]
	s_and_saveexec_b64 s[38:39], vcc
	s_cbranch_execz .LBB38_104
; %bb.91:
	s_load_dwordx2 s[0:1], s[18:19], 0x0
	s_waitcnt lgkmcnt(0)
	s_sub_u32 s0, s0, s34
	s_subb_u32 s1, s1, 0
	v_cmp_gt_i64_e32 vcc, s[0:1], v[14:15]
	s_and_b64 exec, exec, vcc
	s_cbranch_execz .LBB38_104
; %bb.92:
	v_cmp_gt_i64_e32 vcc, s[8:9], v[20:21]
	v_cmp_le_i64_e64 s[0:1], s[26:27], v[20:21]
	v_lshlrev_b64 v[2:3], 4, v[2:3]
	s_or_b64 s[0:1], vcc, s[0:1]
	s_and_saveexec_b64 s[40:41], s[0:1]
	s_xor_b64 s[0:1], exec, s[40:41]
	s_cbranch_execz .LBB38_98
; %bb.93:
	v_mov_b32_e32 v4, s23
	v_add_co_u32_e32 v2, vcc, s22, v2
	v_addc_co_u32_e32 v3, vcc, v4, v3, vcc
	global_load_dwordx4 v[2:5], v[2:3], off
	v_lshlrev_b64 v[6:7], 4, v[20:21]
	v_mov_b32_e32 v8, s29
	v_add_co_u32_e32 v22, vcc, s28, v6
	v_addc_co_u32_e32 v23, vcc, v8, v7, vcc
	global_load_dwordx2 v[12:13], v[22:23], off
	ds_read_b128 v[6:9], v26
	s_mov_b64 s[40:41], 0
	s_waitcnt vmcnt(1) lgkmcnt(0)
	v_mul_f64 v[10:11], v[4:5], -v[8:9]
	v_fma_f64 v[24:25], v[6:7], v[2:3], v[10:11]
.LBB38_94:                              ; =>This Inner Loop Header: Depth=1
	s_waitcnt vmcnt(0)
	v_add_f64 v[10:11], v[12:13], v[24:25]
	global_atomic_cmpswap_x2 v[10:11], v[22:23], v[10:13], off glc
	s_waitcnt vmcnt(0)
	v_cmp_eq_u64_e32 vcc, v[10:11], v[12:13]
	v_mov_b32_e32 v13, v11
	s_or_b64 s[40:41], vcc, s[40:41]
	v_mov_b32_e32 v12, v10
	s_andn2_b64 exec, exec, s[40:41]
	s_cbranch_execnz .LBB38_94
; %bb.95:
	s_or_b64 exec, exec, s[40:41]
	global_load_dwordx2 v[10:11], v[22:23], off offset:8
	v_mul_f64 v[4:5], v[4:5], v[6:7]
	s_mov_b64 s[40:41], 0
	v_fma_f64 v[2:3], v[8:9], v[2:3], v[4:5]
.LBB38_96:                              ; =>This Inner Loop Header: Depth=1
	s_waitcnt vmcnt(0)
	v_add_f64 v[8:9], v[10:11], v[2:3]
	global_atomic_cmpswap_x2 v[4:5], v[22:23], v[8:11], off offset:8 glc
	s_waitcnt vmcnt(0)
	v_cmp_eq_u64_e32 vcc, v[4:5], v[10:11]
	v_mov_b32_e32 v11, v5
	s_or_b64 s[40:41], vcc, s[40:41]
	v_mov_b32_e32 v10, v4
	s_andn2_b64 exec, exec, s[40:41]
	s_cbranch_execnz .LBB38_96
; %bb.97:
	s_or_b64 exec, exec, s[40:41]
                                        ; implicit-def: $vgpr2_vgpr3
.LBB38_98:
	s_andn2_saveexec_b64 s[0:1], s[0:1]
	s_cbranch_execz .LBB38_104
; %bb.99:
	v_mov_b32_e32 v4, s23
	v_add_co_u32_e32 v2, vcc, s22, v2
	v_addc_co_u32_e32 v3, vcc, v4, v3, vcc
	global_load_dwordx4 v[2:5], v[2:3], off
	ds_read_b128 v[6:9], v26
	v_subrev_u32_e32 v12, s8, v20
	v_mov_b32_e32 v13, 0x4000
	v_lshl_add_u32 v22, v12, 4, v13
	ds_read_b64 v[12:13], v22
	s_mov_b64 s[0:1], 0
	s_waitcnt vmcnt(0) lgkmcnt(1)
	v_mul_f64 v[10:11], v[4:5], -v[8:9]
	v_fma_f64 v[10:11], v[6:7], v[2:3], v[10:11]
.LBB38_100:                             ; =>This Inner Loop Header: Depth=1
	s_waitcnt lgkmcnt(0)
	v_add_f64 v[23:24], v[12:13], v[10:11]
	ds_cmpst_rtn_b64 v[23:24], v22, v[12:13], v[23:24]
	s_waitcnt lgkmcnt(0)
	v_cmp_eq_u64_e32 vcc, v[23:24], v[12:13]
	v_mov_b32_e32 v12, v23
	s_or_b64 s[0:1], vcc, s[0:1]
	v_mov_b32_e32 v13, v24
	s_andn2_b64 exec, exec, s[0:1]
	s_cbranch_execnz .LBB38_100
; %bb.101:
	s_or_b64 exec, exec, s[0:1]
	v_mul_f64 v[4:5], v[4:5], v[6:7]
	s_mov_b64 s[0:1], 0
	v_fma_f64 v[2:3], v[8:9], v[2:3], v[4:5]
	ds_read_b64 v[4:5], v22 offset:8
.LBB38_102:                             ; =>This Inner Loop Header: Depth=1
	s_waitcnt lgkmcnt(0)
	v_add_f64 v[6:7], v[4:5], v[2:3]
	ds_cmpst_rtn_b64 v[6:7], v22, v[4:5], v[6:7] offset:8
	s_waitcnt lgkmcnt(0)
	v_cmp_eq_u64_e32 vcc, v[6:7], v[4:5]
	v_mov_b32_e32 v4, v6
	s_or_b64 s[0:1], vcc, s[0:1]
	v_mov_b32_e32 v5, v7
	s_andn2_b64 exec, exec, s[0:1]
	s_cbranch_execnz .LBB38_102
; %bb.103:
	s_or_b64 exec, exec, s[0:1]
.LBB38_104:
	s_or_b64 exec, exec, s[38:39]
	v_lshlrev_b64 v[2:3], 4, v[20:21]
	v_mov_b32_e32 v4, s23
	v_add_co_u32_e32 v2, vcc, s22, v2
	v_addc_co_u32_e32 v3, vcc, v4, v3, vcc
	global_load_dwordx4 v[3:6], v[2:3], off
	ds_read_b128 v[7:10], v26
	v_add_co_u32_e32 v2, vcc, 0x100, v14
	s_waitcnt vmcnt(0) lgkmcnt(0)
	v_mul_f64 v[11:12], v[5:6], -v[9:10]
	v_mul_f64 v[20:21], v[5:6], v[7:8]
	v_fma_f64 v[6:7], v[7:8], v[3:4], v[11:12]
	v_fma_f64 v[8:9], v[9:10], v[3:4], v[20:21]
	v_cndmask_b32_e64 v10, 0, 1, s[2:3]
	v_mov_b32_e32 v4, s24
	v_addc_co_u32_e32 v3, vcc, 0, v15, vcc
	v_mov_b32_e32 v5, s25
	v_cmp_ne_u32_e64 s[0:1], 1, v10
	s_andn2_b64 vcc, exec, s[2:3]
	ds_write_b128 v26, v[6:9]
	v_mov_b32_e32 v6, s20
	v_mov_b32_e32 v7, s21
	s_cbranch_vccnz .LBB38_108
; %bb.105:
	v_mov_b32_e32 v4, s24
	v_mov_b32_e32 v6, s20
	s_mov_b64 s[38:39], 0
	v_mov_b32_e32 v5, s25
	v_mov_b32_e32 v7, s21
	;; [unrolled: 1-line block ×3, first 2 shown]
.LBB38_106:                             ; =>This Inner Loop Header: Depth=1
	v_add_co_u32_e32 v9, vcc, v6, v4
	v_addc_co_u32_e32 v10, vcc, v7, v5, vcc
	v_lshrrev_b32_e32 v11, 31, v10
	v_add_co_u32_e32 v9, vcc, v9, v11
	v_addc_co_u32_e32 v10, vcc, 0, v10, vcc
	v_ashrrev_i64 v[9:10], 1, v[9:10]
	v_lshlrev_b64 v[11:12], 3, v[9:10]
	v_add_co_u32_e32 v11, vcc, s16, v11
	v_addc_co_u32_e32 v12, vcc, v8, v12, vcc
	global_load_dwordx2 v[11:12], v[11:12], off
	s_waitcnt vmcnt(0)
	v_subrev_co_u32_e32 v11, vcc, s34, v11
	v_subbrev_co_u32_e32 v12, vcc, 0, v12, vcc
	v_cmp_lt_i64_e32 vcc, v[2:3], v[11:12]
	v_cndmask_b32_e32 v6, v6, v9, vcc
	v_cndmask_b32_e32 v7, v7, v10, vcc
	v_cndmask_b32_e32 v4, v9, v4, vcc
	v_add_co_u32_e64 v9, s[2:3], -1, v6
	v_cndmask_b32_e32 v5, v10, v5, vcc
	v_addc_co_u32_e64 v10, s[2:3], -1, v7, s[2:3]
	v_cmp_ge_i64_e32 vcc, v[4:5], v[6:7]
	v_cmp_eq_u64_e64 s[2:3], v[4:5], v[9:10]
	s_or_b64 s[2:3], vcc, s[2:3]
	s_and_b64 s[2:3], exec, s[2:3]
	s_or_b64 s[38:39], s[2:3], s[38:39]
	s_andn2_b64 exec, exec, s[38:39]
	s_cbranch_execnz .LBB38_106
; %bb.107:
	s_or_b64 exec, exec, s[38:39]
.LBB38_108:
	v_lshlrev_b64 v[8:9], 3, v[6:7]
	v_mov_b32_e32 v10, s17
	v_add_co_u32_e32 v8, vcc, s16, v8
	v_addc_co_u32_e32 v9, vcc, v10, v9, vcc
	global_load_dwordx2 v[8:9], v[8:9], off
	s_waitcnt vmcnt(0)
	v_subrev_co_u32_e32 v8, vcc, s34, v8
	global_load_dword v11, v[18:19], off offset:1024
	v_subbrev_co_u32_e32 v9, vcc, 0, v9, vcc
	v_cmp_lt_i64_e32 vcc, v[2:3], v[8:9]
	v_cndmask_b32_e32 v5, v7, v5, vcc
	v_cndmask_b32_e32 v4, v6, v4, vcc
	s_waitcnt vmcnt(0)
	v_subrev_u32_e32 v20, s34, v11
	v_ashrrev_i32_e32 v21, 31, v20
	v_cmp_ne_u64_e32 vcc, v[4:5], v[20:21]
	s_and_saveexec_b64 s[38:39], vcc
	s_cbranch_execz .LBB38_122
; %bb.109:
	s_load_dwordx2 s[2:3], s[18:19], 0x0
	s_waitcnt lgkmcnt(0)
	s_sub_u32 s2, s2, s34
	s_subb_u32 s3, s3, 0
	v_cmp_gt_i64_e32 vcc, s[2:3], v[2:3]
	s_and_b64 exec, exec, vcc
	s_cbranch_execz .LBB38_122
; %bb.110:
	v_cmp_gt_i64_e32 vcc, s[8:9], v[20:21]
	v_cmp_le_i64_e64 s[2:3], s[26:27], v[20:21]
	v_lshlrev_b64 v[2:3], 4, v[4:5]
	s_or_b64 s[2:3], vcc, s[2:3]
	s_and_saveexec_b64 s[40:41], s[2:3]
	s_xor_b64 s[2:3], exec, s[40:41]
	s_cbranch_execz .LBB38_116
; %bb.111:
	v_mov_b32_e32 v4, s23
	v_add_co_u32_e32 v2, vcc, s22, v2
	v_addc_co_u32_e32 v3, vcc, v4, v3, vcc
	global_load_dwordx4 v[2:5], v[2:3], off
	v_lshlrev_b64 v[6:7], 4, v[20:21]
	v_mov_b32_e32 v8, s29
	v_add_co_u32_e32 v22, vcc, s28, v6
	v_addc_co_u32_e32 v23, vcc, v8, v7, vcc
	global_load_dwordx2 v[12:13], v[22:23], off
	ds_read_b128 v[6:9], v26 offset:4096
	s_mov_b64 s[40:41], 0
	s_waitcnt vmcnt(1) lgkmcnt(0)
	v_mul_f64 v[10:11], v[4:5], -v[8:9]
	v_fma_f64 v[24:25], v[6:7], v[2:3], v[10:11]
.LBB38_112:                             ; =>This Inner Loop Header: Depth=1
	s_waitcnt vmcnt(0)
	v_add_f64 v[10:11], v[12:13], v[24:25]
	global_atomic_cmpswap_x2 v[10:11], v[22:23], v[10:13], off glc
	s_waitcnt vmcnt(0)
	v_cmp_eq_u64_e32 vcc, v[10:11], v[12:13]
	v_mov_b32_e32 v13, v11
	s_or_b64 s[40:41], vcc, s[40:41]
	v_mov_b32_e32 v12, v10
	s_andn2_b64 exec, exec, s[40:41]
	s_cbranch_execnz .LBB38_112
; %bb.113:
	s_or_b64 exec, exec, s[40:41]
	global_load_dwordx2 v[10:11], v[22:23], off offset:8
	v_mul_f64 v[4:5], v[4:5], v[6:7]
	s_mov_b64 s[40:41], 0
	v_fma_f64 v[2:3], v[8:9], v[2:3], v[4:5]
.LBB38_114:                             ; =>This Inner Loop Header: Depth=1
	s_waitcnt vmcnt(0)
	v_add_f64 v[8:9], v[10:11], v[2:3]
	global_atomic_cmpswap_x2 v[4:5], v[22:23], v[8:11], off offset:8 glc
	s_waitcnt vmcnt(0)
	v_cmp_eq_u64_e32 vcc, v[4:5], v[10:11]
	v_mov_b32_e32 v11, v5
	s_or_b64 s[40:41], vcc, s[40:41]
	v_mov_b32_e32 v10, v4
	s_andn2_b64 exec, exec, s[40:41]
	s_cbranch_execnz .LBB38_114
; %bb.115:
	s_or_b64 exec, exec, s[40:41]
                                        ; implicit-def: $vgpr2_vgpr3
.LBB38_116:
	s_andn2_saveexec_b64 s[2:3], s[2:3]
	s_cbranch_execz .LBB38_122
; %bb.117:
	v_mov_b32_e32 v4, s23
	v_add_co_u32_e32 v2, vcc, s22, v2
	v_addc_co_u32_e32 v3, vcc, v4, v3, vcc
	global_load_dwordx4 v[2:5], v[2:3], off
	ds_read_b128 v[6:9], v26 offset:4096
	v_subrev_u32_e32 v12, s8, v20
	v_mov_b32_e32 v13, 0x4000
	v_lshl_add_u32 v22, v12, 4, v13
	ds_read_b64 v[12:13], v22
	s_mov_b64 s[2:3], 0
	s_waitcnt vmcnt(0) lgkmcnt(1)
	v_mul_f64 v[10:11], v[4:5], -v[8:9]
	v_fma_f64 v[10:11], v[6:7], v[2:3], v[10:11]
.LBB38_118:                             ; =>This Inner Loop Header: Depth=1
	s_waitcnt lgkmcnt(0)
	v_add_f64 v[23:24], v[12:13], v[10:11]
	ds_cmpst_rtn_b64 v[23:24], v22, v[12:13], v[23:24]
	s_waitcnt lgkmcnt(0)
	v_cmp_eq_u64_e32 vcc, v[23:24], v[12:13]
	v_mov_b32_e32 v12, v23
	s_or_b64 s[2:3], vcc, s[2:3]
	v_mov_b32_e32 v13, v24
	s_andn2_b64 exec, exec, s[2:3]
	s_cbranch_execnz .LBB38_118
; %bb.119:
	s_or_b64 exec, exec, s[2:3]
	v_mul_f64 v[4:5], v[4:5], v[6:7]
	s_mov_b64 s[2:3], 0
	v_fma_f64 v[2:3], v[8:9], v[2:3], v[4:5]
	ds_read_b64 v[4:5], v22 offset:8
.LBB38_120:                             ; =>This Inner Loop Header: Depth=1
	s_waitcnt lgkmcnt(0)
	v_add_f64 v[6:7], v[4:5], v[2:3]
	ds_cmpst_rtn_b64 v[6:7], v22, v[4:5], v[6:7] offset:8
	s_waitcnt lgkmcnt(0)
	v_cmp_eq_u64_e32 vcc, v[6:7], v[4:5]
	v_mov_b32_e32 v4, v6
	s_or_b64 s[2:3], vcc, s[2:3]
	v_mov_b32_e32 v5, v7
	s_andn2_b64 exec, exec, s[2:3]
	s_cbranch_execnz .LBB38_120
; %bb.121:
	s_or_b64 exec, exec, s[2:3]
.LBB38_122:
	s_or_b64 exec, exec, s[38:39]
	v_lshlrev_b64 v[2:3], 4, v[20:21]
	v_mov_b32_e32 v4, s23
	v_add_co_u32_e32 v2, vcc, s22, v2
	v_addc_co_u32_e32 v3, vcc, v4, v3, vcc
	global_load_dwordx4 v[2:5], v[2:3], off
	ds_read_b128 v[6:9], v26 offset:4096
	s_waitcnt vmcnt(0) lgkmcnt(0)
	v_mul_f64 v[10:11], v[4:5], -v[8:9]
	v_mul_f64 v[4:5], v[4:5], v[6:7]
	v_fma_f64 v[6:7], v[6:7], v[2:3], v[10:11]
	v_fma_f64 v[8:9], v[8:9], v[2:3], v[4:5]
	v_add_co_u32_e32 v2, vcc, 0x200, v14
	v_mov_b32_e32 v4, s24
	v_addc_co_u32_e32 v3, vcc, 0, v15, vcc
	v_mov_b32_e32 v5, s25
	s_and_b64 vcc, exec, s[0:1]
	ds_write_b128 v26, v[6:9] offset:4096
	v_mov_b32_e32 v6, s20
	v_mov_b32_e32 v7, s21
	s_cbranch_vccnz .LBB38_126
; %bb.123:
	v_mov_b32_e32 v4, s24
	v_mov_b32_e32 v6, s20
	s_mov_b64 s[38:39], 0
	v_mov_b32_e32 v5, s25
	v_mov_b32_e32 v7, s21
	;; [unrolled: 1-line block ×3, first 2 shown]
.LBB38_124:                             ; =>This Inner Loop Header: Depth=1
	v_add_co_u32_e32 v9, vcc, v6, v4
	v_addc_co_u32_e32 v10, vcc, v7, v5, vcc
	v_lshrrev_b32_e32 v11, 31, v10
	v_add_co_u32_e32 v9, vcc, v9, v11
	v_addc_co_u32_e32 v10, vcc, 0, v10, vcc
	v_ashrrev_i64 v[9:10], 1, v[9:10]
	v_lshlrev_b64 v[11:12], 3, v[9:10]
	v_add_co_u32_e32 v11, vcc, s16, v11
	v_addc_co_u32_e32 v12, vcc, v8, v12, vcc
	global_load_dwordx2 v[11:12], v[11:12], off
	s_waitcnt vmcnt(0)
	v_subrev_co_u32_e32 v11, vcc, s34, v11
	v_subbrev_co_u32_e32 v12, vcc, 0, v12, vcc
	v_cmp_lt_i64_e32 vcc, v[2:3], v[11:12]
	v_cndmask_b32_e32 v6, v6, v9, vcc
	v_cndmask_b32_e32 v7, v7, v10, vcc
	;; [unrolled: 1-line block ×3, first 2 shown]
	v_add_co_u32_e64 v9, s[2:3], -1, v6
	v_cndmask_b32_e32 v5, v10, v5, vcc
	v_addc_co_u32_e64 v10, s[2:3], -1, v7, s[2:3]
	v_cmp_ge_i64_e32 vcc, v[4:5], v[6:7]
	v_cmp_eq_u64_e64 s[2:3], v[4:5], v[9:10]
	s_or_b64 s[2:3], vcc, s[2:3]
	s_and_b64 s[2:3], exec, s[2:3]
	s_or_b64 s[38:39], s[2:3], s[38:39]
	s_andn2_b64 exec, exec, s[38:39]
	s_cbranch_execnz .LBB38_124
; %bb.125:
	s_or_b64 exec, exec, s[38:39]
.LBB38_126:
	v_lshlrev_b64 v[8:9], 3, v[6:7]
	v_mov_b32_e32 v10, s17
	v_add_co_u32_e32 v8, vcc, s16, v8
	v_addc_co_u32_e32 v9, vcc, v10, v9, vcc
	global_load_dwordx2 v[8:9], v[8:9], off
	s_waitcnt vmcnt(0)
	v_subrev_co_u32_e32 v8, vcc, s34, v8
	global_load_dword v11, v[18:19], off offset:2048
	v_subbrev_co_u32_e32 v9, vcc, 0, v9, vcc
	v_cmp_lt_i64_e32 vcc, v[2:3], v[8:9]
	v_cndmask_b32_e32 v5, v7, v5, vcc
	v_cndmask_b32_e32 v4, v6, v4, vcc
	s_waitcnt vmcnt(0)
	v_subrev_u32_e32 v14, s34, v11
	v_ashrrev_i32_e32 v15, 31, v14
	v_cmp_ne_u64_e32 vcc, v[4:5], v[14:15]
	s_and_saveexec_b64 s[38:39], vcc
	s_cbranch_execz .LBB38_140
; %bb.127:
	s_load_dwordx2 s[2:3], s[18:19], 0x0
	s_waitcnt lgkmcnt(0)
	s_sub_u32 s2, s2, s34
	s_subb_u32 s3, s3, 0
	v_cmp_gt_i64_e32 vcc, s[2:3], v[2:3]
	s_and_b64 exec, exec, vcc
	s_cbranch_execz .LBB38_140
; %bb.128:
	v_cmp_gt_i64_e32 vcc, s[8:9], v[14:15]
	v_cmp_le_i64_e64 s[2:3], s[26:27], v[14:15]
	v_lshlrev_b64 v[2:3], 4, v[4:5]
	s_or_b64 s[2:3], vcc, s[2:3]
	s_and_saveexec_b64 s[40:41], s[2:3]
	s_xor_b64 s[2:3], exec, s[40:41]
	s_cbranch_execz .LBB38_134
; %bb.129:
	v_mov_b32_e32 v4, s23
	v_add_co_u32_e32 v2, vcc, s22, v2
	v_addc_co_u32_e32 v3, vcc, v4, v3, vcc
	global_load_dwordx4 v[2:5], v[2:3], off
	v_lshlrev_b64 v[6:7], 4, v[14:15]
	v_mov_b32_e32 v8, s29
	v_add_co_u32_e32 v20, vcc, s28, v6
	v_addc_co_u32_e32 v21, vcc, v8, v7, vcc
	global_load_dwordx2 v[12:13], v[20:21], off
	ds_read_b128 v[6:9], v26 offset:8192
	s_mov_b64 s[40:41], 0
	s_waitcnt vmcnt(1) lgkmcnt(0)
	v_mul_f64 v[10:11], v[4:5], -v[8:9]
	v_fma_f64 v[22:23], v[6:7], v[2:3], v[10:11]
.LBB38_130:                             ; =>This Inner Loop Header: Depth=1
	s_waitcnt vmcnt(0)
	v_add_f64 v[10:11], v[12:13], v[22:23]
	global_atomic_cmpswap_x2 v[10:11], v[20:21], v[10:13], off glc
	s_waitcnt vmcnt(0)
	v_cmp_eq_u64_e32 vcc, v[10:11], v[12:13]
	v_mov_b32_e32 v13, v11
	s_or_b64 s[40:41], vcc, s[40:41]
	v_mov_b32_e32 v12, v10
	s_andn2_b64 exec, exec, s[40:41]
	s_cbranch_execnz .LBB38_130
; %bb.131:
	s_or_b64 exec, exec, s[40:41]
	global_load_dwordx2 v[10:11], v[20:21], off offset:8
	v_mul_f64 v[4:5], v[4:5], v[6:7]
	s_mov_b64 s[40:41], 0
	v_fma_f64 v[2:3], v[8:9], v[2:3], v[4:5]
.LBB38_132:                             ; =>This Inner Loop Header: Depth=1
	s_waitcnt vmcnt(0)
	v_add_f64 v[8:9], v[10:11], v[2:3]
	global_atomic_cmpswap_x2 v[4:5], v[20:21], v[8:11], off offset:8 glc
	s_waitcnt vmcnt(0)
	v_cmp_eq_u64_e32 vcc, v[4:5], v[10:11]
	v_mov_b32_e32 v11, v5
	s_or_b64 s[40:41], vcc, s[40:41]
	v_mov_b32_e32 v10, v4
	s_andn2_b64 exec, exec, s[40:41]
	s_cbranch_execnz .LBB38_132
; %bb.133:
	s_or_b64 exec, exec, s[40:41]
                                        ; implicit-def: $vgpr2_vgpr3
.LBB38_134:
	s_andn2_saveexec_b64 s[2:3], s[2:3]
	s_cbranch_execz .LBB38_140
; %bb.135:
	v_mov_b32_e32 v4, s23
	v_add_co_u32_e32 v2, vcc, s22, v2
	v_addc_co_u32_e32 v3, vcc, v4, v3, vcc
	global_load_dwordx4 v[2:5], v[2:3], off
	ds_read_b128 v[6:9], v26 offset:8192
	v_subrev_u32_e32 v12, s8, v14
	v_mov_b32_e32 v13, 0x4000
	v_lshl_add_u32 v20, v12, 4, v13
	ds_read_b64 v[12:13], v20
	s_mov_b64 s[2:3], 0
	s_waitcnt vmcnt(0) lgkmcnt(1)
	v_mul_f64 v[10:11], v[4:5], -v[8:9]
	v_fma_f64 v[10:11], v[6:7], v[2:3], v[10:11]
.LBB38_136:                             ; =>This Inner Loop Header: Depth=1
	s_waitcnt lgkmcnt(0)
	v_add_f64 v[21:22], v[12:13], v[10:11]
	ds_cmpst_rtn_b64 v[21:22], v20, v[12:13], v[21:22]
	s_waitcnt lgkmcnt(0)
	v_cmp_eq_u64_e32 vcc, v[21:22], v[12:13]
	v_mov_b32_e32 v12, v21
	s_or_b64 s[2:3], vcc, s[2:3]
	v_mov_b32_e32 v13, v22
	s_andn2_b64 exec, exec, s[2:3]
	s_cbranch_execnz .LBB38_136
; %bb.137:
	s_or_b64 exec, exec, s[2:3]
	v_mul_f64 v[4:5], v[4:5], v[6:7]
	s_mov_b64 s[2:3], 0
	v_fma_f64 v[2:3], v[8:9], v[2:3], v[4:5]
	ds_read_b64 v[4:5], v20 offset:8
.LBB38_138:                             ; =>This Inner Loop Header: Depth=1
	s_waitcnt lgkmcnt(0)
	v_add_f64 v[6:7], v[4:5], v[2:3]
	ds_cmpst_rtn_b64 v[6:7], v20, v[4:5], v[6:7] offset:8
	s_waitcnt lgkmcnt(0)
	v_cmp_eq_u64_e32 vcc, v[6:7], v[4:5]
	v_mov_b32_e32 v4, v6
	s_or_b64 s[2:3], vcc, s[2:3]
	v_mov_b32_e32 v5, v7
	s_andn2_b64 exec, exec, s[2:3]
	s_cbranch_execnz .LBB38_138
; %bb.139:
	s_or_b64 exec, exec, s[2:3]
.LBB38_140:
	s_or_b64 exec, exec, s[38:39]
	v_lshlrev_b64 v[2:3], 4, v[14:15]
	v_mov_b32_e32 v4, s23
	v_add_co_u32_e32 v2, vcc, s22, v2
	v_addc_co_u32_e32 v3, vcc, v4, v3, vcc
	global_load_dwordx4 v[2:5], v[2:3], off
	ds_read_b128 v[6:9], v26 offset:8192
	s_and_b64 vcc, exec, s[0:1]
	s_waitcnt vmcnt(0) lgkmcnt(0)
	v_mul_f64 v[10:11], v[4:5], -v[8:9]
	v_mul_f64 v[12:13], v[4:5], v[6:7]
	v_fma_f64 v[4:5], v[6:7], v[2:3], v[10:11]
	v_fma_f64 v[6:7], v[8:9], v[2:3], v[12:13]
	v_mov_b32_e32 v2, s24
	v_mov_b32_e32 v3, s25
	ds_write_b128 v26, v[4:7] offset:8192
	v_mov_b32_e32 v4, s20
	v_mov_b32_e32 v5, s21
	s_cbranch_vccnz .LBB38_144
; %bb.141:
	v_mov_b32_e32 v2, s24
	v_mov_b32_e32 v4, s20
	s_mov_b64 s[2:3], 0
	v_mov_b32_e32 v3, s25
	v_mov_b32_e32 v5, s21
	;; [unrolled: 1-line block ×3, first 2 shown]
.LBB38_142:                             ; =>This Inner Loop Header: Depth=1
	v_add_co_u32_e32 v7, vcc, v4, v2
	v_addc_co_u32_e32 v8, vcc, v5, v3, vcc
	v_lshrrev_b32_e32 v9, 31, v8
	v_add_co_u32_e32 v7, vcc, v7, v9
	v_addc_co_u32_e32 v8, vcc, 0, v8, vcc
	v_ashrrev_i64 v[7:8], 1, v[7:8]
	v_lshlrev_b64 v[9:10], 3, v[7:8]
	v_add_co_u32_e32 v9, vcc, s16, v9
	v_addc_co_u32_e32 v10, vcc, v6, v10, vcc
	global_load_dwordx2 v[9:10], v[9:10], off
	s_waitcnt vmcnt(0)
	v_subrev_co_u32_e32 v9, vcc, s34, v9
	v_subbrev_co_u32_e32 v10, vcc, 0, v10, vcc
	v_cmp_lt_i64_e32 vcc, v[16:17], v[9:10]
	v_cndmask_b32_e32 v4, v4, v7, vcc
	v_cndmask_b32_e32 v5, v5, v8, vcc
	;; [unrolled: 1-line block ×3, first 2 shown]
	v_add_co_u32_e64 v7, s[0:1], -1, v4
	v_cndmask_b32_e32 v3, v8, v3, vcc
	v_addc_co_u32_e64 v8, s[0:1], -1, v5, s[0:1]
	v_cmp_ge_i64_e32 vcc, v[2:3], v[4:5]
	v_cmp_eq_u64_e64 s[0:1], v[2:3], v[7:8]
	s_or_b64 s[0:1], vcc, s[0:1]
	s_and_b64 s[0:1], exec, s[0:1]
	s_or_b64 s[2:3], s[0:1], s[2:3]
	s_andn2_b64 exec, exec, s[2:3]
	s_cbranch_execnz .LBB38_142
; %bb.143:
	s_or_b64 exec, exec, s[2:3]
.LBB38_144:
	v_lshlrev_b64 v[6:7], 3, v[4:5]
	v_mov_b32_e32 v8, s17
	v_add_co_u32_e32 v6, vcc, s16, v6
	v_addc_co_u32_e32 v7, vcc, v8, v7, vcc
	global_load_dwordx2 v[6:7], v[6:7], off
	s_waitcnt vmcnt(0)
	v_subrev_co_u32_e32 v6, vcc, s34, v6
	global_load_dword v9, v[18:19], off offset:3072
	v_subbrev_co_u32_e32 v7, vcc, 0, v7, vcc
	v_cmp_lt_i64_e32 vcc, v[16:17], v[6:7]
	v_cndmask_b32_e32 v3, v5, v3, vcc
	v_cndmask_b32_e32 v2, v4, v2, vcc
	s_waitcnt vmcnt(0)
	v_subrev_u32_e32 v14, s34, v9
	v_ashrrev_i32_e32 v15, 31, v14
	v_cmp_ne_u64_e32 vcc, v[2:3], v[14:15]
	s_and_saveexec_b64 s[2:3], vcc
	s_cbranch_execz .LBB38_158
; %bb.145:
	s_load_dwordx2 s[0:1], s[18:19], 0x0
	s_waitcnt lgkmcnt(0)
	s_sub_u32 s0, s0, s34
	s_subb_u32 s1, s1, 0
	v_cmp_gt_i64_e32 vcc, s[0:1], v[16:17]
	s_and_b64 exec, exec, vcc
	s_cbranch_execz .LBB38_158
; %bb.146:
	v_cmp_gt_i64_e32 vcc, s[8:9], v[14:15]
	v_cmp_le_i64_e64 s[0:1], s[26:27], v[14:15]
	v_lshlrev_b64 v[2:3], 4, v[2:3]
	s_or_b64 s[0:1], vcc, s[0:1]
	s_and_saveexec_b64 s[18:19], s[0:1]
	s_xor_b64 s[0:1], exec, s[18:19]
	s_cbranch_execz .LBB38_152
; %bb.147:
	v_mov_b32_e32 v4, s23
	v_add_co_u32_e32 v2, vcc, s22, v2
	v_addc_co_u32_e32 v3, vcc, v4, v3, vcc
	global_load_dwordx4 v[2:5], v[2:3], off
	v_lshlrev_b64 v[6:7], 4, v[14:15]
	v_mov_b32_e32 v8, s29
	v_add_co_u32_e32 v16, vcc, s28, v6
	v_addc_co_u32_e32 v17, vcc, v8, v7, vcc
	global_load_dwordx2 v[12:13], v[16:17], off
	ds_read_b128 v[6:9], v26 offset:12288
	s_mov_b64 s[18:19], 0
	s_waitcnt vmcnt(1) lgkmcnt(0)
	v_mul_f64 v[10:11], v[4:5], -v[8:9]
	v_fma_f64 v[18:19], v[6:7], v[2:3], v[10:11]
.LBB38_148:                             ; =>This Inner Loop Header: Depth=1
	s_waitcnt vmcnt(0)
	v_add_f64 v[10:11], v[12:13], v[18:19]
	global_atomic_cmpswap_x2 v[10:11], v[16:17], v[10:13], off glc
	s_waitcnt vmcnt(0)
	v_cmp_eq_u64_e32 vcc, v[10:11], v[12:13]
	v_mov_b32_e32 v13, v11
	s_or_b64 s[18:19], vcc, s[18:19]
	v_mov_b32_e32 v12, v10
	s_andn2_b64 exec, exec, s[18:19]
	s_cbranch_execnz .LBB38_148
; %bb.149:
	s_or_b64 exec, exec, s[18:19]
	global_load_dwordx2 v[10:11], v[16:17], off offset:8
	v_mul_f64 v[4:5], v[4:5], v[6:7]
	s_mov_b64 s[18:19], 0
	v_fma_f64 v[2:3], v[8:9], v[2:3], v[4:5]
.LBB38_150:                             ; =>This Inner Loop Header: Depth=1
	s_waitcnt vmcnt(0)
	v_add_f64 v[8:9], v[10:11], v[2:3]
	global_atomic_cmpswap_x2 v[4:5], v[16:17], v[8:11], off offset:8 glc
	s_waitcnt vmcnt(0)
	v_cmp_eq_u64_e32 vcc, v[4:5], v[10:11]
	v_mov_b32_e32 v11, v5
	s_or_b64 s[18:19], vcc, s[18:19]
	v_mov_b32_e32 v10, v4
	s_andn2_b64 exec, exec, s[18:19]
	s_cbranch_execnz .LBB38_150
; %bb.151:
	s_or_b64 exec, exec, s[18:19]
                                        ; implicit-def: $vgpr2_vgpr3
.LBB38_152:
	s_andn2_saveexec_b64 s[0:1], s[0:1]
	s_cbranch_execz .LBB38_158
; %bb.153:
	v_mov_b32_e32 v4, s23
	v_add_co_u32_e32 v2, vcc, s22, v2
	v_addc_co_u32_e32 v3, vcc, v4, v3, vcc
	global_load_dwordx4 v[2:5], v[2:3], off
	ds_read_b128 v[6:9], v26 offset:12288
	v_subrev_u32_e32 v12, s8, v14
	v_mov_b32_e32 v13, 0x4000
	v_lshl_add_u32 v16, v12, 4, v13
	ds_read_b64 v[12:13], v16
	s_mov_b64 s[0:1], 0
	s_waitcnt vmcnt(0) lgkmcnt(1)
	v_mul_f64 v[10:11], v[4:5], -v[8:9]
	v_fma_f64 v[10:11], v[6:7], v[2:3], v[10:11]
.LBB38_154:                             ; =>This Inner Loop Header: Depth=1
	s_waitcnt lgkmcnt(0)
	v_add_f64 v[17:18], v[12:13], v[10:11]
	ds_cmpst_rtn_b64 v[17:18], v16, v[12:13], v[17:18]
	s_waitcnt lgkmcnt(0)
	v_cmp_eq_u64_e32 vcc, v[17:18], v[12:13]
	v_mov_b32_e32 v12, v17
	s_or_b64 s[0:1], vcc, s[0:1]
	v_mov_b32_e32 v13, v18
	s_andn2_b64 exec, exec, s[0:1]
	s_cbranch_execnz .LBB38_154
; %bb.155:
	s_or_b64 exec, exec, s[0:1]
	v_mul_f64 v[4:5], v[4:5], v[6:7]
	s_mov_b64 s[0:1], 0
	v_fma_f64 v[2:3], v[8:9], v[2:3], v[4:5]
	ds_read_b64 v[4:5], v16 offset:8
.LBB38_156:                             ; =>This Inner Loop Header: Depth=1
	s_waitcnt lgkmcnt(0)
	v_add_f64 v[6:7], v[4:5], v[2:3]
	ds_cmpst_rtn_b64 v[6:7], v16, v[4:5], v[6:7] offset:8
	s_waitcnt lgkmcnt(0)
	v_cmp_eq_u64_e32 vcc, v[6:7], v[4:5]
	v_mov_b32_e32 v4, v6
	s_or_b64 s[0:1], vcc, s[0:1]
	v_mov_b32_e32 v5, v7
	s_andn2_b64 exec, exec, s[0:1]
	s_cbranch_execnz .LBB38_156
; %bb.157:
	s_or_b64 exec, exec, s[0:1]
.LBB38_158:
	s_or_b64 exec, exec, s[2:3]
	v_lshlrev_b64 v[2:3], 4, v[14:15]
	v_mov_b32_e32 v4, s23
	v_add_co_u32_e32 v2, vcc, s22, v2
	v_addc_co_u32_e32 v3, vcc, v4, v3, vcc
	global_load_dwordx4 v[2:5], v[2:3], off
	ds_read_b128 v[6:9], v26 offset:12288
	s_waitcnt vmcnt(0) lgkmcnt(0)
	v_mul_f64 v[10:11], v[4:5], -v[8:9]
	v_mul_f64 v[12:13], v[4:5], v[6:7]
	v_fma_f64 v[4:5], v[6:7], v[2:3], v[10:11]
	v_fma_f64 v[6:7], v[8:9], v[2:3], v[12:13]
	ds_write_b128 v26, v[4:7] offset:12288
.LBB38_159:
	s_or_b64 exec, exec, s[4:5]
	v_mov_b32_e32 v2, s10
	v_mov_b32_e32 v3, s11
	v_cmp_lt_i64_e32 vcc, s[26:27], v[2:3]
	s_waitcnt lgkmcnt(0)
	s_and_b64 s[0:1], vcc, exec
	s_cselect_b32 s10, s26, s10
	s_cselect_b32 s0, s27, s11
	s_sub_u32 s2, s10, s30
	s_subb_u32 s3, s0, s31
	v_cmp_gt_i64_e32 vcc, s[2:3], v[0:1]
	s_barrier
	s_and_saveexec_b64 s[0:1], vcc
	s_cbranch_execz .LBB38_166
; %bb.160:
	s_lshl_b64 s[4:5], s[8:9], 4
	s_add_u32 s11, s28, s4
	s_addc_u32 s8, s29, s5
	v_mov_b32_e32 v11, v1
	s_mov_b64 s[4:5], 0
	v_mov_b32_e32 v14, s8
	v_mov_b32_e32 v15, 0x4000
	;; [unrolled: 1-line block ×3, first 2 shown]
.LBB38_161:                             ; =>This Loop Header: Depth=1
                                        ;     Child Loop BB38_162 Depth 2
                                        ;     Child Loop BB38_164 Depth 2
	v_lshlrev_b64 v[2:3], 4, v[10:11]
	s_mov_b64 s[8:9], 0
	v_add_co_u32_e32 v12, vcc, s11, v2
	v_addc_co_u32_e32 v13, vcc, v14, v3, vcc
	global_load_dwordx2 v[8:9], v[12:13], off
	v_lshl_add_u32 v2, v10, 4, v15
	ds_read2_b64 v[2:5], v2 offset1:1
.LBB38_162:                             ;   Parent Loop BB38_161 Depth=1
                                        ; =>  This Inner Loop Header: Depth=2
	s_waitcnt vmcnt(0) lgkmcnt(0)
	v_add_f64 v[6:7], v[8:9], v[2:3]
	global_atomic_cmpswap_x2 v[6:7], v[12:13], v[6:9], off glc
	s_waitcnt vmcnt(0)
	v_cmp_eq_u64_e32 vcc, v[6:7], v[8:9]
	v_mov_b32_e32 v9, v7
	s_or_b64 s[8:9], vcc, s[8:9]
	v_mov_b32_e32 v8, v6
	s_andn2_b64 exec, exec, s[8:9]
	s_cbranch_execnz .LBB38_162
; %bb.163:                              ;   in Loop: Header=BB38_161 Depth=1
	s_or_b64 exec, exec, s[8:9]
	global_load_dwordx2 v[8:9], v[12:13], off offset:8
	s_mov_b64 s[8:9], 0
.LBB38_164:                             ;   Parent Loop BB38_161 Depth=1
                                        ; =>  This Inner Loop Header: Depth=2
	s_waitcnt vmcnt(0)
	v_add_f64 v[6:7], v[8:9], v[4:5]
	global_atomic_cmpswap_x2 v[2:3], v[12:13], v[6:9], off offset:8 glc
	s_waitcnt vmcnt(0)
	v_cmp_eq_u64_e32 vcc, v[2:3], v[8:9]
	v_mov_b32_e32 v9, v3
	s_or_b64 s[8:9], vcc, s[8:9]
	v_mov_b32_e32 v8, v2
	s_andn2_b64 exec, exec, s[8:9]
	s_cbranch_execnz .LBB38_164
; %bb.165:                              ;   in Loop: Header=BB38_161 Depth=1
	s_or_b64 exec, exec, s[8:9]
	v_add_co_u32_e32 v10, vcc, 0x100, v10
	v_addc_co_u32_e32 v11, vcc, 0, v11, vcc
	v_cmp_le_i64_e32 vcc, s[2:3], v[10:11]
	s_or_b64 s[4:5], vcc, s[4:5]
	s_andn2_b64 exec, exec, s[4:5]
	s_cbranch_execnz .LBB38_161
.LBB38_166:
	s_or_b64 exec, exec, s[0:1]
	s_add_i32 s0, s36, -1
	s_ashr_i32 s1, s0, 1
	s_or_b32 s0, s1, s0
	s_ashr_i32 s1, s0, 2
	s_or_b32 s0, s1, s0
	;; [unrolled: 2-line block ×5, first 2 shown]
	s_add_i32 s0, s0, 1
	s_ashr_i32 s3, s0, 1
	v_mov_b32_e32 v2, s25
	v_add_co_u32_e32 v10, vcc, s24, v0
	v_addc_co_u32_e32 v11, vcc, 0, v2, vcc
	s_cmp_gt_i32 s3, 1
	s_mov_b64 s[0:1], -1
	s_barrier
	s_cbranch_scc1 .LBB38_179
; %bb.167:
	v_cmp_gt_i64_e32 vcc, s[26:27], v[10:11]
	s_and_saveexec_b64 s[0:1], vcc
	s_cbranch_execz .LBB38_178
; %bb.168:
	s_sub_i32 s4, s10, s26
	s_lshl_b32 s4, s4, 4
	s_add_i32 s13, s4, 0x4000
	s_lshl_b32 s4, s6, 4
	v_mov_b32_e32 v13, v11
	s_sub_i32 s18, 0, s4
	s_mov_b64 s[4:5], 0
	v_mov_b32_e32 v18, s17
	v_mov_b32_e32 v19, s29
	;; [unrolled: 1-line block ×3, first 2 shown]
.LBB38_169:                             ; =>This Loop Header: Depth=1
                                        ;     Child Loop BB38_171 Depth 2
                                        ;     Child Loop BB38_174 Depth 2
	;; [unrolled: 1-line block ×3, first 2 shown]
	v_lshlrev_b64 v[2:3], 3, v[12:13]
	v_mov_b32_e32 v14, 0
	v_add_co_u32_e32 v2, vcc, s16, v2
	v_addc_co_u32_e32 v3, vcc, v18, v3, vcc
	global_load_dwordx4 v[2:5], v[2:3], off
	v_mov_b32_e32 v6, 0
	v_mov_b32_e32 v15, 0
	;; [unrolled: 1-line block ×3, first 2 shown]
	s_waitcnt vmcnt(0)
	v_cmp_lt_i64_e32 vcc, v[2:3], v[4:5]
	s_and_saveexec_b64 s[8:9], vcc
	s_cbranch_execz .LBB38_173
; %bb.170:                              ;   in Loop: Header=BB38_169 Depth=1
	v_mov_b32_e32 v6, s7
	v_subrev_co_u32_e32 v4, vcc, s6, v4
	v_subb_co_u32_e32 v5, vcc, v5, v6, vcc
	v_subrev_co_u32_e32 v8, vcc, s6, v2
	v_subb_co_u32_e32 v9, vcc, v3, v6, vcc
	v_mov_b32_e32 v14, 0
	v_mov_b32_e32 v6, 0
	v_lshl_add_u32 v2, v2, 4, s18
	v_mov_b32_e32 v15, 0
	v_mov_b32_e32 v7, 0
	s_mov_b64 s[10:11], 0
.LBB38_171:                             ;   Parent Loop BB38_169 Depth=1
                                        ; =>  This Inner Loop Header: Depth=2
	ds_read_b128 v[20:23], v2
	v_add_co_u32_e32 v8, vcc, 1, v8
	v_addc_co_u32_e32 v9, vcc, 0, v9, vcc
	s_waitcnt lgkmcnt(0)
	v_add_f64 v[6:7], v[6:7], v[20:21]
	v_add_f64 v[14:15], v[14:15], v[22:23]
	v_cmp_ge_i64_e32 vcc, v[8:9], v[4:5]
	v_add_u32_e32 v2, 16, v2
	s_or_b64 s[10:11], vcc, s[10:11]
	s_andn2_b64 exec, exec, s[10:11]
	s_cbranch_execnz .LBB38_171
; %bb.172:                              ;   in Loop: Header=BB38_169 Depth=1
	s_or_b64 exec, exec, s[10:11]
.LBB38_173:                             ;   in Loop: Header=BB38_169 Depth=1
	s_or_b64 exec, exec, s[8:9]
	v_lshlrev_b64 v[2:3], 4, v[12:13]
	s_mov_b64 s[8:9], 0
	v_add_co_u32_e32 v16, vcc, s28, v2
	v_addc_co_u32_e32 v17, vcc, v19, v3, vcc
	global_load_dwordx2 v[8:9], v[16:17], off
	v_lshl_add_u32 v2, v12, 4, s13
	ds_read2_b64 v[2:5], v2 offset1:1
	s_waitcnt lgkmcnt(0)
	v_add_f64 v[2:3], v[6:7], v[2:3]
.LBB38_174:                             ;   Parent Loop BB38_169 Depth=1
                                        ; =>  This Inner Loop Header: Depth=2
	s_waitcnt vmcnt(0)
	v_add_f64 v[6:7], v[8:9], v[2:3]
	global_atomic_cmpswap_x2 v[6:7], v[16:17], v[6:9], off glc
	s_waitcnt vmcnt(0)
	v_cmp_eq_u64_e32 vcc, v[6:7], v[8:9]
	v_mov_b32_e32 v9, v7
	s_or_b64 s[8:9], vcc, s[8:9]
	v_mov_b32_e32 v8, v6
	s_andn2_b64 exec, exec, s[8:9]
	s_cbranch_execnz .LBB38_174
; %bb.175:                              ;   in Loop: Header=BB38_169 Depth=1
	s_or_b64 exec, exec, s[8:9]
	global_load_dwordx2 v[6:7], v[16:17], off offset:8
	v_add_f64 v[2:3], v[14:15], v[4:5]
	s_mov_b64 s[8:9], 0
.LBB38_176:                             ;   Parent Loop BB38_169 Depth=1
                                        ; =>  This Inner Loop Header: Depth=2
	s_waitcnt vmcnt(0)
	v_add_f64 v[4:5], v[6:7], v[2:3]
	global_atomic_cmpswap_x2 v[4:5], v[16:17], v[4:7], off offset:8 glc
	s_waitcnt vmcnt(0)
	v_cmp_eq_u64_e32 vcc, v[4:5], v[6:7]
	v_mov_b32_e32 v7, v5
	s_or_b64 s[8:9], vcc, s[8:9]
	v_mov_b32_e32 v6, v4
	s_andn2_b64 exec, exec, s[8:9]
	s_cbranch_execnz .LBB38_176
; %bb.177:                              ;   in Loop: Header=BB38_169 Depth=1
	s_or_b64 exec, exec, s[8:9]
	v_add_co_u32_e32 v12, vcc, s12, v12
	v_addc_co_u32_e32 v13, vcc, 0, v13, vcc
	v_cmp_le_i64_e32 vcc, s[26:27], v[12:13]
	s_or_b64 s[4:5], vcc, s[4:5]
	s_andn2_b64 exec, exec, s[4:5]
	s_cbranch_execnz .LBB38_169
.LBB38_178:
	s_or_b64 exec, exec, s[0:1]
	s_mov_b64 s[0:1], 0
.LBB38_179:
	s_andn2_b64 vcc, exec, s[0:1]
	s_cbranch_vccnz .LBB38_199
; %bb.180:
	v_cvt_f32_u32_e32 v2, s3
	s_sub_i32 s8, 0, s3
	v_mov_b32_e32 v6, s15
	v_rcp_iflag_f32_e32 v2, v2
	v_mul_f32_e32 v2, 0x4f7ffffe, v2
	v_cvt_u32_f32_e32 v2, v2
	v_mul_lo_u32 v3, s8, v2
	v_mul_hi_u32 v3, v2, v3
	v_add_u32_e32 v2, v2, v3
	v_mul_hi_u32 v2, v0, v2
	v_mov_b32_e32 v3, 0
	v_mul_lo_u32 v4, v2, s3
	v_add_u32_e32 v5, 1, v2
	v_sub_u32_e32 v4, v0, v4
	v_cmp_le_u32_e32 vcc, s3, v4
	v_cndmask_b32_e32 v2, v2, v5, vcc
	v_subrev_u32_e32 v5, s3, v4
	v_cndmask_b32_e32 v4, v4, v5, vcc
	v_add_u32_e32 v5, 1, v2
	v_cmp_le_u32_e32 vcc, s3, v4
	v_cndmask_b32_e32 v2, v2, v5, vcc
	v_lshlrev_b64 v[4:5], 3, v[2:3]
	v_add_co_u32_e32 v4, vcc, s14, v4
	v_addc_co_u32_e32 v5, vcc, v6, v5, vcc
	global_load_dwordx4 v[6:9], v[4:5], off
	v_mov_b32_e32 v4, s7
	v_mov_b32_e32 v5, s7
	s_waitcnt vmcnt(0)
	v_subrev_co_u32_e32 v6, vcc, s6, v6
	v_subb_co_u32_e32 v7, vcc, v7, v4, vcc
	v_subrev_co_u32_e32 v15, vcc, s6, v8
	v_subb_co_u32_e32 v16, vcc, v9, v5, vcc
	v_sub_co_u32_e32 v12, vcc, v15, v6
	v_subb_co_u32_e32 v5, vcc, v16, v7, vcc
	v_mov_b32_e32 v4, v3
	v_cmp_ne_u64_e32 vcc, 0, v[4:5]
                                        ; implicit-def: $vgpr8_vgpr9
	s_and_saveexec_b64 s[0:1], vcc
	s_xor_b64 s[4:5], exec, s[0:1]
	s_cbranch_execz .LBB38_182
; %bb.181:
	s_add_u32 s0, s3, 0
	s_addc_u32 s1, 0, 0
	s_xor_b64 s[6:7], s[0:1], 0
	v_cvt_f32_u32_e32 v4, s6
	v_cvt_f32_u32_e32 v8, s7
	s_sub_u32 s9, 0, s6
	s_subb_u32 s10, 0, s7
	v_ashrrev_i32_e32 v13, 31, v5
	v_madmk_f32 v4, v8, 0x4f800000, v4
	v_rcp_f32_e32 v4, v4
	v_mul_f32_e32 v4, 0x5f7ffffc, v4
	v_mul_f32_e32 v8, 0x2f800000, v4
	v_trunc_f32_e32 v8, v8
	v_madmk_f32 v4, v8, 0xcf800000, v4
	v_cvt_u32_f32_e32 v8, v8
	v_cvt_u32_f32_e32 v4, v4
	v_readfirstlane_b32 s11, v8
	v_readfirstlane_b32 s0, v4
	s_mul_i32 s1, s9, s11
	s_mul_hi_u32 s13, s9, s0
	s_mul_i32 s12, s10, s0
	s_add_i32 s1, s13, s1
	s_mul_i32 s14, s9, s0
	s_add_i32 s1, s1, s12
	s_mul_i32 s13, s0, s1
	s_mul_hi_u32 s15, s0, s14
	s_mul_hi_u32 s12, s0, s1
	s_add_u32 s13, s15, s13
	s_addc_u32 s12, 0, s12
	s_mul_hi_u32 s16, s11, s14
	s_mul_i32 s14, s11, s14
	s_add_u32 s13, s13, s14
	s_mul_hi_u32 s15, s11, s1
	s_addc_u32 s12, s12, s16
	s_addc_u32 s13, s15, 0
	s_mul_i32 s1, s11, s1
	s_add_u32 s1, s12, s1
	s_addc_u32 s12, 0, s13
	s_add_u32 s13, s0, s1
	s_cselect_b64 s[0:1], -1, 0
	s_cmp_lg_u64 s[0:1], 0
	s_addc_u32 s11, s11, s12
	s_mul_i32 s0, s9, s11
	s_mul_hi_u32 s1, s9, s13
	s_add_i32 s0, s1, s0
	s_mul_i32 s10, s10, s13
	s_add_i32 s0, s0, s10
	s_mul_i32 s9, s9, s13
	s_mul_hi_u32 s10, s11, s9
	s_mul_i32 s12, s11, s9
	s_mul_i32 s15, s13, s0
	s_mul_hi_u32 s9, s13, s9
	s_mul_hi_u32 s14, s13, s0
	s_add_u32 s9, s9, s15
	s_addc_u32 s14, 0, s14
	s_add_u32 s9, s9, s12
	s_mul_hi_u32 s1, s11, s0
	s_addc_u32 s9, s14, s10
	s_addc_u32 s1, s1, 0
	s_mul_i32 s0, s11, s0
	s_add_u32 s0, s9, s0
	s_addc_u32 s9, 0, s1
	s_add_u32 s10, s13, s0
	s_cselect_b64 s[0:1], -1, 0
	s_cmp_lg_u64 s[0:1], 0
	v_add_co_u32_e32 v4, vcc, v12, v13
	s_addc_u32 s9, s11, s9
	v_xor_b32_e32 v12, v4, v13
	v_addc_co_u32_e32 v8, vcc, v5, v13, vcc
	v_mad_u64_u32 v[4:5], s[0:1], v12, s9, 0
	v_mul_hi_u32 v9, v12, s10
	v_xor_b32_e32 v14, v8, v13
	v_add_co_u32_e32 v17, vcc, v9, v4
	v_addc_co_u32_e32 v18, vcc, 0, v5, vcc
	v_mad_u64_u32 v[4:5], s[0:1], v14, s10, 0
	v_mad_u64_u32 v[8:9], s[0:1], v14, s9, 0
	v_add_co_u32_e32 v4, vcc, v17, v4
	v_addc_co_u32_e32 v4, vcc, v18, v5, vcc
	v_addc_co_u32_e32 v5, vcc, 0, v9, vcc
	v_add_co_u32_e32 v8, vcc, v4, v8
	v_addc_co_u32_e32 v9, vcc, 0, v5, vcc
	v_mul_lo_u32 v17, s7, v8
	v_mul_lo_u32 v18, s6, v9
	v_mad_u64_u32 v[4:5], s[0:1], s6, v8, 0
	v_add3_u32 v5, v5, v18, v17
	v_sub_u32_e32 v17, v14, v5
	v_mov_b32_e32 v18, s7
	v_sub_co_u32_e32 v4, vcc, v12, v4
	v_subb_co_u32_e64 v12, s[0:1], v17, v18, vcc
	v_subrev_co_u32_e64 v17, s[0:1], s6, v4
	v_subbrev_co_u32_e64 v12, s[0:1], 0, v12, s[0:1]
	v_cmp_le_u32_e64 s[0:1], s7, v12
	v_cndmask_b32_e64 v18, 0, -1, s[0:1]
	v_cmp_le_u32_e64 s[0:1], s6, v17
	v_cndmask_b32_e64 v17, 0, -1, s[0:1]
	v_cmp_eq_u32_e64 s[0:1], s7, v12
	v_cndmask_b32_e64 v12, v18, v17, s[0:1]
	v_add_co_u32_e64 v17, s[0:1], 2, v8
	v_subb_co_u32_e32 v5, vcc, v14, v5, vcc
	v_addc_co_u32_e64 v18, s[0:1], 0, v9, s[0:1]
	v_cmp_le_u32_e32 vcc, s7, v5
	v_add_co_u32_e64 v19, s[0:1], 1, v8
	v_cndmask_b32_e64 v14, 0, -1, vcc
	v_cmp_le_u32_e32 vcc, s6, v4
	v_addc_co_u32_e64 v20, s[0:1], 0, v9, s[0:1]
	v_cndmask_b32_e64 v4, 0, -1, vcc
	v_cmp_eq_u32_e32 vcc, s7, v5
	v_cmp_ne_u32_e64 s[0:1], 0, v12
	v_cndmask_b32_e32 v4, v14, v4, vcc
	v_cmp_ne_u32_e32 vcc, 0, v4
	v_cndmask_b32_e64 v5, v19, v17, s[0:1]
	v_cndmask_b32_e64 v12, v20, v18, s[0:1]
	v_cndmask_b32_e32 v5, v8, v5, vcc
	v_cndmask_b32_e32 v4, v9, v12, vcc
	v_xor_b32_e32 v5, v5, v13
	v_xor_b32_e32 v4, v4, v13
	v_sub_co_u32_e32 v8, vcc, v5, v13
	v_subb_co_u32_e32 v9, vcc, v4, v13, vcc
                                        ; implicit-def: $vgpr12
.LBB38_182:
	s_andn2_saveexec_b64 s[0:1], s[4:5]
	s_cbranch_execz .LBB38_184
; %bb.183:
	v_cvt_f32_u32_e32 v4, s3
	v_rcp_iflag_f32_e32 v4, v4
	v_mul_f32_e32 v4, 0x4f7ffffe, v4
	v_cvt_u32_f32_e32 v4, v4
	v_mul_lo_u32 v5, s8, v4
	v_mul_hi_u32 v5, v4, v5
	v_add_u32_e32 v4, v4, v5
	v_mul_hi_u32 v4, v12, v4
	v_mul_lo_u32 v5, v4, s3
	v_add_u32_e32 v8, 1, v4
	v_sub_u32_e32 v5, v12, v5
	v_subrev_u32_e32 v9, s3, v5
	v_cmp_le_u32_e32 vcc, s3, v5
	v_cndmask_b32_e32 v5, v5, v9, vcc
	v_cndmask_b32_e32 v4, v4, v8, vcc
	v_add_u32_e32 v8, 1, v4
	v_cmp_le_u32_e32 vcc, s3, v5
	v_cndmask_b32_e32 v8, v4, v8, vcc
	v_mov_b32_e32 v9, 0
.LBB38_184:
	s_or_b64 exec, exec, s[0:1]
	v_cmp_gt_i64_e32 vcc, s[30:31], v[2:3]
	v_mov_b32_e32 v4, 0
	v_mov_b32_e32 v2, 0
	;; [unrolled: 1-line block ×4, first 2 shown]
	s_and_saveexec_b64 s[0:1], vcc
	s_cbranch_execz .LBB38_192
; %bb.185:
	s_add_i32 s4, s3, -1
	v_and_b32_e32 v12, s4, v0
	v_cmp_lt_i64_e32 vcc, 0, v[8:9]
	v_mov_b32_e32 v4, 0
	v_mov_b32_e32 v2, 0
	s_mov_b64 s[4:5], 0
	v_mov_b32_e32 v5, 0
	v_mov_b32_e32 v3, 0
	v_lshlrev_b32_e32 v17, 4, v12
	s_and_saveexec_b64 s[6:7], vcc
	s_cbranch_execz .LBB38_189
; %bb.186:
	v_mov_b32_e32 v4, 0
	v_mov_b32_e32 v5, 0
	;; [unrolled: 1-line block ×4, first 2 shown]
	v_lshl_add_u32 v18, v6, 4, v17
	s_lshl_b32 s8, s3, 4
	v_mov_b32_e32 v13, v8
	v_mov_b32_e32 v3, v5
.LBB38_187:                             ; =>This Inner Loop Header: Depth=1
	ds_read_b128 v[19:22], v18
	v_add_co_u32_e32 v13, vcc, -1, v13
	v_addc_co_u32_e32 v14, vcc, -1, v14, vcc
	s_waitcnt lgkmcnt(0)
	v_add_f64 v[2:3], v[2:3], v[19:20]
	v_add_f64 v[4:5], v[4:5], v[21:22]
	v_cmp_eq_u64_e32 vcc, 0, v[13:14]
	v_add_u32_e32 v18, s8, v18
	s_or_b64 s[4:5], vcc, s[4:5]
	s_andn2_b64 exec, exec, s[4:5]
	s_cbranch_execnz .LBB38_187
; %bb.188:
	s_or_b64 exec, exec, s[4:5]
.LBB38_189:
	s_or_b64 exec, exec, s[6:7]
	v_mad_u64_u32 v[6:7], s[4:5], v8, s3, v[6:7]
	v_mov_b32_e32 v13, 0
	v_mad_u64_u32 v[7:8], s[4:5], v9, s3, v[7:8]
	v_sub_co_u32_e32 v8, vcc, v15, v6
	v_subb_co_u32_e32 v9, vcc, v16, v7, vcc
	v_cmp_gt_i64_e32 vcc, v[8:9], v[12:13]
	s_and_saveexec_b64 s[4:5], vcc
	s_cbranch_execz .LBB38_191
; %bb.190:
	v_lshl_add_u32 v6, v6, 4, v17
	ds_read_b128 v[6:9], v6
	s_waitcnt lgkmcnt(0)
	v_add_f64 v[2:3], v[2:3], v[6:7]
	v_add_f64 v[4:5], v[4:5], v[8:9]
.LBB38_191:
	s_or_b64 exec, exec, s[4:5]
.LBB38_192:
	s_or_b64 exec, exec, s[0:1]
	v_cmp_gt_i64_e32 vcc, s[30:31], v[0:1]
	s_barrier
	ds_write_b128 v26, v[2:5]
	s_waitcnt lgkmcnt(0)
	s_barrier
	s_and_b64 exec, exec, vcc
	s_cbranch_execz .LBB38_199
; %bb.193:
	v_mul_lo_u32 v1, s3, v0
	v_mov_b32_e32 v8, 0
	v_mov_b32_e32 v4, 0
	;; [unrolled: 1-line block ×4, first 2 shown]
	v_lshlrev_b32_e32 v1, 4, v1
.LBB38_194:                             ; =>This Inner Loop Header: Depth=1
	ds_read_b128 v[12:15], v1
	s_add_i32 s3, s3, -1
	s_cmp_eq_u32 s3, 0
	v_add_u32_e32 v1, 16, v1
	s_waitcnt lgkmcnt(0)
	v_add_f64 v[4:5], v[4:5], v[12:13]
	v_add_f64 v[8:9], v[8:9], v[14:15]
	s_cbranch_scc0 .LBB38_194
; %bb.195:
	v_lshlrev_b64 v[1:2], 4, v[10:11]
	v_mov_b32_e32 v3, s29
	v_add_co_u32_e32 v10, vcc, s28, v1
	v_addc_co_u32_e32 v11, vcc, v3, v2, vcc
	global_load_dwordx2 v[6:7], v[10:11], off
	s_lshl_b32 s0, s2, 4
	s_addk_i32 s0, 0x4000
	v_lshl_add_u32 v0, v0, 4, s0
	ds_read2_b64 v[0:3], v0 offset1:1
	s_mov_b64 s[0:1], 0
	s_waitcnt lgkmcnt(0)
	v_add_f64 v[0:1], v[4:5], v[0:1]
.LBB38_196:                             ; =>This Inner Loop Header: Depth=1
	s_waitcnt vmcnt(0)
	v_add_f64 v[4:5], v[6:7], v[0:1]
	global_atomic_cmpswap_x2 v[4:5], v[10:11], v[4:7], off glc
	s_waitcnt vmcnt(0)
	v_cmp_eq_u64_e32 vcc, v[4:5], v[6:7]
	v_mov_b32_e32 v7, v5
	s_or_b64 s[0:1], vcc, s[0:1]
	v_mov_b32_e32 v6, v4
	s_andn2_b64 exec, exec, s[0:1]
	s_cbranch_execnz .LBB38_196
; %bb.197:
	s_or_b64 exec, exec, s[0:1]
	global_load_dwordx2 v[4:5], v[10:11], off offset:8
	v_add_f64 v[0:1], v[8:9], v[2:3]
	s_mov_b64 s[0:1], 0
.LBB38_198:                             ; =>This Inner Loop Header: Depth=1
	s_waitcnt vmcnt(0)
	v_add_f64 v[2:3], v[4:5], v[0:1]
	global_atomic_cmpswap_x2 v[2:3], v[10:11], v[2:5], off offset:8 glc
	s_waitcnt vmcnt(0)
	v_cmp_eq_u64_e32 vcc, v[2:3], v[4:5]
	v_mov_b32_e32 v5, v3
	s_or_b64 s[0:1], vcc, s[0:1]
	v_mov_b32_e32 v4, v2
	s_andn2_b64 exec, exec, s[0:1]
	s_cbranch_execnz .LBB38_198
.LBB38_199:
	s_endpgm
	.section	.rodata,"a",@progbits
	.p2align	6, 0x0
	.amdhsa_kernel _ZN9rocsparseL27csrmvn_symm_adaptive_kernelIli21rocsparse_complex_numIdES2_S2_S2_EEvbT_S3_PKS3_NS_24const_host_device_scalarIT4_EES5_PKT0_PKT1_PKT2_S8_PT3_21rocsparse_index_base_b
		.amdhsa_group_segment_fixed_size 16384
		.amdhsa_private_segment_fixed_size 0
		.amdhsa_kernarg_size 368
		.amdhsa_user_sgpr_count 6
		.amdhsa_user_sgpr_private_segment_buffer 1
		.amdhsa_user_sgpr_dispatch_ptr 0
		.amdhsa_user_sgpr_queue_ptr 0
		.amdhsa_user_sgpr_kernarg_segment_ptr 1
		.amdhsa_user_sgpr_dispatch_id 0
		.amdhsa_user_sgpr_flat_scratch_init 0
		.amdhsa_user_sgpr_private_segment_size 0
		.amdhsa_uses_dynamic_stack 0
		.amdhsa_system_sgpr_private_segment_wavefront_offset 0
		.amdhsa_system_sgpr_workgroup_id_x 1
		.amdhsa_system_sgpr_workgroup_id_y 0
		.amdhsa_system_sgpr_workgroup_id_z 0
		.amdhsa_system_sgpr_workgroup_info 0
		.amdhsa_system_vgpr_workitem_id 0
		.amdhsa_next_free_vgpr 49
		.amdhsa_next_free_sgpr 98
		.amdhsa_reserve_vcc 1
		.amdhsa_reserve_flat_scratch 0
		.amdhsa_float_round_mode_32 0
		.amdhsa_float_round_mode_16_64 0
		.amdhsa_float_denorm_mode_32 3
		.amdhsa_float_denorm_mode_16_64 3
		.amdhsa_dx10_clamp 1
		.amdhsa_ieee_mode 1
		.amdhsa_fp16_overflow 0
		.amdhsa_exception_fp_ieee_invalid_op 0
		.amdhsa_exception_fp_denorm_src 0
		.amdhsa_exception_fp_ieee_div_zero 0
		.amdhsa_exception_fp_ieee_overflow 0
		.amdhsa_exception_fp_ieee_underflow 0
		.amdhsa_exception_fp_ieee_inexact 0
		.amdhsa_exception_int_div_zero 0
	.end_amdhsa_kernel
	.section	.text._ZN9rocsparseL27csrmvn_symm_adaptive_kernelIli21rocsparse_complex_numIdES2_S2_S2_EEvbT_S3_PKS3_NS_24const_host_device_scalarIT4_EES5_PKT0_PKT1_PKT2_S8_PT3_21rocsparse_index_base_b,"axG",@progbits,_ZN9rocsparseL27csrmvn_symm_adaptive_kernelIli21rocsparse_complex_numIdES2_S2_S2_EEvbT_S3_PKS3_NS_24const_host_device_scalarIT4_EES5_PKT0_PKT1_PKT2_S8_PT3_21rocsparse_index_base_b,comdat
.Lfunc_end38:
	.size	_ZN9rocsparseL27csrmvn_symm_adaptive_kernelIli21rocsparse_complex_numIdES2_S2_S2_EEvbT_S3_PKS3_NS_24const_host_device_scalarIT4_EES5_PKT0_PKT1_PKT2_S8_PT3_21rocsparse_index_base_b, .Lfunc_end38-_ZN9rocsparseL27csrmvn_symm_adaptive_kernelIli21rocsparse_complex_numIdES2_S2_S2_EEvbT_S3_PKS3_NS_24const_host_device_scalarIT4_EES5_PKT0_PKT1_PKT2_S8_PT3_21rocsparse_index_base_b
                                        ; -- End function
	.set _ZN9rocsparseL27csrmvn_symm_adaptive_kernelIli21rocsparse_complex_numIdES2_S2_S2_EEvbT_S3_PKS3_NS_24const_host_device_scalarIT4_EES5_PKT0_PKT1_PKT2_S8_PT3_21rocsparse_index_base_b.num_vgpr, 37
	.set _ZN9rocsparseL27csrmvn_symm_adaptive_kernelIli21rocsparse_complex_numIdES2_S2_S2_EEvbT_S3_PKS3_NS_24const_host_device_scalarIT4_EES5_PKT0_PKT1_PKT2_S8_PT3_21rocsparse_index_base_b.num_agpr, 0
	.set _ZN9rocsparseL27csrmvn_symm_adaptive_kernelIli21rocsparse_complex_numIdES2_S2_S2_EEvbT_S3_PKS3_NS_24const_host_device_scalarIT4_EES5_PKT0_PKT1_PKT2_S8_PT3_21rocsparse_index_base_b.numbered_sgpr, 52
	.set _ZN9rocsparseL27csrmvn_symm_adaptive_kernelIli21rocsparse_complex_numIdES2_S2_S2_EEvbT_S3_PKS3_NS_24const_host_device_scalarIT4_EES5_PKT0_PKT1_PKT2_S8_PT3_21rocsparse_index_base_b.num_named_barrier, 0
	.set _ZN9rocsparseL27csrmvn_symm_adaptive_kernelIli21rocsparse_complex_numIdES2_S2_S2_EEvbT_S3_PKS3_NS_24const_host_device_scalarIT4_EES5_PKT0_PKT1_PKT2_S8_PT3_21rocsparse_index_base_b.private_seg_size, 0
	.set _ZN9rocsparseL27csrmvn_symm_adaptive_kernelIli21rocsparse_complex_numIdES2_S2_S2_EEvbT_S3_PKS3_NS_24const_host_device_scalarIT4_EES5_PKT0_PKT1_PKT2_S8_PT3_21rocsparse_index_base_b.uses_vcc, 1
	.set _ZN9rocsparseL27csrmvn_symm_adaptive_kernelIli21rocsparse_complex_numIdES2_S2_S2_EEvbT_S3_PKS3_NS_24const_host_device_scalarIT4_EES5_PKT0_PKT1_PKT2_S8_PT3_21rocsparse_index_base_b.uses_flat_scratch, 0
	.set _ZN9rocsparseL27csrmvn_symm_adaptive_kernelIli21rocsparse_complex_numIdES2_S2_S2_EEvbT_S3_PKS3_NS_24const_host_device_scalarIT4_EES5_PKT0_PKT1_PKT2_S8_PT3_21rocsparse_index_base_b.has_dyn_sized_stack, 0
	.set _ZN9rocsparseL27csrmvn_symm_adaptive_kernelIli21rocsparse_complex_numIdES2_S2_S2_EEvbT_S3_PKS3_NS_24const_host_device_scalarIT4_EES5_PKT0_PKT1_PKT2_S8_PT3_21rocsparse_index_base_b.has_recursion, 0
	.set _ZN9rocsparseL27csrmvn_symm_adaptive_kernelIli21rocsparse_complex_numIdES2_S2_S2_EEvbT_S3_PKS3_NS_24const_host_device_scalarIT4_EES5_PKT0_PKT1_PKT2_S8_PT3_21rocsparse_index_base_b.has_indirect_call, 0
	.section	.AMDGPU.csdata,"",@progbits
; Kernel info:
; codeLenInByte = 10380
; TotalNumSgprs: 56
; NumVgprs: 37
; ScratchSize: 0
; MemoryBound: 0
; FloatMode: 240
; IeeeMode: 1
; LDSByteSize: 16384 bytes/workgroup (compile time only)
; SGPRBlocks: 12
; VGPRBlocks: 12
; NumSGPRsForWavesPerEU: 102
; NumVGPRsForWavesPerEU: 49
; Occupancy: 4
; WaveLimiterHint : 1
; COMPUTE_PGM_RSRC2:SCRATCH_EN: 0
; COMPUTE_PGM_RSRC2:USER_SGPR: 6
; COMPUTE_PGM_RSRC2:TRAP_HANDLER: 0
; COMPUTE_PGM_RSRC2:TGID_X_EN: 1
; COMPUTE_PGM_RSRC2:TGID_Y_EN: 0
; COMPUTE_PGM_RSRC2:TGID_Z_EN: 0
; COMPUTE_PGM_RSRC2:TIDIG_COMP_CNT: 0
	.section	.text._ZL33csrmvn_symm_large_adaptive_kernelIli21rocsparse_complex_numIdES1_S1_S1_EvbT_PKS2_N9rocsparse24const_host_device_scalarIT4_EES4_PKT0_PKT1_PKT2_S8_PT3_21rocsparse_index_base_b,"axG",@progbits,_ZL33csrmvn_symm_large_adaptive_kernelIli21rocsparse_complex_numIdES1_S1_S1_EvbT_PKS2_N9rocsparse24const_host_device_scalarIT4_EES4_PKT0_PKT1_PKT2_S8_PT3_21rocsparse_index_base_b,comdat
	.globl	_ZL33csrmvn_symm_large_adaptive_kernelIli21rocsparse_complex_numIdES1_S1_S1_EvbT_PKS2_N9rocsparse24const_host_device_scalarIT4_EES4_PKT0_PKT1_PKT2_S8_PT3_21rocsparse_index_base_b ; -- Begin function _ZL33csrmvn_symm_large_adaptive_kernelIli21rocsparse_complex_numIdES1_S1_S1_EvbT_PKS2_N9rocsparse24const_host_device_scalarIT4_EES4_PKT0_PKT1_PKT2_S8_PT3_21rocsparse_index_base_b
	.p2align	8
	.type	_ZL33csrmvn_symm_large_adaptive_kernelIli21rocsparse_complex_numIdES1_S1_S1_EvbT_PKS2_N9rocsparse24const_host_device_scalarIT4_EES4_PKT0_PKT1_PKT2_S8_PT3_21rocsparse_index_base_b,@function
_ZL33csrmvn_symm_large_adaptive_kernelIli21rocsparse_complex_numIdES1_S1_S1_EvbT_PKS2_N9rocsparse24const_host_device_scalarIT4_EES4_PKT0_PKT1_PKT2_S8_PT3_21rocsparse_index_base_b: ; @_ZL33csrmvn_symm_large_adaptive_kernelIli21rocsparse_complex_numIdES1_S1_S1_EvbT_PKS2_N9rocsparse24const_host_device_scalarIT4_EES4_PKT0_PKT1_PKT2_S8_PT3_21rocsparse_index_base_b
; %bb.0:
	s_load_dwordx2 s[24:25], s[4:5], 0x60
	s_load_dwordx2 s[0:1], s[4:5], 0x18
	s_add_u32 s7, s4, 24
	s_addc_u32 s10, s5, 0
	s_waitcnt lgkmcnt(0)
	s_bitcmp1_b32 s25, 0
	s_cselect_b64 s[8:9], -1, 0
	s_and_b64 s[2:3], s[8:9], exec
	s_cselect_b32 s1, s10, s1
	s_cselect_b32 s0, s7, s0
	v_mov_b32_e32 v1, s0
	v_mov_b32_e32 v2, s1
	flat_load_dwordx4 v[1:4], v[1:2]
	s_waitcnt vmcnt(0) lgkmcnt(0)
	v_cmp_eq_f64_e32 vcc, 0, v[1:2]
	v_cmp_eq_f64_e64 s[0:1], 0, v[3:4]
	s_and_b64 s[10:11], vcc, s[0:1]
	s_mov_b64 s[0:1], -1
	s_and_saveexec_b64 s[2:3], s[10:11]
	s_cbranch_execz .LBB39_2
; %bb.1:
	s_load_dwordx2 s[0:1], s[4:5], 0x48
	s_add_u32 s7, s4, 0x48
	s_addc_u32 s10, s5, 0
	s_and_b64 s[8:9], s[8:9], exec
	s_waitcnt lgkmcnt(0)
	s_cselect_b32 s1, s10, s1
	s_cselect_b32 s0, s7, s0
	v_mov_b32_e32 v5, s0
	v_mov_b32_e32 v6, s1
	flat_load_dwordx4 v[5:8], v[5:6]
	s_waitcnt vmcnt(0) lgkmcnt(0)
	v_cmp_neq_f64_e32 vcc, 1.0, v[5:6]
	v_cmp_neq_f64_e64 s[0:1], 0, v[7:8]
	s_or_b64 s[0:1], vcc, s[0:1]
	s_orn2_b64 s[0:1], s[0:1], exec
.LBB39_2:
	s_or_b64 exec, exec, s[2:3]
	s_and_saveexec_b64 s[2:3], s[0:1]
	s_cbranch_execz .LBB39_43
; %bb.3:
	s_load_dword s0, s[4:5], 0x0
	s_load_dwordx2 s[2:3], s[4:5], 0x10
	s_mov_b32 s8, 0
	s_mov_b32 s9, s8
	;; [unrolled: 1-line block ×3, first 2 shown]
	s_waitcnt lgkmcnt(0)
	s_bitcmp1_b32 s0, 0
	s_cselect_b64 s[0:1], -1, 0
	s_ashr_i32 s7, s6, 31
	s_lshl_b64 s[6:7], s[6:7], 3
	s_mov_b32 s11, s8
	v_mov_b32_e32 v5, s8
	s_add_u32 s2, s2, s6
	v_lshlrev_b32_e32 v17, 4, v0
	v_mov_b32_e32 v6, s9
	v_mov_b32_e32 v7, s10
	;; [unrolled: 1-line block ×3, first 2 shown]
	s_addc_u32 s3, s3, s7
	ds_write_b128 v17, v[5:8]
	ds_write_b128 v17, v[5:8] offset:4096
	ds_write_b128 v17, v[5:8] offset:8192
	;; [unrolled: 1-line block ×3, first 2 shown]
	s_waitcnt lgkmcnt(0)
	s_barrier
	s_load_dwordx4 s[20:23], s[2:3], 0x0
	s_load_dwordx2 s[26:27], s[4:5], 0x58
	s_load_dwordx8 s[12:19], s[4:5], 0x28
	v_subrev_co_u32_e64 v18, s[2:3], s24, v0
	s_waitcnt lgkmcnt(0)
	v_mov_b32_e32 v5, s22
	v_mov_b32_e32 v6, s23
	v_cmp_ge_i64_e32 vcc, s[20:21], v[5:6]
	v_mov_b32_e32 v20, 0
	v_subb_co_u32_e64 v19, s[2:3], 0, 0, s[2:3]
	s_cbranch_vccnz .LBB39_31
; %bb.4:
	s_add_u32 s25, s16, 8
	v_mov_b32_e32 v13, s22
	v_cmp_gt_u32_e64 s[2:3], 64, v0
	v_cmp_gt_u32_e64 s[4:5], 16, v0
	;; [unrolled: 1-line block ×3, first 2 shown]
	v_cmp_eq_u32_e64 s[8:9], 0, v0
	s_addc_u32 s33, s17, 0
	s_movk_i32 s38, 0x100
	v_mov_b32_e32 v14, s23
	s_mov_b64 s[28:29], s[20:21]
	s_branch .LBB39_6
.LBB39_5:                               ;   in Loop: Header=BB39_6 Depth=1
	s_or_b64 exec, exec, s[10:11]
	s_add_u32 s28, s28, 1
	s_addc_u32 s29, s29, 0
	v_cmp_ge_i64_e32 vcc, s[28:29], v[13:14]
	s_cbranch_vccnz .LBB39_31
.LBB39_6:                               ; =>This Loop Header: Depth=1
                                        ;     Child Loop BB39_8 Depth 2
                                        ;     Child Loop BB39_20 Depth 2
	;; [unrolled: 1-line block ×5, first 2 shown]
	s_lshl_b64 s[10:11], s[28:29], 3
	s_add_u32 s10, s12, s10
	s_addc_u32 s11, s13, s11
	s_load_dwordx4 s[40:43], s[10:11], 0x0
	v_mov_b32_e32 v7, 0
	v_mov_b32_e32 v5, 0
	;; [unrolled: 1-line block ×4, first 2 shown]
	s_waitcnt lgkmcnt(0)
	s_sub_u32 s30, s42, s24
	v_mov_b32_e32 v0, s41
	v_add_co_u32_e32 v9, vcc, s40, v18
	s_subb_u32 s31, s43, 0
	v_addc_co_u32_e32 v10, vcc, v0, v19, vcc
	v_cmp_gt_i64_e32 vcc, s[30:31], v[9:10]
	s_and_saveexec_b64 s[34:35], vcc
	s_cbranch_execz .LBB39_10
; %bb.7:                                ;   in Loop: Header=BB39_6 Depth=1
	v_lshlrev_b64 v[5:6], 2, v[9:10]
	v_mov_b32_e32 v0, s15
	v_add_co_u32_e32 v11, vcc, s14, v5
	v_addc_co_u32_e32 v12, vcc, v0, v6, vcc
	v_lshlrev_b64 v[5:6], 4, v[9:10]
	v_mov_b32_e32 v0, s33
	v_add_co_u32_e32 v15, vcc, s25, v5
	v_mov_b32_e32 v7, 0
	v_addc_co_u32_e32 v16, vcc, v0, v6, vcc
	v_mov_b32_e32 v8, 0
	v_mov_b32_e32 v5, v7
	s_mov_b64 s[36:37], 0
	v_mov_b32_e32 v6, v8
.LBB39_8:                               ;   Parent Loop BB39_6 Depth=1
                                        ; =>  This Inner Loop Header: Depth=2
	global_load_dword v0, v[11:12], off
	global_load_dwordx4 v[21:24], v[15:16], off offset:-8
	v_mov_b32_e32 v27, s19
	s_waitcnt vmcnt(1)
	v_subrev_u32_e32 v25, s24, v0
	v_ashrrev_i32_e32 v26, 31, v25
	v_lshlrev_b64 v[25:26], 4, v[25:26]
	s_waitcnt vmcnt(0)
	v_xor_b32_e32 v0, 0x80000000, v24
	v_add_co_u32_e32 v25, vcc, s18, v25
	v_addc_co_u32_e32 v26, vcc, v27, v26, vcc
	global_load_dwordx4 v[25:28], v[25:26], off
	v_cndmask_b32_e64 v24, v24, v0, s[0:1]
	v_add_co_u32_e32 v9, vcc, s38, v9
	v_addc_co_u32_e32 v10, vcc, 0, v10, vcc
	v_add_co_u32_e32 v11, vcc, 0x400, v11
	v_addc_co_u32_e32 v12, vcc, 0, v12, vcc
	v_cmp_le_i64_e64 s[10:11], s[30:31], v[9:10]
	v_add_co_u32_e32 v15, vcc, 0x1000, v15
	s_or_b64 s[36:37], s[10:11], s[36:37]
	v_addc_co_u32_e32 v16, vcc, 0, v16, vcc
	s_waitcnt vmcnt(0)
	v_fma_f64 v[5:6], v[21:22], v[25:26], v[5:6]
	v_fma_f64 v[7:8], v[23:24], v[25:26], v[7:8]
	v_fma_f64 v[5:6], -v[23:24], v[27:28], v[5:6]
	v_fma_f64 v[7:8], v[21:22], v[27:28], v[7:8]
	s_andn2_b64 exec, exec, s[36:37]
	s_cbranch_execnz .LBB39_8
; %bb.9:                                ;   in Loop: Header=BB39_6 Depth=1
	s_or_b64 exec, exec, s[36:37]
.LBB39_10:                              ;   in Loop: Header=BB39_6 Depth=1
	s_or_b64 exec, exec, s[34:35]
	ds_write_b128 v17, v[5:8]
	s_waitcnt lgkmcnt(0)
	s_barrier
	ds_read_b128 v[5:8], v17 offset:4096
	ds_read_b128 v[9:12], v17 offset:8192
	ds_read_b128 v[21:24], v17 offset:12288
	ds_read_b128 v[25:28], v17
	s_waitcnt lgkmcnt(2)
	v_add_f64 v[5:6], v[9:10], v[5:6]
	v_add_f64 v[7:8], v[11:12], v[7:8]
	s_waitcnt lgkmcnt(1)
	v_add_f64 v[5:6], v[5:6], v[21:22]
	v_add_f64 v[7:8], v[7:8], v[23:24]
	;; [unrolled: 3-line block ×3, first 2 shown]
	ds_write_b128 v17, v[5:8]
	s_waitcnt lgkmcnt(0)
	s_barrier
	s_and_saveexec_b64 s[10:11], s[2:3]
	s_cbranch_execz .LBB39_12
; %bb.11:                               ;   in Loop: Header=BB39_6 Depth=1
	ds_read_b128 v[5:8], v17 offset:1024
	ds_read_b128 v[9:12], v17 offset:2048
	ds_read_b128 v[21:24], v17 offset:3072
	ds_read_b128 v[25:28], v17
	s_waitcnt lgkmcnt(2)
	v_add_f64 v[5:6], v[9:10], v[5:6]
	v_add_f64 v[7:8], v[11:12], v[7:8]
	s_waitcnt lgkmcnt(1)
	v_add_f64 v[5:6], v[5:6], v[21:22]
	v_add_f64 v[7:8], v[7:8], v[23:24]
	s_waitcnt lgkmcnt(0)
	v_add_f64 v[5:6], v[5:6], v[25:26]
	v_add_f64 v[7:8], v[7:8], v[27:28]
	ds_write_b128 v17, v[5:8]
.LBB39_12:                              ;   in Loop: Header=BB39_6 Depth=1
	s_or_b64 exec, exec, s[10:11]
	s_waitcnt lgkmcnt(0)
	s_barrier
	s_and_saveexec_b64 s[10:11], s[4:5]
	s_cbranch_execz .LBB39_14
; %bb.13:                               ;   in Loop: Header=BB39_6 Depth=1
	ds_read_b128 v[5:8], v17 offset:256
	ds_read_b128 v[9:12], v17 offset:512
	ds_read_b128 v[21:24], v17 offset:768
	ds_read_b128 v[25:28], v17
	s_waitcnt lgkmcnt(2)
	v_add_f64 v[5:6], v[9:10], v[5:6]
	v_add_f64 v[7:8], v[11:12], v[7:8]
	s_waitcnt lgkmcnt(1)
	v_add_f64 v[5:6], v[5:6], v[21:22]
	v_add_f64 v[7:8], v[7:8], v[23:24]
	s_waitcnt lgkmcnt(0)
	v_add_f64 v[5:6], v[5:6], v[25:26]
	v_add_f64 v[7:8], v[7:8], v[27:28]
	ds_write_b128 v17, v[5:8]
.LBB39_14:                              ;   in Loop: Header=BB39_6 Depth=1
	s_or_b64 exec, exec, s[10:11]
	;; [unrolled: 21-line block ×4, first 2 shown]
	s_waitcnt lgkmcnt(0)
	s_barrier
	s_and_saveexec_b64 s[10:11], s[8:9]
	s_cbranch_execz .LBB39_5
; %bb.19:                               ;   in Loop: Header=BB39_6 Depth=1
	ds_read_b128 v[5:8], v20
	v_mov_b32_e32 v15, 0
	s_mov_b64 s[30:31], exec
	v_bfrev_b32_e32 v16, 1
	s_waitcnt lgkmcnt(0)
	v_mul_f64 v[9:10], v[7:8], -v[3:4]
	v_fma_f64 v[9:10], v[1:2], v[5:6], v[9:10]
.LBB39_20:                              ;   Parent Loop BB39_6 Depth=1
                                        ; =>  This Inner Loop Header: Depth=2
	s_ff1_i32_b64 s36, s[30:31]
	v_readlane_b32 s35, v10, s36
	v_readlane_b32 s34, v9, s36
	v_add_f64 v[15:16], v[15:16], s[34:35]
	s_lshl_b64 s[34:35], 1, s36
	s_andn2_b64 s[30:31], s[30:31], s[34:35]
	s_cmp_lg_u64 s[30:31], 0
	s_cbranch_scc1 .LBB39_20
; %bb.21:                               ;   in Loop: Header=BB39_6 Depth=1
	s_lshl_b64 s[30:31], s[28:29], 4
	v_mbcnt_lo_u32_b32 v0, exec_lo, 0
	s_add_u32 s30, s26, s30
	v_mbcnt_hi_u32_b32 v0, exec_hi, v0
	s_addc_u32 s31, s27, s31
	v_cmp_eq_u32_e32 vcc, 0, v0
	s_and_saveexec_b64 s[34:35], vcc
	s_xor_b64 s[34:35], exec, s[34:35]
	s_cbranch_execz .LBB39_25
; %bb.22:                               ;   in Loop: Header=BB39_6 Depth=1
	global_load_dwordx2 v[11:12], v20, s[30:31]
	s_mov_b64 s[36:37], 0
.LBB39_23:                              ;   Parent Loop BB39_6 Depth=1
                                        ; =>  This Inner Loop Header: Depth=2
	s_waitcnt vmcnt(0)
	v_add_f64 v[9:10], v[11:12], v[15:16]
	global_atomic_cmpswap_x2 v[9:10], v20, v[9:12], s[30:31] glc
	s_waitcnt vmcnt(0)
	v_cmp_eq_u64_e32 vcc, v[9:10], v[11:12]
	v_mov_b32_e32 v12, v10
	s_or_b64 s[36:37], vcc, s[36:37]
	v_mov_b32_e32 v11, v9
	s_andn2_b64 exec, exec, s[36:37]
	s_cbranch_execnz .LBB39_23
; %bb.24:                               ;   in Loop: Header=BB39_6 Depth=1
	s_or_b64 exec, exec, s[36:37]
.LBB39_25:                              ;   in Loop: Header=BB39_6 Depth=1
	s_or_b64 exec, exec, s[34:35]
	v_mul_f64 v[7:8], v[1:2], v[7:8]
	v_mov_b32_e32 v9, 0
	s_mov_b64 s[34:35], exec
	v_bfrev_b32_e32 v10, 1
	v_fma_f64 v[5:6], v[3:4], v[5:6], v[7:8]
.LBB39_26:                              ;   Parent Loop BB39_6 Depth=1
                                        ; =>  This Inner Loop Header: Depth=2
	s_ff1_i32_b64 s39, s[34:35]
	v_readlane_b32 s37, v6, s39
	v_readlane_b32 s36, v5, s39
	v_add_f64 v[9:10], v[9:10], s[36:37]
	s_lshl_b64 s[36:37], 1, s39
	s_andn2_b64 s[34:35], s[34:35], s[36:37]
	s_cmp_lg_u64 s[34:35], 0
	s_cbranch_scc1 .LBB39_26
; %bb.27:                               ;   in Loop: Header=BB39_6 Depth=1
	v_mbcnt_lo_u32_b32 v0, exec_lo, 0
	v_mbcnt_hi_u32_b32 v0, exec_hi, v0
	v_cmp_eq_u32_e32 vcc, 0, v0
	s_and_saveexec_b64 s[34:35], vcc
	s_xor_b64 s[34:35], exec, s[34:35]
	s_cbranch_execz .LBB39_5
; %bb.28:                               ;   in Loop: Header=BB39_6 Depth=1
	global_load_dwordx2 v[7:8], v20, s[30:31] offset:8
	s_mov_b64 s[34:35], 0
.LBB39_29:                              ;   Parent Loop BB39_6 Depth=1
                                        ; =>  This Inner Loop Header: Depth=2
	s_waitcnt vmcnt(0)
	v_add_f64 v[5:6], v[7:8], v[9:10]
	global_atomic_cmpswap_x2 v[5:6], v20, v[5:8], s[30:31] offset:8 glc
	s_waitcnt vmcnt(0)
	v_cmp_eq_u64_e32 vcc, v[5:6], v[7:8]
	v_mov_b32_e32 v8, v6
	s_or_b64 s[34:35], vcc, s[34:35]
	v_mov_b32_e32 v7, v5
	s_andn2_b64 exec, exec, s[34:35]
	s_cbranch_execnz .LBB39_29
; %bb.30:                               ;   in Loop: Header=BB39_6 Depth=1
	s_or_b64 exec, exec, s[34:35]
	s_branch .LBB39_5
.LBB39_31:
	s_lshl_b64 s[2:3], s[20:21], 3
	s_add_u32 s2, s12, s2
	s_addc_u32 s3, s13, s3
	s_lshl_b64 s[4:5], s[22:23], 3
	s_add_u32 s4, s12, s4
	s_addc_u32 s5, s13, s5
	s_load_dwordx2 s[8:9], s[2:3], 0x0
	s_load_dwordx2 s[6:7], s[4:5], 0x0
	s_waitcnt lgkmcnt(0)
	v_mov_b32_e32 v0, s9
	s_sub_u32 s6, s6, s24
	v_add_co_u32_e32 v13, vcc, s8, v18
	s_subb_u32 s7, s7, 0
	v_addc_co_u32_e32 v14, vcc, v0, v19, vcc
	v_cmp_gt_i64_e32 vcc, s[6:7], v[13:14]
	s_and_b64 exec, exec, vcc
	s_cbranch_execz .LBB39_43
; %bb.32:
	s_add_u32 s8, s22, -1
	s_addc_u32 s9, s23, -1
	v_mov_b32_e32 v5, s8
	s_add_u32 s2, s22, -2
	v_mov_b32_e32 v6, s9
	s_addc_u32 s3, s23, -1
	v_cmp_lt_i64_e32 vcc, s[20:21], v[5:6]
	s_cmp_lg_u64 s[20:21], s[2:3]
	s_cselect_b64 s[2:3], -1, 0
	s_and_b64 s[2:3], vcc, s[2:3]
	v_cndmask_b32_e64 v0, 0, 1, s[2:3]
	s_mov_b64 s[10:11], 0
	v_cmp_ne_u32_e64 s[2:3], 1, v0
	v_mov_b32_e32 v0, s13
	v_mov_b32_e32 v23, s15
	s_branch .LBB39_34
.LBB39_33:                              ;   in Loop: Header=BB39_34 Depth=1
	s_or_b64 exec, exec, s[4:5]
	v_add_co_u32_e32 v13, vcc, 0x100, v13
	v_addc_co_u32_e32 v14, vcc, 0, v14, vcc
	v_cmp_le_i64_e32 vcc, s[6:7], v[13:14]
	s_or_b64 s[10:11], vcc, s[10:11]
	s_andn2_b64 exec, exec, s[10:11]
	s_cbranch_execz .LBB39_43
.LBB39_34:                              ; =>This Loop Header: Depth=1
                                        ;     Child Loop BB39_36 Depth 2
                                        ;     Child Loop BB39_40 Depth 2
	;; [unrolled: 1-line block ×3, first 2 shown]
	v_mov_b32_e32 v5, s20
	v_mov_b32_e32 v7, s8
	s_and_b64 vcc, exec, s[2:3]
	v_mov_b32_e32 v6, s21
	v_mov_b32_e32 v8, s9
	s_cbranch_vccnz .LBB39_38
; %bb.35:                               ;   in Loop: Header=BB39_34 Depth=1
	v_mov_b32_e32 v5, s20
	v_mov_b32_e32 v7, s8
	s_mov_b64 s[22:23], 0
	v_mov_b32_e32 v6, s21
	v_mov_b32_e32 v8, s9
.LBB39_36:                              ;   Parent Loop BB39_34 Depth=1
                                        ; =>  This Inner Loop Header: Depth=2
	v_add_co_u32_e32 v9, vcc, v7, v5
	v_addc_co_u32_e32 v10, vcc, v8, v6, vcc
	v_lshrrev_b32_e32 v11, 31, v10
	v_add_co_u32_e32 v9, vcc, v9, v11
	v_addc_co_u32_e32 v10, vcc, 0, v10, vcc
	v_ashrrev_i64 v[9:10], 1, v[9:10]
	v_mov_b32_e32 v15, s13
	v_lshlrev_b64 v[11:12], 3, v[9:10]
	v_add_co_u32_e32 v11, vcc, s12, v11
	v_addc_co_u32_e32 v12, vcc, v15, v12, vcc
	global_load_dwordx2 v[11:12], v[11:12], off
	s_waitcnt vmcnt(0)
	v_subrev_co_u32_e32 v11, vcc, s24, v11
	v_subbrev_co_u32_e32 v12, vcc, 0, v12, vcc
	v_cmp_lt_i64_e32 vcc, v[13:14], v[11:12]
	v_cndmask_b32_e32 v7, v7, v9, vcc
	v_cndmask_b32_e32 v8, v8, v10, vcc
	;; [unrolled: 1-line block ×3, first 2 shown]
	v_add_co_u32_e64 v9, s[4:5], -1, v7
	v_cndmask_b32_e32 v6, v10, v6, vcc
	v_addc_co_u32_e64 v10, s[4:5], -1, v8, s[4:5]
	v_cmp_ge_i64_e32 vcc, v[5:6], v[7:8]
	v_cmp_eq_u64_e64 s[4:5], v[5:6], v[9:10]
	s_or_b64 s[4:5], vcc, s[4:5]
	s_and_b64 s[4:5], exec, s[4:5]
	s_or_b64 s[22:23], s[4:5], s[22:23]
	s_andn2_b64 exec, exec, s[22:23]
	s_cbranch_execnz .LBB39_36
; %bb.37:                               ;   in Loop: Header=BB39_34 Depth=1
	s_or_b64 exec, exec, s[22:23]
.LBB39_38:                              ;   in Loop: Header=BB39_34 Depth=1
	v_lshlrev_b64 v[9:10], 3, v[7:8]
	v_lshlrev_b64 v[11:12], 2, v[13:14]
	v_add_co_u32_e32 v9, vcc, s12, v9
	v_addc_co_u32_e32 v10, vcc, v0, v10, vcc
	global_load_dwordx2 v[9:10], v[9:10], off
	v_add_co_u32_e32 v11, vcc, s14, v11
	v_addc_co_u32_e32 v12, vcc, v23, v12, vcc
	global_load_dword v15, v[11:12], off
	s_waitcnt vmcnt(1)
	v_subrev_co_u32_e32 v11, vcc, s24, v9
	v_subbrev_co_u32_e32 v12, vcc, 0, v10, vcc
	v_cmp_lt_i64_e32 vcc, v[13:14], v[11:12]
	s_waitcnt vmcnt(0)
	v_subrev_u32_e32 v9, s24, v15
	v_cndmask_b32_e32 v6, v8, v6, vcc
	v_cndmask_b32_e32 v5, v7, v5, vcc
	v_ashrrev_i32_e32 v10, 31, v9
	v_cmp_ne_u64_e32 vcc, v[5:6], v[9:10]
	s_and_saveexec_b64 s[4:5], vcc
	s_cbranch_execz .LBB39_33
; %bb.39:                               ;   in Loop: Header=BB39_34 Depth=1
	v_lshlrev_b64 v[7:8], 4, v[13:14]
	v_mov_b32_e32 v11, s17
	v_add_co_u32_e32 v7, vcc, s16, v7
	v_addc_co_u32_e32 v8, vcc, v11, v8, vcc
	global_load_dwordx4 v[19:22], v[7:8], off
	v_lshlrev_b64 v[5:6], 4, v[5:6]
	v_mov_b32_e32 v7, s19
	v_add_co_u32_e32 v5, vcc, s18, v5
	v_addc_co_u32_e32 v6, vcc, v7, v6, vcc
	global_load_dwordx4 v[5:8], v[5:6], off
	v_lshlrev_b64 v[9:10], 4, v[9:10]
	v_mov_b32_e32 v11, s27
	v_add_co_u32_e32 v15, vcc, s26, v9
	v_addc_co_u32_e32 v16, vcc, v11, v10, vcc
	global_load_dwordx2 v[11:12], v[15:16], off
	s_mov_b64 s[22:23], 0
	s_waitcnt vmcnt(2)
	v_xor_b32_e32 v9, 0x80000000, v22
	v_cndmask_b32_e64 v22, v22, v9, s[0:1]
	v_mul_f64 v[9:10], v[1:2], v[21:22]
	v_mul_f64 v[21:22], v[21:22], -v[3:4]
	v_fma_f64 v[17:18], v[3:4], v[19:20], v[9:10]
	v_fma_f64 v[19:20], v[1:2], v[19:20], v[21:22]
	s_waitcnt vmcnt(1)
	v_mul_f64 v[9:10], v[7:8], -v[17:18]
	v_fma_f64 v[21:22], v[19:20], v[5:6], v[9:10]
.LBB39_40:                              ;   Parent Loop BB39_34 Depth=1
                                        ; =>  This Inner Loop Header: Depth=2
	s_waitcnt vmcnt(0)
	v_add_f64 v[9:10], v[11:12], v[21:22]
	global_atomic_cmpswap_x2 v[9:10], v[15:16], v[9:12], off glc
	s_waitcnt vmcnt(0)
	v_cmp_eq_u64_e32 vcc, v[9:10], v[11:12]
	v_mov_b32_e32 v12, v10
	s_or_b64 s[22:23], vcc, s[22:23]
	v_mov_b32_e32 v11, v9
	s_andn2_b64 exec, exec, s[22:23]
	s_cbranch_execnz .LBB39_40
; %bb.41:                               ;   in Loop: Header=BB39_34 Depth=1
	s_or_b64 exec, exec, s[22:23]
	global_load_dwordx2 v[9:10], v[15:16], off offset:8
	v_mul_f64 v[7:8], v[7:8], v[19:20]
	s_mov_b64 s[22:23], 0
	v_fma_f64 v[5:6], v[17:18], v[5:6], v[7:8]
.LBB39_42:                              ;   Parent Loop BB39_34 Depth=1
                                        ; =>  This Inner Loop Header: Depth=2
	s_waitcnt vmcnt(0)
	v_add_f64 v[7:8], v[9:10], v[5:6]
	global_atomic_cmpswap_x2 v[7:8], v[15:16], v[7:10], off offset:8 glc
	s_waitcnt vmcnt(0)
	v_cmp_eq_u64_e32 vcc, v[7:8], v[9:10]
	v_mov_b32_e32 v10, v8
	s_or_b64 s[22:23], vcc, s[22:23]
	v_mov_b32_e32 v9, v7
	s_andn2_b64 exec, exec, s[22:23]
	s_cbranch_execnz .LBB39_42
	s_branch .LBB39_33
.LBB39_43:
	s_endpgm
	.section	.rodata,"a",@progbits
	.p2align	6, 0x0
	.amdhsa_kernel _ZL33csrmvn_symm_large_adaptive_kernelIli21rocsparse_complex_numIdES1_S1_S1_EvbT_PKS2_N9rocsparse24const_host_device_scalarIT4_EES4_PKT0_PKT1_PKT2_S8_PT3_21rocsparse_index_base_b
		.amdhsa_group_segment_fixed_size 16384
		.amdhsa_private_segment_fixed_size 0
		.amdhsa_kernarg_size 104
		.amdhsa_user_sgpr_count 6
		.amdhsa_user_sgpr_private_segment_buffer 1
		.amdhsa_user_sgpr_dispatch_ptr 0
		.amdhsa_user_sgpr_queue_ptr 0
		.amdhsa_user_sgpr_kernarg_segment_ptr 1
		.amdhsa_user_sgpr_dispatch_id 0
		.amdhsa_user_sgpr_flat_scratch_init 0
		.amdhsa_user_sgpr_private_segment_size 0
		.amdhsa_uses_dynamic_stack 0
		.amdhsa_system_sgpr_private_segment_wavefront_offset 0
		.amdhsa_system_sgpr_workgroup_id_x 1
		.amdhsa_system_sgpr_workgroup_id_y 0
		.amdhsa_system_sgpr_workgroup_id_z 0
		.amdhsa_system_sgpr_workgroup_info 0
		.amdhsa_system_vgpr_workitem_id 0
		.amdhsa_next_free_vgpr 49
		.amdhsa_next_free_sgpr 98
		.amdhsa_reserve_vcc 1
		.amdhsa_reserve_flat_scratch 0
		.amdhsa_float_round_mode_32 0
		.amdhsa_float_round_mode_16_64 0
		.amdhsa_float_denorm_mode_32 3
		.amdhsa_float_denorm_mode_16_64 3
		.amdhsa_dx10_clamp 1
		.amdhsa_ieee_mode 1
		.amdhsa_fp16_overflow 0
		.amdhsa_exception_fp_ieee_invalid_op 0
		.amdhsa_exception_fp_denorm_src 0
		.amdhsa_exception_fp_ieee_div_zero 0
		.amdhsa_exception_fp_ieee_overflow 0
		.amdhsa_exception_fp_ieee_underflow 0
		.amdhsa_exception_fp_ieee_inexact 0
		.amdhsa_exception_int_div_zero 0
	.end_amdhsa_kernel
	.section	.text._ZL33csrmvn_symm_large_adaptive_kernelIli21rocsparse_complex_numIdES1_S1_S1_EvbT_PKS2_N9rocsparse24const_host_device_scalarIT4_EES4_PKT0_PKT1_PKT2_S8_PT3_21rocsparse_index_base_b,"axG",@progbits,_ZL33csrmvn_symm_large_adaptive_kernelIli21rocsparse_complex_numIdES1_S1_S1_EvbT_PKS2_N9rocsparse24const_host_device_scalarIT4_EES4_PKT0_PKT1_PKT2_S8_PT3_21rocsparse_index_base_b,comdat
.Lfunc_end39:
	.size	_ZL33csrmvn_symm_large_adaptive_kernelIli21rocsparse_complex_numIdES1_S1_S1_EvbT_PKS2_N9rocsparse24const_host_device_scalarIT4_EES4_PKT0_PKT1_PKT2_S8_PT3_21rocsparse_index_base_b, .Lfunc_end39-_ZL33csrmvn_symm_large_adaptive_kernelIli21rocsparse_complex_numIdES1_S1_S1_EvbT_PKS2_N9rocsparse24const_host_device_scalarIT4_EES4_PKT0_PKT1_PKT2_S8_PT3_21rocsparse_index_base_b
                                        ; -- End function
	.set _ZL33csrmvn_symm_large_adaptive_kernelIli21rocsparse_complex_numIdES1_S1_S1_EvbT_PKS2_N9rocsparse24const_host_device_scalarIT4_EES4_PKT0_PKT1_PKT2_S8_PT3_21rocsparse_index_base_b.num_vgpr, 29
	.set _ZL33csrmvn_symm_large_adaptive_kernelIli21rocsparse_complex_numIdES1_S1_S1_EvbT_PKS2_N9rocsparse24const_host_device_scalarIT4_EES4_PKT0_PKT1_PKT2_S8_PT3_21rocsparse_index_base_b.num_agpr, 0
	.set _ZL33csrmvn_symm_large_adaptive_kernelIli21rocsparse_complex_numIdES1_S1_S1_EvbT_PKS2_N9rocsparse24const_host_device_scalarIT4_EES4_PKT0_PKT1_PKT2_S8_PT3_21rocsparse_index_base_b.numbered_sgpr, 44
	.set _ZL33csrmvn_symm_large_adaptive_kernelIli21rocsparse_complex_numIdES1_S1_S1_EvbT_PKS2_N9rocsparse24const_host_device_scalarIT4_EES4_PKT0_PKT1_PKT2_S8_PT3_21rocsparse_index_base_b.num_named_barrier, 0
	.set _ZL33csrmvn_symm_large_adaptive_kernelIli21rocsparse_complex_numIdES1_S1_S1_EvbT_PKS2_N9rocsparse24const_host_device_scalarIT4_EES4_PKT0_PKT1_PKT2_S8_PT3_21rocsparse_index_base_b.private_seg_size, 0
	.set _ZL33csrmvn_symm_large_adaptive_kernelIli21rocsparse_complex_numIdES1_S1_S1_EvbT_PKS2_N9rocsparse24const_host_device_scalarIT4_EES4_PKT0_PKT1_PKT2_S8_PT3_21rocsparse_index_base_b.uses_vcc, 1
	.set _ZL33csrmvn_symm_large_adaptive_kernelIli21rocsparse_complex_numIdES1_S1_S1_EvbT_PKS2_N9rocsparse24const_host_device_scalarIT4_EES4_PKT0_PKT1_PKT2_S8_PT3_21rocsparse_index_base_b.uses_flat_scratch, 0
	.set _ZL33csrmvn_symm_large_adaptive_kernelIli21rocsparse_complex_numIdES1_S1_S1_EvbT_PKS2_N9rocsparse24const_host_device_scalarIT4_EES4_PKT0_PKT1_PKT2_S8_PT3_21rocsparse_index_base_b.has_dyn_sized_stack, 0
	.set _ZL33csrmvn_symm_large_adaptive_kernelIli21rocsparse_complex_numIdES1_S1_S1_EvbT_PKS2_N9rocsparse24const_host_device_scalarIT4_EES4_PKT0_PKT1_PKT2_S8_PT3_21rocsparse_index_base_b.has_recursion, 0
	.set _ZL33csrmvn_symm_large_adaptive_kernelIli21rocsparse_complex_numIdES1_S1_S1_EvbT_PKS2_N9rocsparse24const_host_device_scalarIT4_EES4_PKT0_PKT1_PKT2_S8_PT3_21rocsparse_index_base_b.has_indirect_call, 0
	.section	.AMDGPU.csdata,"",@progbits
; Kernel info:
; codeLenInByte = 2488
; TotalNumSgprs: 48
; NumVgprs: 29
; ScratchSize: 0
; MemoryBound: 0
; FloatMode: 240
; IeeeMode: 1
; LDSByteSize: 16384 bytes/workgroup (compile time only)
; SGPRBlocks: 12
; VGPRBlocks: 12
; NumSGPRsForWavesPerEU: 102
; NumVGPRsForWavesPerEU: 49
; Occupancy: 4
; WaveLimiterHint : 1
; COMPUTE_PGM_RSRC2:SCRATCH_EN: 0
; COMPUTE_PGM_RSRC2:USER_SGPR: 6
; COMPUTE_PGM_RSRC2:TRAP_HANDLER: 0
; COMPUTE_PGM_RSRC2:TGID_X_EN: 1
; COMPUTE_PGM_RSRC2:TGID_Y_EN: 0
; COMPUTE_PGM_RSRC2:TGID_Z_EN: 0
; COMPUTE_PGM_RSRC2:TIDIG_COMP_CNT: 0
	.section	.text._ZN9rocsparseL22csrmvn_adaptive_kernelIll21rocsparse_complex_numIdES2_S2_S2_EEvbT_PKS3_PjPKT0_NS_24const_host_device_scalarIT4_EES5_S9_PKT1_PKT2_SC_PT3_21rocsparse_index_base_b,"axG",@progbits,_ZN9rocsparseL22csrmvn_adaptive_kernelIll21rocsparse_complex_numIdES2_S2_S2_EEvbT_PKS3_PjPKT0_NS_24const_host_device_scalarIT4_EES5_S9_PKT1_PKT2_SC_PT3_21rocsparse_index_base_b,comdat
	.globl	_ZN9rocsparseL22csrmvn_adaptive_kernelIll21rocsparse_complex_numIdES2_S2_S2_EEvbT_PKS3_PjPKT0_NS_24const_host_device_scalarIT4_EES5_S9_PKT1_PKT2_SC_PT3_21rocsparse_index_base_b ; -- Begin function _ZN9rocsparseL22csrmvn_adaptive_kernelIll21rocsparse_complex_numIdES2_S2_S2_EEvbT_PKS3_PjPKT0_NS_24const_host_device_scalarIT4_EES5_S9_PKT1_PKT2_SC_PT3_21rocsparse_index_base_b
	.p2align	8
	.type	_ZN9rocsparseL22csrmvn_adaptive_kernelIll21rocsparse_complex_numIdES2_S2_S2_EEvbT_PKS3_PjPKT0_NS_24const_host_device_scalarIT4_EES5_S9_PKT1_PKT2_SC_PT3_21rocsparse_index_base_b,@function
_ZN9rocsparseL22csrmvn_adaptive_kernelIll21rocsparse_complex_numIdES2_S2_S2_EEvbT_PKS3_PjPKT0_NS_24const_host_device_scalarIT4_EES5_S9_PKT1_PKT2_SC_PT3_21rocsparse_index_base_b: ; @_ZN9rocsparseL22csrmvn_adaptive_kernelIll21rocsparse_complex_numIdES2_S2_S2_EEvbT_PKS3_PjPKT0_NS_24const_host_device_scalarIT4_EES5_S9_PKT1_PKT2_SC_PT3_21rocsparse_index_base_b
; %bb.0:
	s_load_dwordx2 s[0:1], s[4:5], 0x28
	s_load_dwordx2 s[46:47], s[4:5], 0x70
	s_add_u32 s7, s4, 40
	s_addc_u32 s8, s5, 0
	s_add_u32 s9, s4, 0x58
	s_addc_u32 s10, s5, 0
	s_waitcnt lgkmcnt(0)
	s_bitcmp1_b32 s47, 0
	s_cselect_b32 s1, s8, s1
	s_cselect_b32 s0, s7, s0
	v_mov_b32_e32 v1, s0
	v_mov_b32_e32 v2, s1
	flat_load_dwordx4 v[5:8], v[1:2]
	s_load_dwordx2 s[2:3], s[4:5], 0x58
	s_waitcnt lgkmcnt(0)
	s_cselect_b32 s0, s10, s3
	s_cselect_b32 s1, s9, s2
	v_mov_b32_e32 v1, s1
	v_mov_b32_e32 v2, s0
	flat_load_dwordx4 v[1:4], v[1:2]
	s_waitcnt vmcnt(0)
	v_cmp_eq_f64_e32 vcc, 0, v[5:6]
	v_cmp_eq_f64_e64 s[0:1], 0, v[7:8]
	s_and_b64 s[8:9], vcc, s[0:1]
	s_mov_b64 s[0:1], -1
	s_and_saveexec_b64 s[2:3], s[8:9]
	s_cbranch_execz .LBB40_2
; %bb.1:
	s_waitcnt lgkmcnt(0)
	v_cmp_neq_f64_e32 vcc, 1.0, v[1:2]
	v_cmp_neq_f64_e64 s[0:1], 0, v[3:4]
	s_or_b64 s[0:1], vcc, s[0:1]
	s_orn2_b64 s[0:1], s[0:1], exec
.LBB40_2:
	s_or_b64 exec, exec, s[2:3]
	s_and_saveexec_b64 s[2:3], s[0:1]
	s_cbranch_execz .LBB40_116
; %bb.3:
	s_load_dwordx2 s[8:9], s[4:5], 0x20
	s_load_dword s0, s[4:5], 0x0
	s_load_dwordx2 s[2:3], s[4:5], 0x10
	s_waitcnt lgkmcnt(0)
	s_bitcmp1_b32 s0, 0
	s_cselect_b64 s[0:1], -1, 0
	s_ashr_i32 s7, s6, 31
	s_lshl_b64 s[10:11], s[6:7], 3
	s_add_u32 s2, s2, s10
	s_addc_u32 s3, s3, s11
	s_load_dwordx4 s[36:39], s[2:3], 0x0
	s_load_dwordx2 s[34:35], s[4:5], 0x68
	s_load_dwordx8 s[24:31], s[4:5], 0x38
	s_waitcnt lgkmcnt(0)
	s_sub_u32 s2, s38, s36
	s_subb_u32 s3, s39, s37
	s_add_u32 s8, s8, s10
	s_addc_u32 s9, s9, s11
	s_lshl_b64 s[10:11], s[36:37], 3
	s_add_u32 s44, s24, s10
	s_addc_u32 s45, s25, s11
	s_load_dwordx2 s[40:41], s[8:9], 0x0
	s_load_dwordx2 s[42:43], s[44:45], 0x0
	v_cmp_lt_i64_e64 s[10:11], s[2:3], 2
	s_mov_b64 s[8:9], -1
	s_and_b64 vcc, exec, s[10:11]
	s_cbranch_vccz .LBB40_72
; %bb.4:
	s_cmp_lg_u64 s[2:3], 1
	s_cselect_b64 s[2:3], -1, 0
	s_waitcnt lgkmcnt(0)
	s_cmp_lg_u64 s[40:41], 0
	s_cselect_b64 s[8:9], -1, 0
	s_or_b64 s[2:3], s[2:3], s[8:9]
	s_mov_b64 s[20:21], -1
	s_and_b64 vcc, exec, s[2:3]
	v_cmp_gt_u32_e64 s[2:3], 64, v0
	v_cmp_gt_u32_e64 s[8:9], 32, v0
	;; [unrolled: 1-line block ×6, first 2 shown]
	v_cmp_eq_u32_e64 s[18:19], 0, v0
	s_cbranch_vccnz .LBB40_32
; %bb.5:
	v_cmp_neq_f64_e32 vcc, 0, v[1:2]
	v_cmp_neq_f64_e64 s[22:23], 0, v[3:4]
	v_subrev_co_u32_e64 v22, s[20:21], s46, v0
	v_subb_co_u32_e64 v23, s[20:21], 0, 0, s[20:21]
	s_movk_i32 s20, 0x80
	v_mov_b32_e32 v13, s38
	v_mov_b32_e32 v21, 0
	s_or_b64 s[48:49], vcc, s[22:23]
	s_add_u32 s33, s28, 8
	v_lshlrev_b32_e32 v24, 4, v0
	v_cmp_gt_u32_e64 s[20:21], s20, v0
	s_addc_u32 s47, s29, 0
	s_movk_i32 s58, 0x100
	v_mov_b32_e32 v14, s39
	s_mov_b64 s[50:51], s[36:37]
	s_branch .LBB40_8
.LBB40_6:                               ;   in Loop: Header=BB40_8 Depth=1
	s_or_b64 exec, exec, s[52:53]
	s_lshl_b64 s[52:53], s[50:51], 4
	s_add_u32 s52, s34, s52
	s_addc_u32 s53, s35, s53
	s_waitcnt lgkmcnt(0)
	global_store_dwordx4 v21, v[9:12], s[52:53]
.LBB40_7:                               ;   in Loop: Header=BB40_8 Depth=1
	s_or_b64 exec, exec, s[22:23]
	s_add_u32 s50, s50, 1
	s_addc_u32 s51, s51, 0
	v_cmp_ge_i64_e32 vcc, s[50:51], v[13:14]
	s_cbranch_vccnz .LBB40_31
.LBB40_8:                               ; =>This Loop Header: Depth=1
                                        ;     Child Loop BB40_10 Depth 2
	s_lshl_b64 s[22:23], s[50:51], 3
	s_add_u32 s22, s24, s22
	s_addc_u32 s23, s25, s23
	s_load_dwordx4 s[60:63], s[22:23], 0x0
	v_mov_b32_e32 v11, 0
	v_mov_b32_e32 v12, 0
	s_waitcnt lgkmcnt(0)
	s_sub_u32 s52, s62, s46
	v_mov_b32_e32 v9, s61
	v_add_co_u32_e32 v15, vcc, s60, v22
	s_subb_u32 s53, s63, 0
	v_addc_co_u32_e32 v16, vcc, v9, v23, vcc
	v_cmp_gt_i64_e32 vcc, s[52:53], v[15:16]
	v_mov_b32_e32 v9, 0
	v_mov_b32_e32 v10, 0
	s_and_saveexec_b64 s[54:55], vcc
	s_cbranch_execz .LBB40_12
; %bb.9:                                ;   in Loop: Header=BB40_8 Depth=1
	v_lshlrev_b64 v[9:10], 4, v[15:16]
	v_mov_b32_e32 v11, s47
	v_add_co_u32_e32 v17, vcc, s33, v9
	v_addc_co_u32_e32 v18, vcc, v11, v10, vcc
	v_lshlrev_b64 v[9:10], 3, v[15:16]
	v_mov_b32_e32 v11, s27
	v_add_co_u32_e32 v19, vcc, s26, v9
	v_addc_co_u32_e32 v20, vcc, v11, v10, vcc
	v_mov_b32_e32 v11, 0
	v_mov_b32_e32 v12, 0
	;; [unrolled: 1-line block ×3, first 2 shown]
	s_mov_b64 s[56:57], 0
	v_mov_b32_e32 v10, v12
.LBB40_10:                              ;   Parent Loop BB40_8 Depth=1
                                        ; =>  This Inner Loop Header: Depth=2
	global_load_dwordx2 v[29:30], v[19:20], off
	global_load_dwordx4 v[25:28], v[17:18], off offset:-8
	v_mov_b32_e32 v31, s31
	s_waitcnt vmcnt(1)
	v_subrev_co_u32_e32 v29, vcc, s46, v29
	v_subbrev_co_u32_e32 v30, vcc, 0, v30, vcc
	v_lshlrev_b64 v[29:30], 4, v[29:30]
	s_waitcnt vmcnt(0)
	v_xor_b32_e32 v33, 0x80000000, v28
	v_add_co_u32_e32 v29, vcc, s30, v29
	v_addc_co_u32_e32 v30, vcc, v31, v30, vcc
	global_load_dwordx4 v[29:32], v[29:30], off
	v_cndmask_b32_e64 v28, v28, v33, s[0:1]
	v_mul_f64 v[33:34], v[27:28], -v[7:8]
	v_mul_f64 v[27:28], v[5:6], v[27:28]
	v_add_co_u32_e32 v15, vcc, s58, v15
	v_addc_co_u32_e32 v16, vcc, 0, v16, vcc
	v_add_co_u32_e32 v17, vcc, 0x1000, v17
	v_fma_f64 v[33:34], v[5:6], v[25:26], v[33:34]
	v_fma_f64 v[25:26], v[7:8], v[25:26], v[27:28]
	v_addc_co_u32_e32 v18, vcc, 0, v18, vcc
	v_cmp_le_i64_e64 s[22:23], s[52:53], v[15:16]
	v_add_co_u32_e32 v19, vcc, 0x800, v19
	s_or_b64 s[56:57], s[22:23], s[56:57]
	v_addc_co_u32_e32 v20, vcc, 0, v20, vcc
	s_waitcnt vmcnt(0)
	v_fma_f64 v[9:10], v[33:34], v[29:30], v[9:10]
	v_fma_f64 v[11:12], v[25:26], v[29:30], v[11:12]
	v_fma_f64 v[9:10], -v[25:26], v[31:32], v[9:10]
	v_fma_f64 v[11:12], v[33:34], v[31:32], v[11:12]
	s_andn2_b64 exec, exec, s[56:57]
	s_cbranch_execnz .LBB40_10
; %bb.11:                               ;   in Loop: Header=BB40_8 Depth=1
	s_or_b64 exec, exec, s[56:57]
.LBB40_12:                              ;   in Loop: Header=BB40_8 Depth=1
	s_or_b64 exec, exec, s[54:55]
	ds_write_b128 v24, v[9:12]
	s_waitcnt vmcnt(0) lgkmcnt(0)
	s_barrier
	s_and_saveexec_b64 s[22:23], s[20:21]
	s_cbranch_execz .LBB40_14
; %bb.13:                               ;   in Loop: Header=BB40_8 Depth=1
	ds_read_b128 v[9:12], v24 offset:2048
	ds_read_b128 v[15:18], v24
	s_waitcnt lgkmcnt(0)
	v_add_f64 v[9:10], v[9:10], v[15:16]
	v_add_f64 v[11:12], v[11:12], v[17:18]
	ds_write_b128 v24, v[9:12]
.LBB40_14:                              ;   in Loop: Header=BB40_8 Depth=1
	s_or_b64 exec, exec, s[22:23]
	s_waitcnt lgkmcnt(0)
	s_barrier
	s_and_saveexec_b64 s[22:23], s[2:3]
	s_cbranch_execz .LBB40_16
; %bb.15:                               ;   in Loop: Header=BB40_8 Depth=1
	ds_read_b128 v[9:12], v24 offset:1024
	ds_read_b128 v[15:18], v24
	s_waitcnt lgkmcnt(0)
	v_add_f64 v[9:10], v[9:10], v[15:16]
	v_add_f64 v[11:12], v[11:12], v[17:18]
	ds_write_b128 v24, v[9:12]
.LBB40_16:                              ;   in Loop: Header=BB40_8 Depth=1
	s_or_b64 exec, exec, s[22:23]
	s_waitcnt lgkmcnt(0)
	;; [unrolled: 13-line block ×6, first 2 shown]
	s_barrier
	s_and_saveexec_b64 s[22:23], s[16:17]
	s_cbranch_execz .LBB40_26
; %bb.25:                               ;   in Loop: Header=BB40_8 Depth=1
	ds_read_b128 v[9:12], v24
	ds_read_b128 v[15:18], v24 offset:32
	s_waitcnt lgkmcnt(0)
	v_add_f64 v[9:10], v[15:16], v[9:10]
	v_add_f64 v[11:12], v[17:18], v[11:12]
	ds_write_b128 v24, v[9:12]
.LBB40_26:                              ;   in Loop: Header=BB40_8 Depth=1
	s_or_b64 exec, exec, s[22:23]
	s_waitcnt lgkmcnt(0)
	s_barrier
	s_and_saveexec_b64 s[22:23], s[18:19]
	s_cbranch_execz .LBB40_28
; %bb.27:                               ;   in Loop: Header=BB40_8 Depth=1
	ds_read_b128 v[9:12], v21
	ds_read_b128 v[15:18], v21 offset:16
	s_waitcnt lgkmcnt(0)
	v_add_f64 v[9:10], v[15:16], v[9:10]
	v_add_f64 v[11:12], v[17:18], v[11:12]
	ds_write_b128 v21, v[9:12]
.LBB40_28:                              ;   in Loop: Header=BB40_8 Depth=1
	s_or_b64 exec, exec, s[22:23]
	s_waitcnt lgkmcnt(0)
	s_barrier
	s_and_saveexec_b64 s[22:23], s[18:19]
	s_cbranch_execz .LBB40_7
; %bb.29:                               ;   in Loop: Header=BB40_8 Depth=1
	ds_read_b128 v[9:12], v21
	s_and_saveexec_b64 s[52:53], s[48:49]
	s_cbranch_execz .LBB40_6
; %bb.30:                               ;   in Loop: Header=BB40_8 Depth=1
	s_lshl_b64 s[54:55], s[50:51], 4
	s_add_u32 s54, s34, s54
	s_addc_u32 s55, s35, s55
	global_load_dwordx4 v[15:18], v21, s[54:55]
	s_waitcnt vmcnt(0) lgkmcnt(0)
	v_fma_f64 v[9:10], v[1:2], v[15:16], v[9:10]
	v_fma_f64 v[11:12], v[3:4], v[15:16], v[11:12]
	v_fma_f64 v[9:10], -v[3:4], v[17:18], v[9:10]
	v_fma_f64 v[11:12], v[1:2], v[17:18], v[11:12]
	s_branch .LBB40_6
.LBB40_31:
	s_mov_b64 s[20:21], 0
.LBB40_32:
	s_and_b64 vcc, exec, s[20:21]
	s_cbranch_vccz .LBB40_71
; %bb.33:
	s_load_dwordx2 s[10:11], s[4:5], 0x18
	s_sub_u32 s12, s6, s40
	s_subb_u32 s13, s7, s41
	s_lshl_b64 s[2:3], s[6:7], 2
	v_mov_b32_e32 v13, 0
	s_waitcnt lgkmcnt(0)
	s_add_u32 s8, s10, s2
	s_addc_u32 s9, s11, s3
	global_load_dword v19, v13, s[8:9]
	s_cmp_lg_u64 s[40:41], 0
	s_cselect_b64 s[14:15], -1, 0
	s_cmp_eq_u64 s[40:41], 0
	s_cselect_b64 s[6:7], -1, 0
	v_cmp_eq_u32_e64 s[2:3], 0, v0
	v_mov_b32_e32 v9, 0
	v_mov_b32_e32 v11, 0
	;; [unrolled: 1-line block ×4, first 2 shown]
	s_and_b64 s[16:17], s[2:3], s[6:7]
	s_and_saveexec_b64 s[6:7], s[16:17]
	s_cbranch_execz .LBB40_37
; %bb.34:
	s_lshl_b64 s[18:19], s[36:37], 4
	s_add_u32 s18, s34, s18
	s_addc_u32 s19, s35, s19
	global_load_dwordx4 v[11:14], v13, s[18:19]
	v_add_f64 v[9:10], v[1:2], -1.0
	s_mov_b64 s[16:17], exec
	v_mbcnt_lo_u32_b32 v17, s16, 0
	v_mbcnt_hi_u32_b32 v17, s17, v17
	v_cmp_eq_u32_e32 vcc, 0, v17
	s_waitcnt vmcnt(0) expcnt(0) lgkmcnt(0)
	v_mul_f64 v[15:16], v[13:14], -v[3:4]
	v_mul_f64 v[13:14], v[9:10], v[13:14]
	s_and_saveexec_b64 s[18:19], vcc
	s_cbranch_execz .LBB40_36
; %bb.35:
	s_lshl_b64 s[20:21], s[12:13], 2
	s_add_u32 s20, s10, s20
	s_addc_u32 s21, s11, s21
	s_bcnt1_i32_b64 s16, s[16:17]
	s_and_b32 s16, s16, 1
	v_mov_b32_e32 v17, 0
	v_mov_b32_e32 v18, s16
	global_atomic_xor v17, v18, s[20:21]
.LBB40_36:
	s_or_b64 exec, exec, s[18:19]
	v_fma_f64 v[9:10], v[9:10], v[11:12], v[15:16]
	v_fma_f64 v[11:12], v[3:4], v[11:12], v[13:14]
.LBB40_37:
	s_or_b64 exec, exec, s[6:7]
	s_mul_i32 s6, s41, 0xc00
	s_mul_hi_u32 s7, s40, 0xc00
	s_add_i32 s16, s7, s6
	s_load_dwordx2 s[6:7], s[44:45], 0x8
	s_sub_u32 s18, s42, s46
	s_mul_i32 s17, s40, 0xc00
	s_subb_u32 s19, s43, 0
	s_add_u32 s18, s18, s17
	s_addc_u32 s19, s19, s16
	s_waitcnt lgkmcnt(0)
	s_sub_u32 s6, s6, s46
	v_mov_b32_e32 v14, s19
	v_add_co_u32_e32 v13, vcc, s18, v0
	s_subb_u32 s7, s7, 0
	v_addc_co_u32_e32 v14, vcc, 0, v14, vcc
	v_cmp_gt_i64_e32 vcc, s[6:7], v[13:14]
	s_and_saveexec_b64 s[16:17], vcc
	s_cbranch_execz .LBB40_41
; %bb.38:
	s_add_u32 s18, s18, 0xc00
	v_mov_b32_e32 v16, s7
	s_addc_u32 s19, s19, 0
	v_mov_b32_e32 v15, s6
	v_cmp_lt_i64_e32 vcc, s[18:19], v[15:16]
	v_lshlrev_b64 v[15:16], 4, v[13:14]
	s_and_b64 s[20:21], vcc, exec
	v_mov_b32_e32 v17, s29
	v_add_co_u32_e32 v15, vcc, s28, v15
	v_addc_co_u32_e32 v16, vcc, v17, v16, vcc
	v_add_co_u32_e32 v15, vcc, 8, v15
	v_lshlrev_b64 v[17:18], 3, v[13:14]
	v_addc_co_u32_e32 v16, vcc, 0, v16, vcc
	v_mov_b32_e32 v20, s27
	v_add_co_u32_e32 v17, vcc, s26, v17
	s_cselect_b32 s19, s19, s7
	s_cselect_b32 s18, s18, s6
	v_addc_co_u32_e32 v18, vcc, v20, v18, vcc
	s_mov_b64 s[20:21], 0
	v_mov_b32_e32 v20, s31
	s_movk_i32 s22, 0x100
.LBB40_39:                              ; =>This Inner Loop Header: Depth=1
	global_load_dwordx2 v[25:26], v[17:18], off
	global_load_dwordx4 v[21:24], v[15:16], off offset:-8
	s_waitcnt vmcnt(1)
	v_subrev_co_u32_e32 v25, vcc, s46, v25
	v_subbrev_co_u32_e32 v26, vcc, 0, v26, vcc
	v_lshlrev_b64 v[25:26], 4, v[25:26]
	s_waitcnt vmcnt(0)
	v_xor_b32_e32 v29, 0x80000000, v24
	v_add_co_u32_e32 v25, vcc, s30, v25
	v_addc_co_u32_e32 v26, vcc, v20, v26, vcc
	global_load_dwordx4 v[25:28], v[25:26], off
	v_cndmask_b32_e64 v24, v24, v29, s[0:1]
	v_mul_f64 v[29:30], v[23:24], -v[7:8]
	v_mul_f64 v[23:24], v[5:6], v[23:24]
	v_add_co_u32_e32 v13, vcc, s22, v13
	v_addc_co_u32_e32 v14, vcc, 0, v14, vcc
	v_add_co_u32_e32 v15, vcc, 0x1000, v15
	v_fma_f64 v[29:30], v[5:6], v[21:22], v[29:30]
	v_fma_f64 v[21:22], v[7:8], v[21:22], v[23:24]
	v_addc_co_u32_e32 v16, vcc, 0, v16, vcc
	v_cmp_le_i64_e64 s[6:7], s[18:19], v[13:14]
	v_add_co_u32_e32 v17, vcc, 0x800, v17
	s_or_b64 s[20:21], s[6:7], s[20:21]
	v_addc_co_u32_e32 v18, vcc, 0, v18, vcc
	s_waitcnt vmcnt(0)
	v_fma_f64 v[9:10], v[29:30], v[25:26], v[9:10]
	v_fma_f64 v[11:12], v[21:22], v[25:26], v[11:12]
	v_fma_f64 v[9:10], -v[21:22], v[27:28], v[9:10]
	v_fma_f64 v[11:12], v[29:30], v[27:28], v[11:12]
	s_andn2_b64 exec, exec, s[20:21]
	s_cbranch_execnz .LBB40_39
; %bb.40:
	s_or_b64 exec, exec, s[20:21]
.LBB40_41:
	s_or_b64 exec, exec, s[16:17]
	s_movk_i32 s6, 0x80
	v_lshlrev_b32_e32 v13, 4, v0
	v_cmp_gt_u32_e32 vcc, s6, v0
	ds_write_b128 v13, v[9:12]
	s_waitcnt vmcnt(0) lgkmcnt(0)
	s_barrier
	s_and_saveexec_b64 s[6:7], vcc
	s_cbranch_execz .LBB40_43
; %bb.42:
	ds_read_b128 v[9:12], v13 offset:2048
	ds_read_b128 v[14:17], v13
	s_waitcnt lgkmcnt(0)
	v_add_f64 v[9:10], v[9:10], v[14:15]
	v_add_f64 v[11:12], v[11:12], v[16:17]
	ds_write_b128 v13, v[9:12]
.LBB40_43:
	s_or_b64 exec, exec, s[6:7]
	v_cmp_gt_u32_e32 vcc, 64, v0
	s_waitcnt lgkmcnt(0)
	s_barrier
	s_and_saveexec_b64 s[6:7], vcc
	s_cbranch_execz .LBB40_45
; %bb.44:
	ds_read_b128 v[9:12], v13 offset:1024
	ds_read_b128 v[14:17], v13
	s_waitcnt lgkmcnt(0)
	v_add_f64 v[9:10], v[9:10], v[14:15]
	v_add_f64 v[11:12], v[11:12], v[16:17]
	ds_write_b128 v13, v[9:12]
.LBB40_45:
	s_or_b64 exec, exec, s[6:7]
	v_cmp_gt_u32_e32 vcc, 32, v0
	s_waitcnt lgkmcnt(0)
	;; [unrolled: 14-line block ×6, first 2 shown]
	s_barrier
	s_and_saveexec_b64 s[6:7], vcc
	s_cbranch_execz .LBB40_55
; %bb.54:
	ds_read_b128 v[9:12], v13
	ds_read_b128 v[14:17], v13 offset:32
	s_waitcnt lgkmcnt(0)
	v_add_f64 v[9:10], v[14:15], v[9:10]
	v_add_f64 v[11:12], v[16:17], v[11:12]
	ds_write_b128 v13, v[9:12]
.LBB40_55:
	s_or_b64 exec, exec, s[6:7]
	s_waitcnt lgkmcnt(0)
	s_barrier
	s_and_saveexec_b64 s[6:7], s[2:3]
	s_cbranch_execz .LBB40_57
; %bb.56:
	v_mov_b32_e32 v17, 0
	ds_read_b128 v[9:12], v17
	ds_read_b128 v[13:16], v17 offset:16
	s_waitcnt lgkmcnt(0)
	v_add_f64 v[9:10], v[13:14], v[9:10]
	v_add_f64 v[11:12], v[15:16], v[11:12]
	ds_write_b128 v17, v[9:12]
.LBB40_57:
	s_or_b64 exec, exec, s[6:7]
	s_waitcnt lgkmcnt(0)
	s_barrier
	s_and_saveexec_b64 s[6:7], s[2:3]
	s_cbranch_execz .LBB40_70
; %bb.58:
	s_andn2_b64 vcc, exec, s[14:15]
	s_cbranch_vccnz .LBB40_64
; %bb.59:
	s_lshl_b64 s[2:3], s[12:13], 2
	s_add_u32 s2, s10, s2
	s_addc_u32 s3, s11, s3
	v_mov_b32_e32 v9, 0
	s_branch .LBB40_61
.LBB40_60:                              ;   in Loop: Header=BB40_61 Depth=1
	s_or_b64 exec, exec, s[10:11]
	s_waitcnt vmcnt(0)
	v_readfirstlane_b32 s10, v10
	v_cmp_eq_u32_e32 vcc, s10, v19
	s_cbranch_vccz .LBB40_63
.LBB40_61:                              ; =>This Inner Loop Header: Depth=1
	v_mbcnt_lo_u32_b32 v10, exec_lo, 0
	v_mbcnt_hi_u32_b32 v10, exec_hi, v10
	v_cmp_eq_u32_e32 vcc, 0, v10
                                        ; implicit-def: $vgpr10
	s_and_saveexec_b64 s[10:11], vcc
	s_cbranch_execz .LBB40_60
; %bb.62:                               ;   in Loop: Header=BB40_61 Depth=1
	global_load_dword v10, v9, s[2:3] glc
	s_branch .LBB40_60
.LBB40_63:
	v_mov_b32_e32 v9, 0
	global_load_ushort v10, v9, s[8:9]
	s_waitcnt vmcnt(0)
	v_xor_b32_e32 v10, 1, v10
	global_store_short v9, v10, s[8:9]
.LBB40_64:
	v_mov_b32_e32 v17, 0
	ds_read_b128 v[9:12], v17
	s_mov_b64 s[10:11], exec
	s_lshl_b64 s[2:3], s[36:37], 4
	v_mbcnt_lo_u32_b32 v13, s10, 0
	s_add_u32 s2, s34, s2
	v_mbcnt_hi_u32_b32 v13, s11, v13
	s_addc_u32 s3, s35, s3
	v_cmp_eq_u32_e32 vcc, 0, v13
	s_and_saveexec_b64 s[8:9], vcc
	s_cbranch_execz .LBB40_67
; %bb.65:
	global_load_dwordx2 v[15:16], v17, s[2:3]
	s_bcnt1_i32_b64 s10, s[10:11]
	v_cvt_f64_u32_e32 v[13:14], s10
	s_mov_b64 s[10:11], 0
	s_waitcnt lgkmcnt(0)
	v_mul_f64 v[9:10], v[9:10], v[13:14]
.LBB40_66:                              ; =>This Inner Loop Header: Depth=1
	s_waitcnt vmcnt(0)
	v_add_f64 v[13:14], v[15:16], v[9:10]
	global_atomic_cmpswap_x2 v[13:14], v17, v[13:16], s[2:3] glc
	s_waitcnt vmcnt(0)
	v_cmp_eq_u64_e32 vcc, v[13:14], v[15:16]
	v_mov_b32_e32 v16, v14
	s_or_b64 s[10:11], vcc, s[10:11]
	v_mov_b32_e32 v15, v13
	s_andn2_b64 exec, exec, s[10:11]
	s_cbranch_execnz .LBB40_66
.LBB40_67:
	s_or_b64 exec, exec, s[8:9]
	s_mov_b64 s[8:9], exec
	s_waitcnt lgkmcnt(0)
	v_mbcnt_lo_u32_b32 v9, s8, 0
	v_mbcnt_hi_u32_b32 v9, s9, v9
	v_cmp_eq_u32_e32 vcc, 0, v9
	s_and_b64 s[10:11], exec, vcc
	s_mov_b64 exec, s[10:11]
	s_cbranch_execz .LBB40_70
; %bb.68:
	v_mov_b32_e32 v15, 0
	global_load_dwordx2 v[13:14], v15, s[2:3] offset:8
	s_bcnt1_i32_b64 s8, s[8:9]
	v_cvt_f64_u32_e32 v[9:10], s8
	s_mov_b64 s[8:9], 0
	v_mul_f64 v[9:10], v[11:12], v[9:10]
.LBB40_69:                              ; =>This Inner Loop Header: Depth=1
	s_waitcnt vmcnt(0)
	v_add_f64 v[11:12], v[13:14], v[9:10]
	global_atomic_cmpswap_x2 v[11:12], v15, v[11:14], s[2:3] offset:8 glc
	s_waitcnt vmcnt(0)
	v_cmp_eq_u64_e32 vcc, v[11:12], v[13:14]
	v_mov_b32_e32 v14, v12
	s_or_b64 s[8:9], vcc, s[8:9]
	v_mov_b32_e32 v13, v11
	s_andn2_b64 exec, exec, s[8:9]
	s_cbranch_execnz .LBB40_69
.LBB40_70:
	s_or_b64 exec, exec, s[6:7]
.LBB40_71:
	s_mov_b64 s[8:9], 0
.LBB40_72:
	s_andn2_b64 vcc, exec, s[8:9]
	s_cbranch_vccnz .LBB40_116
; %bb.73:
	s_load_dwordx2 s[2:3], s[4:5], 0x8
	v_subrev_co_u32_e32 v9, vcc, s46, v0
	v_subb_co_u32_e64 v10, s[4:5], 0, 0, vcc
	s_waitcnt lgkmcnt(0)
	v_mov_b32_e32 v11, s43
	v_add_co_u32_e32 v9, vcc, s42, v9
	v_addc_co_u32_e32 v10, vcc, v11, v10, vcc
	v_add_co_u32_e32 v11, vcc, 0x300, v9
	v_addc_co_u32_e32 v12, vcc, 0, v10, vcc
	v_cmp_le_i64_e32 vcc, s[2:3], v[11:12]
	s_and_saveexec_b64 s[2:3], vcc
	s_xor_b64 s[4:5], exec, s[2:3]
	s_cbranch_execz .LBB40_78
; %bb.74:
	s_lshl_b64 s[2:3], s[38:39], 3
	s_add_u32 s2, s24, s2
	s_addc_u32 s3, s25, s3
	s_load_dwordx2 s[2:3], s[2:3], 0x0
	s_waitcnt lgkmcnt(0)
	s_sub_u32 s6, s2, s46
	s_subb_u32 s7, s3, 0
	v_cmp_gt_i64_e32 vcc, s[6:7], v[9:10]
	s_and_saveexec_b64 s[8:9], vcc
	s_cbranch_execz .LBB40_77
; %bb.75:
	v_lshlrev_b64 v[11:12], 4, v[9:10]
	v_mov_b32_e32 v13, s29
	v_add_co_u32_e32 v11, vcc, s28, v11
	v_addc_co_u32_e32 v12, vcc, v13, v12, vcc
	v_add_co_u32_e32 v11, vcc, 8, v11
	v_lshlrev_b64 v[13:14], 3, v[9:10]
	v_addc_co_u32_e32 v12, vcc, 0, v12, vcc
	v_mov_b32_e32 v16, s27
	v_add_co_u32_e32 v13, vcc, s26, v13
	v_lshlrev_b32_e32 v15, 4, v0
	v_addc_co_u32_e32 v14, vcc, v16, v14, vcc
	s_mov_b64 s[10:11], 0
	v_mov_b32_e32 v16, s31
	s_movk_i32 s12, 0x100
.LBB40_76:                              ; =>This Inner Loop Header: Depth=1
	global_load_dwordx2 v[21:22], v[13:14], off
	global_load_dwordx4 v[17:20], v[11:12], off offset:-8
	s_waitcnt vmcnt(1)
	v_subrev_co_u32_e32 v21, vcc, s46, v21
	v_subbrev_co_u32_e32 v22, vcc, 0, v22, vcc
	v_lshlrev_b64 v[21:22], 4, v[21:22]
	s_waitcnt vmcnt(0)
	v_xor_b32_e32 v25, 0x80000000, v20
	v_add_co_u32_e32 v21, vcc, s30, v21
	v_addc_co_u32_e32 v22, vcc, v16, v22, vcc
	global_load_dwordx4 v[21:24], v[21:22], off
	v_cndmask_b32_e64 v20, v20, v25, s[0:1]
	v_mul_f64 v[25:26], v[5:6], v[19:20]
	v_mul_f64 v[19:20], v[19:20], -v[7:8]
	v_add_co_u32_e32 v9, vcc, s12, v9
	v_addc_co_u32_e32 v10, vcc, 0, v10, vcc
	v_add_co_u32_e32 v11, vcc, 0x1000, v11
	v_fma_f64 v[25:26], v[7:8], v[17:18], v[25:26]
	v_fma_f64 v[17:18], v[5:6], v[17:18], v[19:20]
	v_addc_co_u32_e32 v12, vcc, 0, v12, vcc
	v_cmp_le_i64_e64 s[2:3], s[6:7], v[9:10]
	v_add_co_u32_e32 v13, vcc, 0x800, v13
	v_addc_co_u32_e32 v14, vcc, 0, v14, vcc
	s_or_b64 s[10:11], s[2:3], s[10:11]
	s_waitcnt vmcnt(0)
	v_mul_f64 v[19:20], v[23:24], -v[25:26]
	v_mul_f64 v[23:24], v[23:24], v[17:18]
	v_fma_f64 v[17:18], v[17:18], v[21:22], v[19:20]
	v_fma_f64 v[19:20], v[25:26], v[21:22], v[23:24]
	ds_write_b128 v15, v[17:20]
	v_add_u32_e32 v15, 0x1000, v15
	s_andn2_b64 exec, exec, s[10:11]
	s_cbranch_execnz .LBB40_76
.LBB40_77:
	s_or_b64 exec, exec, s[8:9]
                                        ; implicit-def: $vgpr9_vgpr10
                                        ; implicit-def: $vgpr7_vgpr8
.LBB40_78:
	s_or_saveexec_b64 s[2:3], s[4:5]
	v_lshlrev_b32_e32 v17, 4, v0
	s_xor_b64 exec, exec, s[2:3]
	s_cbranch_execz .LBB40_80
; %bb.79:
	v_lshlrev_b64 v[11:12], 3, v[9:10]
	v_mov_b32_e32 v13, s27
	v_add_co_u32_e32 v11, vcc, s26, v11
	v_addc_co_u32_e32 v12, vcc, v13, v12, vcc
	global_load_dwordx2 v[26:27], v[11:12], off
	global_load_dwordx2 v[28:29], v[11:12], off offset:2048
	s_movk_i32 s4, 0x1000
	v_add_co_u32_e32 v11, vcc, s4, v11
	v_addc_co_u32_e32 v12, vcc, 0, v12, vcc
	global_load_dwordx2 v[30:31], v[11:12], off
	global_load_dwordx2 v[32:33], v[11:12], off offset:2048
	v_lshlrev_b64 v[9:10], 4, v[9:10]
	v_mov_b32_e32 v11, s29
	v_add_co_u32_e32 v13, vcc, s28, v9
	s_movk_i32 s4, 0x2000
	v_addc_co_u32_e32 v14, vcc, v11, v10, vcc
	global_load_dwordx4 v[9:12], v[13:14], off
	v_add_co_u32_e32 v34, vcc, s4, v13
	s_movk_i32 s5, 0x3000
	v_addc_co_u32_e32 v35, vcc, 0, v14, vcc
	v_add_co_u32_e32 v36, vcc, s5, v13
	v_addc_co_u32_e32 v37, vcc, 0, v14, vcc
	global_load_dwordx4 v[13:16], v[34:35], off offset:-4096
	global_load_dwordx4 v[18:21], v[34:35], off
	global_load_dwordx4 v[22:25], v[36:37], off
	v_mov_b32_e32 v40, s31
	v_mov_b32_e32 v41, s31
	;; [unrolled: 1-line block ×4, first 2 shown]
	s_waitcnt vmcnt(7)
	v_subrev_co_u32_e32 v26, vcc, s46, v26
	v_subbrev_co_u32_e32 v27, vcc, 0, v27, vcc
	s_waitcnt vmcnt(6)
	v_subrev_co_u32_e32 v28, vcc, s46, v28
	v_subbrev_co_u32_e32 v29, vcc, 0, v29, vcc
	;; [unrolled: 3-line block ×3, first 2 shown]
	v_lshlrev_b64 v[26:27], 4, v[26:27]
	s_waitcnt vmcnt(4)
	v_subrev_co_u32_e32 v32, vcc, s46, v32
	v_subbrev_co_u32_e32 v33, vcc, 0, v33, vcc
	v_lshlrev_b64 v[28:29], 4, v[28:29]
	v_add_co_u32_e32 v36, vcc, s30, v26
	v_addc_co_u32_e32 v37, vcc, v40, v27, vcc
	v_lshlrev_b64 v[34:35], 4, v[30:31]
	v_add_co_u32_e32 v40, vcc, s30, v28
	v_addc_co_u32_e32 v41, vcc, v41, v29, vcc
	;; [unrolled: 3-line block ×3, first 2 shown]
	global_load_dwordx4 v[26:29], v[36:37], off
	global_load_dwordx4 v[30:33], v[40:41], off
	v_add_co_u32_e32 v38, vcc, s30, v38
	global_load_dwordx4 v[34:37], v[34:35], off
	v_addc_co_u32_e32 v39, vcc, v43, v39, vcc
	global_load_dwordx4 v[38:41], v[38:39], off
	s_waitcnt vmcnt(7)
	v_xor_b32_e32 v42, 0x80000000, v12
	v_cndmask_b32_e64 v12, v12, v42, s[0:1]
	s_waitcnt vmcnt(6)
	v_xor_b32_e32 v44, 0x80000000, v16
	s_waitcnt vmcnt(5)
	v_xor_b32_e32 v45, 0x80000000, v21
	v_mul_f64 v[42:43], v[11:12], -v[7:8]
	v_mul_f64 v[11:12], v[5:6], v[11:12]
	v_cndmask_b32_e64 v16, v16, v44, s[0:1]
	s_waitcnt vmcnt(4)
	v_xor_b32_e32 v46, 0x80000000, v25
	v_cndmask_b32_e64 v21, v21, v45, s[0:1]
	v_mul_f64 v[44:45], v[5:6], v[15:16]
	v_mul_f64 v[15:16], v[15:16], -v[7:8]
	v_cndmask_b32_e64 v25, v25, v46, s[0:1]
	v_mul_f64 v[46:47], v[5:6], v[20:21]
	v_mul_f64 v[20:21], v[20:21], -v[7:8]
	v_mul_f64 v[48:49], v[5:6], v[24:25]
	v_mul_f64 v[24:25], v[24:25], -v[7:8]
	v_fma_f64 v[11:12], v[7:8], v[9:10], v[11:12]
	v_fma_f64 v[9:10], v[5:6], v[9:10], v[42:43]
	v_fma_f64 v[42:43], v[7:8], v[13:14], v[44:45]
	v_fma_f64 v[13:14], v[5:6], v[13:14], v[15:16]
	v_fma_f64 v[15:16], v[7:8], v[18:19], v[46:47]
	v_fma_f64 v[18:19], v[5:6], v[18:19], v[20:21]
	v_fma_f64 v[20:21], v[7:8], v[22:23], v[48:49]
	v_fma_f64 v[22:23], v[5:6], v[22:23], v[24:25]
	s_waitcnt vmcnt(3)
	v_mul_f64 v[5:6], v[28:29], -v[11:12]
	v_mul_f64 v[7:8], v[28:29], v[9:10]
	s_waitcnt vmcnt(2)
	v_mul_f64 v[24:25], v[32:33], -v[42:43]
	v_mul_f64 v[28:29], v[32:33], v[13:14]
	;; [unrolled: 3-line block ×4, first 2 shown]
	v_fma_f64 v[5:6], v[9:10], v[26:27], v[5:6]
	v_fma_f64 v[7:8], v[11:12], v[26:27], v[7:8]
	;; [unrolled: 1-line block ×8, first 2 shown]
	ds_write_b128 v17, v[5:8]
	ds_write_b128 v17, v[9:12] offset:4096
	ds_write_b128 v17, v[13:16] offset:8192
	;; [unrolled: 1-line block ×3, first 2 shown]
.LBB40_80:
	s_or_b64 exec, exec, s[2:3]
	v_cmp_lt_i64_e64 s[2:3], s[40:41], 2
	s_mov_b64 s[0:1], -1
	s_and_b64 vcc, exec, s[2:3]
	s_waitcnt vmcnt(0) lgkmcnt(0)
	s_barrier
	s_cbranch_vccz .LBB40_91
; %bb.81:
	v_mov_b32_e32 v5, s37
	v_add_co_u32_e32 v13, vcc, s36, v0
	v_addc_co_u32_e32 v14, vcc, 0, v5, vcc
	v_cmp_gt_i64_e32 vcc, s[38:39], v[13:14]
	s_and_saveexec_b64 s[2:3], vcc
	s_cbranch_execz .LBB40_90
; %bb.82:
	v_cmp_neq_f64_e32 vcc, 0, v[1:2]
	v_cmp_neq_f64_e64 s[0:1], 0, v[3:4]
	s_lshl_b32 s6, s42, 4
	s_mov_b64 s[4:5], 0
	v_mov_b32_e32 v18, s25
	s_sub_i32 s10, 0, s6
	v_mov_b32_e32 v19, s35
	s_or_b64 s[6:7], vcc, s[0:1]
	s_branch .LBB40_84
.LBB40_83:                              ;   in Loop: Header=BB40_84 Depth=1
	s_or_b64 exec, exec, s[0:1]
	v_add_co_u32_e32 v13, vcc, 0x100, v13
	v_addc_co_u32_e32 v14, vcc, 0, v14, vcc
	v_cmp_le_i64_e32 vcc, s[38:39], v[13:14]
	v_add_co_u32_e64 v9, s[0:1], s34, v9
	v_addc_co_u32_e64 v10, s[0:1], v19, v10, s[0:1]
	s_or_b64 s[4:5], vcc, s[4:5]
	global_store_dwordx4 v[9:10], v[5:8], off
	s_andn2_b64 exec, exec, s[4:5]
	s_cbranch_execz .LBB40_90
.LBB40_84:                              ; =>This Loop Header: Depth=1
                                        ;     Child Loop BB40_86 Depth 2
	v_lshlrev_b64 v[5:6], 3, v[13:14]
	v_mov_b32_e32 v7, 0
	v_add_co_u32_e32 v5, vcc, s24, v5
	v_addc_co_u32_e32 v6, vcc, v18, v6, vcc
	global_load_dwordx4 v[9:12], v[5:6], off
	v_mov_b32_e32 v5, 0
	v_mov_b32_e32 v8, 0
	;; [unrolled: 1-line block ×3, first 2 shown]
	s_waitcnt vmcnt(0)
	v_cmp_lt_i64_e32 vcc, v[9:10], v[11:12]
	s_and_saveexec_b64 s[0:1], vcc
	s_cbranch_execz .LBB40_88
; %bb.85:                               ;   in Loop: Header=BB40_84 Depth=1
	v_mov_b32_e32 v5, s43
	v_subrev_co_u32_e32 v11, vcc, s42, v11
	v_subb_co_u32_e32 v12, vcc, v12, v5, vcc
	v_subrev_co_u32_e32 v15, vcc, s42, v9
	v_mov_b32_e32 v7, 0
	v_subb_co_u32_e32 v16, vcc, v10, v5, vcc
	v_mov_b32_e32 v8, 0
	v_mov_b32_e32 v5, v7
	v_lshl_add_u32 v9, v9, 4, s10
	s_mov_b64 s[8:9], 0
	v_mov_b32_e32 v6, v8
.LBB40_86:                              ;   Parent Loop BB40_84 Depth=1
                                        ; =>  This Inner Loop Header: Depth=2
	ds_read_b128 v[20:23], v9
	v_add_co_u32_e32 v15, vcc, 1, v15
	v_addc_co_u32_e32 v16, vcc, 0, v16, vcc
	s_waitcnt lgkmcnt(0)
	v_add_f64 v[5:6], v[5:6], v[20:21]
	v_add_f64 v[7:8], v[7:8], v[22:23]
	v_cmp_ge_i64_e32 vcc, v[15:16], v[11:12]
	v_add_u32_e32 v9, 16, v9
	s_or_b64 s[8:9], vcc, s[8:9]
	s_andn2_b64 exec, exec, s[8:9]
	s_cbranch_execnz .LBB40_86
; %bb.87:                               ;   in Loop: Header=BB40_84 Depth=1
	s_or_b64 exec, exec, s[8:9]
.LBB40_88:                              ;   in Loop: Header=BB40_84 Depth=1
	s_or_b64 exec, exec, s[0:1]
	v_lshlrev_b64 v[9:10], 4, v[13:14]
	s_and_saveexec_b64 s[0:1], s[6:7]
	s_cbranch_execz .LBB40_83
; %bb.89:                               ;   in Loop: Header=BB40_84 Depth=1
	v_mov_b32_e32 v12, s35
	v_add_co_u32_e32 v11, vcc, s34, v9
	v_addc_co_u32_e32 v12, vcc, v12, v10, vcc
	global_load_dwordx4 v[20:23], v[11:12], off
	s_waitcnt vmcnt(0)
	v_fma_f64 v[5:6], v[1:2], v[20:21], v[5:6]
	v_fma_f64 v[7:8], v[3:4], v[20:21], v[7:8]
	v_fma_f64 v[5:6], -v[3:4], v[22:23], v[5:6]
	v_fma_f64 v[7:8], v[1:2], v[22:23], v[7:8]
	s_branch .LBB40_83
.LBB40_90:
	s_or_b64 exec, exec, s[2:3]
	s_mov_b64 s[0:1], 0
.LBB40_91:
	s_andn2_b64 vcc, exec, s[0:1]
	s_cbranch_vccnz .LBB40_116
; %bb.92:
	s_flbit_i32_b32 s0, s40
	s_min_u32 s0, s0, 32
	s_sub_i32 s0, 31, s0
	v_lshrrev_b32_e32 v13, s0, v0
	v_mov_b32_e32 v5, s37
	v_add_co_u32_e32 v9, vcc, s36, v13
	v_addc_co_u32_e32 v10, vcc, 0, v5, vcc
	v_mov_b32_e32 v5, 0
	s_add_i32 s0, s40, -1
	v_mov_b32_e32 v6, 0
	v_and_b32_e32 v11, s0, v0
	v_cmp_le_i64_e64 s[0:1], s[38:39], v[9:10]
	v_cmp_gt_i64_e32 vcc, s[38:39], v[9:10]
	v_mov_b32_e32 v8, v6
	v_mov_b32_e32 v12, 0
	;; [unrolled: 1-line block ×3, first 2 shown]
	s_and_saveexec_b64 s[2:3], vcc
	s_cbranch_execz .LBB40_98
; %bb.93:
	v_lshlrev_b32_e32 v0, 3, v13
	global_load_dwordx4 v[18:21], v0, s[44:45]
	v_mov_b32_e32 v5, s43
	v_subrev_co_u32_e32 v6, vcc, s42, v11
	v_subb_co_u32_e32 v5, vcc, 0, v5, vcc
	v_mov_b32_e32 v0, s43
	v_mov_b32_e32 v7, 0
	;; [unrolled: 1-line block ×3, first 2 shown]
	s_waitcnt vmcnt(0)
	v_subrev_co_u32_e32 v13, vcc, s42, v20
	v_subb_co_u32_e32 v14, vcc, v21, v0, vcc
	v_add_co_u32_e32 v15, vcc, v18, v6
	v_addc_co_u32_e32 v16, vcc, v19, v5, vcc
	v_cmp_lt_i64_e32 vcc, v[15:16], v[13:14]
	v_mov_b32_e32 v5, 0
	v_mov_b32_e32 v6, 0
	s_and_saveexec_b64 s[4:5], vcc
	s_cbranch_execz .LBB40_97
; %bb.94:
	v_mov_b32_e32 v7, 0
	v_mov_b32_e32 v8, 0
	;; [unrolled: 1-line block ×3, first 2 shown]
	v_lshlrev_b32_e32 v0, 4, v15
	s_lshl_b32 s8, s40, 4
	s_mov_b64 s[6:7], 0
	v_mov_b32_e32 v18, s41
	v_mov_b32_e32 v6, v8
.LBB40_95:                              ; =>This Inner Loop Header: Depth=1
	ds_read_b128 v[19:22], v0
	v_add_co_u32_e32 v15, vcc, s40, v15
	v_addc_co_u32_e32 v16, vcc, v16, v18, vcc
	s_waitcnt lgkmcnt(0)
	v_add_f64 v[5:6], v[5:6], v[19:20]
	v_add_f64 v[7:8], v[7:8], v[21:22]
	v_cmp_ge_i64_e32 vcc, v[15:16], v[13:14]
	v_add_u32_e32 v0, s8, v0
	s_or_b64 s[6:7], vcc, s[6:7]
	s_andn2_b64 exec, exec, s[6:7]
	s_cbranch_execnz .LBB40_95
; %bb.96:
	s_or_b64 exec, exec, s[6:7]
.LBB40_97:
	s_or_b64 exec, exec, s[4:5]
.LBB40_98:
	s_or_b64 exec, exec, s[2:3]
	v_mov_b32_e32 v13, 0x81
	v_mov_b32_e32 v14, 0
	v_cmp_lt_u64_e32 vcc, s[40:41], v[13:14]
	s_and_b64 vcc, exec, vcc
	s_waitcnt vmcnt(0)
	s_barrier
	ds_write_b128 v17, v[5:8]
	s_waitcnt lgkmcnt(0)
	s_barrier
	s_cbranch_vccnz .LBB40_100
; %bb.99:
	ds_read_b128 v[13:16], v17 offset:2048
	s_waitcnt lgkmcnt(0)
	s_barrier
	v_add_f64 v[5:6], v[5:6], v[13:14]
	v_add_f64 v[7:8], v[7:8], v[15:16]
	ds_write_b128 v17, v[5:8]
.LBB40_100:
	v_mov_b32_e32 v13, 0x41
	v_mov_b32_e32 v14, 0
	v_cmp_lt_u64_e32 vcc, s[40:41], v[13:14]
	s_waitcnt lgkmcnt(0)
	s_barrier
	s_cbranch_vccnz .LBB40_102
; %bb.101:
	ds_read_b128 v[13:16], v17 offset:1024
	s_waitcnt lgkmcnt(0)
	s_barrier
	v_add_f64 v[5:6], v[5:6], v[13:14]
	v_add_f64 v[7:8], v[7:8], v[15:16]
	ds_write_b128 v17, v[5:8]
.LBB40_102:
	v_cmp_lt_u64_e64 s[2:3], s[40:41], 33
	s_waitcnt lgkmcnt(0)
	s_and_b64 vcc, exec, s[2:3]
	s_barrier
	s_cbranch_vccnz .LBB40_104
; %bb.103:
	ds_read_b128 v[13:16], v17 offset:512
	s_waitcnt lgkmcnt(0)
	s_barrier
	v_add_f64 v[5:6], v[5:6], v[13:14]
	v_add_f64 v[7:8], v[7:8], v[15:16]
	ds_write_b128 v17, v[5:8]
.LBB40_104:
	v_cmp_lt_u64_e64 s[2:3], s[40:41], 17
	s_waitcnt lgkmcnt(0)
	s_and_b64 vcc, exec, s[2:3]
	;; [unrolled: 13-line block ×4, first 2 shown]
	s_barrier
	s_cbranch_vccnz .LBB40_110
; %bb.109:
	ds_read_b128 v[13:16], v17 offset:64
	s_waitcnt lgkmcnt(0)
	s_barrier
	v_add_f64 v[5:6], v[5:6], v[13:14]
	v_add_f64 v[7:8], v[7:8], v[15:16]
	ds_write_b128 v17, v[5:8]
.LBB40_110:
	s_cmp_eq_u64 s[40:41], 2
	s_waitcnt lgkmcnt(0)
	s_barrier
	s_cbranch_scc1 .LBB40_112
; %bb.111:
	ds_read_b128 v[13:16], v17 offset:32
	s_waitcnt lgkmcnt(0)
	s_barrier
	v_add_f64 v[5:6], v[5:6], v[13:14]
	v_add_f64 v[7:8], v[7:8], v[15:16]
	ds_write_b128 v17, v[5:8]
.LBB40_112:
	s_waitcnt lgkmcnt(0)
	s_barrier
	ds_read_b128 v[13:16], v17 offset:16
	v_cmp_eq_u64_e32 vcc, 0, v[11:12]
	s_xor_b64 s[0:1], s[0:1], -1
	s_and_b64 s[0:1], vcc, s[0:1]
	s_waitcnt lgkmcnt(0)
	v_add_f64 v[5:6], v[5:6], v[13:14]
	v_add_f64 v[7:8], v[7:8], v[15:16]
	s_barrier
	ds_write_b128 v17, v[5:8]
	s_and_b64 exec, exec, s[0:1]
	s_cbranch_execz .LBB40_116
; %bb.113:
	v_cmp_neq_f64_e32 vcc, 0, v[1:2]
	v_cmp_neq_f64_e64 s[0:1], 0, v[3:4]
	v_lshlrev_b64 v[9:10], 4, v[9:10]
	s_or_b64 s[2:3], vcc, s[0:1]
	s_and_saveexec_b64 s[0:1], s[2:3]
	s_cbranch_execz .LBB40_115
; %bb.114:
	v_mov_b32_e32 v0, s35
	v_add_co_u32_e32 v11, vcc, s34, v9
	v_addc_co_u32_e32 v12, vcc, v0, v10, vcc
	global_load_dwordx4 v[11:14], v[11:12], off
	s_waitcnt vmcnt(0)
	v_fma_f64 v[5:6], v[1:2], v[11:12], v[5:6]
	v_fma_f64 v[7:8], v[3:4], v[11:12], v[7:8]
	v_fma_f64 v[5:6], -v[3:4], v[13:14], v[5:6]
	v_fma_f64 v[7:8], v[1:2], v[13:14], v[7:8]
.LBB40_115:
	s_or_b64 exec, exec, s[0:1]
	v_mov_b32_e32 v1, s35
	v_add_co_u32_e32 v0, vcc, s34, v9
	v_addc_co_u32_e32 v1, vcc, v1, v10, vcc
	global_store_dwordx4 v[0:1], v[5:8], off
.LBB40_116:
	s_endpgm
	.section	.rodata,"a",@progbits
	.p2align	6, 0x0
	.amdhsa_kernel _ZN9rocsparseL22csrmvn_adaptive_kernelIll21rocsparse_complex_numIdES2_S2_S2_EEvbT_PKS3_PjPKT0_NS_24const_host_device_scalarIT4_EES5_S9_PKT1_PKT2_SC_PT3_21rocsparse_index_base_b
		.amdhsa_group_segment_fixed_size 16384
		.amdhsa_private_segment_fixed_size 0
		.amdhsa_kernarg_size 120
		.amdhsa_user_sgpr_count 6
		.amdhsa_user_sgpr_private_segment_buffer 1
		.amdhsa_user_sgpr_dispatch_ptr 0
		.amdhsa_user_sgpr_queue_ptr 0
		.amdhsa_user_sgpr_kernarg_segment_ptr 1
		.amdhsa_user_sgpr_dispatch_id 0
		.amdhsa_user_sgpr_flat_scratch_init 0
		.amdhsa_user_sgpr_private_segment_size 0
		.amdhsa_uses_dynamic_stack 0
		.amdhsa_system_sgpr_private_segment_wavefront_offset 0
		.amdhsa_system_sgpr_workgroup_id_x 1
		.amdhsa_system_sgpr_workgroup_id_y 0
		.amdhsa_system_sgpr_workgroup_id_z 0
		.amdhsa_system_sgpr_workgroup_info 0
		.amdhsa_system_vgpr_workitem_id 0
		.amdhsa_next_free_vgpr 50
		.amdhsa_next_free_sgpr 98
		.amdhsa_reserve_vcc 1
		.amdhsa_reserve_flat_scratch 0
		.amdhsa_float_round_mode_32 0
		.amdhsa_float_round_mode_16_64 0
		.amdhsa_float_denorm_mode_32 3
		.amdhsa_float_denorm_mode_16_64 3
		.amdhsa_dx10_clamp 1
		.amdhsa_ieee_mode 1
		.amdhsa_fp16_overflow 0
		.amdhsa_exception_fp_ieee_invalid_op 0
		.amdhsa_exception_fp_denorm_src 0
		.amdhsa_exception_fp_ieee_div_zero 0
		.amdhsa_exception_fp_ieee_overflow 0
		.amdhsa_exception_fp_ieee_underflow 0
		.amdhsa_exception_fp_ieee_inexact 0
		.amdhsa_exception_int_div_zero 0
	.end_amdhsa_kernel
	.section	.text._ZN9rocsparseL22csrmvn_adaptive_kernelIll21rocsparse_complex_numIdES2_S2_S2_EEvbT_PKS3_PjPKT0_NS_24const_host_device_scalarIT4_EES5_S9_PKT1_PKT2_SC_PT3_21rocsparse_index_base_b,"axG",@progbits,_ZN9rocsparseL22csrmvn_adaptive_kernelIll21rocsparse_complex_numIdES2_S2_S2_EEvbT_PKS3_PjPKT0_NS_24const_host_device_scalarIT4_EES5_S9_PKT1_PKT2_SC_PT3_21rocsparse_index_base_b,comdat
.Lfunc_end40:
	.size	_ZN9rocsparseL22csrmvn_adaptive_kernelIll21rocsparse_complex_numIdES2_S2_S2_EEvbT_PKS3_PjPKT0_NS_24const_host_device_scalarIT4_EES5_S9_PKT1_PKT2_SC_PT3_21rocsparse_index_base_b, .Lfunc_end40-_ZN9rocsparseL22csrmvn_adaptive_kernelIll21rocsparse_complex_numIdES2_S2_S2_EEvbT_PKS3_PjPKT0_NS_24const_host_device_scalarIT4_EES5_S9_PKT1_PKT2_SC_PT3_21rocsparse_index_base_b
                                        ; -- End function
	.set _ZN9rocsparseL22csrmvn_adaptive_kernelIll21rocsparse_complex_numIdES2_S2_S2_EEvbT_PKS3_PjPKT0_NS_24const_host_device_scalarIT4_EES5_S9_PKT1_PKT2_SC_PT3_21rocsparse_index_base_b.num_vgpr, 50
	.set _ZN9rocsparseL22csrmvn_adaptive_kernelIll21rocsparse_complex_numIdES2_S2_S2_EEvbT_PKS3_PjPKT0_NS_24const_host_device_scalarIT4_EES5_S9_PKT1_PKT2_SC_PT3_21rocsparse_index_base_b.num_agpr, 0
	.set _ZN9rocsparseL22csrmvn_adaptive_kernelIll21rocsparse_complex_numIdES2_S2_S2_EEvbT_PKS3_PjPKT0_NS_24const_host_device_scalarIT4_EES5_S9_PKT1_PKT2_SC_PT3_21rocsparse_index_base_b.numbered_sgpr, 64
	.set _ZN9rocsparseL22csrmvn_adaptive_kernelIll21rocsparse_complex_numIdES2_S2_S2_EEvbT_PKS3_PjPKT0_NS_24const_host_device_scalarIT4_EES5_S9_PKT1_PKT2_SC_PT3_21rocsparse_index_base_b.num_named_barrier, 0
	.set _ZN9rocsparseL22csrmvn_adaptive_kernelIll21rocsparse_complex_numIdES2_S2_S2_EEvbT_PKS3_PjPKT0_NS_24const_host_device_scalarIT4_EES5_S9_PKT1_PKT2_SC_PT3_21rocsparse_index_base_b.private_seg_size, 0
	.set _ZN9rocsparseL22csrmvn_adaptive_kernelIll21rocsparse_complex_numIdES2_S2_S2_EEvbT_PKS3_PjPKT0_NS_24const_host_device_scalarIT4_EES5_S9_PKT1_PKT2_SC_PT3_21rocsparse_index_base_b.uses_vcc, 1
	.set _ZN9rocsparseL22csrmvn_adaptive_kernelIll21rocsparse_complex_numIdES2_S2_S2_EEvbT_PKS3_PjPKT0_NS_24const_host_device_scalarIT4_EES5_S9_PKT1_PKT2_SC_PT3_21rocsparse_index_base_b.uses_flat_scratch, 0
	.set _ZN9rocsparseL22csrmvn_adaptive_kernelIll21rocsparse_complex_numIdES2_S2_S2_EEvbT_PKS3_PjPKT0_NS_24const_host_device_scalarIT4_EES5_S9_PKT1_PKT2_SC_PT3_21rocsparse_index_base_b.has_dyn_sized_stack, 0
	.set _ZN9rocsparseL22csrmvn_adaptive_kernelIll21rocsparse_complex_numIdES2_S2_S2_EEvbT_PKS3_PjPKT0_NS_24const_host_device_scalarIT4_EES5_S9_PKT1_PKT2_SC_PT3_21rocsparse_index_base_b.has_recursion, 0
	.set _ZN9rocsparseL22csrmvn_adaptive_kernelIll21rocsparse_complex_numIdES2_S2_S2_EEvbT_PKS3_PjPKT0_NS_24const_host_device_scalarIT4_EES5_S9_PKT1_PKT2_SC_PT3_21rocsparse_index_base_b.has_indirect_call, 0
	.section	.AMDGPU.csdata,"",@progbits
; Kernel info:
; codeLenInByte = 5484
; TotalNumSgprs: 68
; NumVgprs: 50
; ScratchSize: 0
; MemoryBound: 0
; FloatMode: 240
; IeeeMode: 1
; LDSByteSize: 16384 bytes/workgroup (compile time only)
; SGPRBlocks: 12
; VGPRBlocks: 12
; NumSGPRsForWavesPerEU: 102
; NumVGPRsForWavesPerEU: 50
; Occupancy: 4
; WaveLimiterHint : 1
; COMPUTE_PGM_RSRC2:SCRATCH_EN: 0
; COMPUTE_PGM_RSRC2:USER_SGPR: 6
; COMPUTE_PGM_RSRC2:TRAP_HANDLER: 0
; COMPUTE_PGM_RSRC2:TGID_X_EN: 1
; COMPUTE_PGM_RSRC2:TGID_Y_EN: 0
; COMPUTE_PGM_RSRC2:TGID_Z_EN: 0
; COMPUTE_PGM_RSRC2:TIDIG_COMP_CNT: 0
	.section	.text._ZN9rocsparseL22partial_scale_y_kernelIl21rocsparse_complex_numIdES2_EEvT_S3_S3_NS_24const_host_device_scalarIT1_EEPT0_b,"axG",@progbits,_ZN9rocsparseL22partial_scale_y_kernelIl21rocsparse_complex_numIdES2_EEvT_S3_S3_NS_24const_host_device_scalarIT1_EEPT0_b,comdat
	.globl	_ZN9rocsparseL22partial_scale_y_kernelIl21rocsparse_complex_numIdES2_EEvT_S3_S3_NS_24const_host_device_scalarIT1_EEPT0_b ; -- Begin function _ZN9rocsparseL22partial_scale_y_kernelIl21rocsparse_complex_numIdES2_EEvT_S3_S3_NS_24const_host_device_scalarIT1_EEPT0_b
	.p2align	8
	.type	_ZN9rocsparseL22partial_scale_y_kernelIl21rocsparse_complex_numIdES2_EEvT_S3_S3_NS_24const_host_device_scalarIT1_EEPT0_b,@function
_ZN9rocsparseL22partial_scale_y_kernelIl21rocsparse_complex_numIdES2_EEvT_S3_S3_NS_24const_host_device_scalarIT1_EEPT0_b: ; @_ZN9rocsparseL22partial_scale_y_kernelIl21rocsparse_complex_numIdES2_EEvT_S3_S3_NS_24const_host_device_scalarIT1_EEPT0_b
; %bb.0:
	s_load_dword s0, s[4:5], 0x30
	s_load_dwordx8 s[8:15], s[4:5], 0x0
	s_add_u32 s1, s4, 24
	s_addc_u32 s2, s5, 0
	s_waitcnt lgkmcnt(0)
	s_bitcmp1_b32 s0, 0
	s_cselect_b32 s0, s2, s15
	s_cselect_b32 s1, s1, s14
	v_mov_b32_e32 v1, s1
	v_mov_b32_e32 v2, s0
	flat_load_dwordx4 v[1:4], v[1:2]
	s_waitcnt vmcnt(0) lgkmcnt(0)
	v_cmp_neq_f64_e32 vcc, 1.0, v[1:2]
	v_cmp_neq_f64_e64 s[0:1], 0, v[3:4]
	s_or_b64 s[0:1], vcc, s[0:1]
	s_and_saveexec_b64 s[2:3], s[0:1]
	s_cbranch_execz .LBB41_13
; %bb.1:
	s_add_u32 s0, s10, s8
	s_addc_u32 s1, s11, s9
	s_sub_u32 s0, s0, s12
	v_lshl_or_b32 v5, s6, 8, v0
	v_mov_b32_e32 v6, 0
	s_subb_u32 s1, s1, s13
	v_cmp_gt_i64_e32 vcc, s[0:1], v[5:6]
	s_and_b64 exec, exec, vcc
	s_cbranch_execz .LBB41_13
; %bb.2:
	v_cmp_neq_f64_e32 vcc, 0, v[1:2]
	v_cmp_neq_f64_e64 s[0:1], 0, v[3:4]
	s_load_dwordx2 s[4:5], s[4:5], 0x28
	v_cmp_le_i64_e64 s[2:3], s[10:11], v[5:6]
	s_or_b64 s[0:1], vcc, s[0:1]
	s_and_saveexec_b64 s[6:7], s[2:3]
	s_xor_b64 s[2:3], exec, s[6:7]
	s_cbranch_execz .LBB41_8
; %bb.3:
	v_mov_b32_e32 v0, s11
	v_subrev_co_u32_e32 v5, vcc, s10, v5
	v_subb_co_u32_e32 v6, vcc, 0, v0, vcc
	s_lshl_b64 s[6:7], s[12:13], 4
	s_waitcnt lgkmcnt(0)
	s_add_u32 s6, s4, s6
	v_lshlrev_b64 v[5:6], 4, v[5:6]
	s_addc_u32 s7, s5, s7
	v_mov_b32_e32 v0, s7
	v_add_co_u32_e32 v5, vcc, s6, v5
	v_addc_co_u32_e32 v6, vcc, v0, v6, vcc
	s_and_saveexec_b64 s[6:7], s[0:1]
	s_xor_b64 s[6:7], exec, s[6:7]
	s_cbranch_execz .LBB41_5
; %bb.4:
	global_load_dwordx4 v[7:10], v[5:6], off
	s_waitcnt vmcnt(0)
	v_mul_f64 v[11:12], v[3:4], -v[9:10]
	v_mul_f64 v[3:4], v[3:4], v[7:8]
	v_fma_f64 v[7:8], v[7:8], v[1:2], v[11:12]
	v_fma_f64 v[9:10], v[9:10], v[1:2], v[3:4]
	global_store_dwordx4 v[5:6], v[7:10], off
                                        ; implicit-def: $vgpr5_vgpr6
.LBB41_5:
	s_andn2_saveexec_b64 s[6:7], s[6:7]
	s_cbranch_execz .LBB41_7
; %bb.6:
	v_mov_b32_e32 v0, 0
	v_mov_b32_e32 v1, v0
	;; [unrolled: 1-line block ×4, first 2 shown]
	global_store_dwordx4 v[5:6], v[0:3], off
.LBB41_7:
	s_or_b64 exec, exec, s[6:7]
                                        ; implicit-def: $vgpr5_vgpr6
                                        ; implicit-def: $vgpr3_vgpr4
.LBB41_8:
	s_andn2_saveexec_b64 s[2:3], s[2:3]
	s_cbranch_execz .LBB41_13
; %bb.9:
	v_lshlrev_b64 v[5:6], 4, v[5:6]
	s_waitcnt lgkmcnt(0)
	v_mov_b32_e32 v0, s5
	v_add_co_u32_e32 v5, vcc, s4, v5
	v_addc_co_u32_e32 v6, vcc, v0, v6, vcc
	s_and_saveexec_b64 s[2:3], s[0:1]
	s_xor_b64 s[0:1], exec, s[2:3]
	s_cbranch_execz .LBB41_11
; %bb.10:
	global_load_dwordx4 v[7:10], v[5:6], off
	s_waitcnt vmcnt(0)
	v_mul_f64 v[11:12], v[3:4], -v[9:10]
	v_mul_f64 v[3:4], v[3:4], v[7:8]
	v_fma_f64 v[7:8], v[7:8], v[1:2], v[11:12]
	v_fma_f64 v[9:10], v[9:10], v[1:2], v[3:4]
	global_store_dwordx4 v[5:6], v[7:10], off
                                        ; implicit-def: $vgpr5_vgpr6
.LBB41_11:
	s_andn2_saveexec_b64 s[0:1], s[0:1]
	s_cbranch_execz .LBB41_13
; %bb.12:
	v_mov_b32_e32 v0, 0
	v_mov_b32_e32 v1, v0
	;; [unrolled: 1-line block ×4, first 2 shown]
	global_store_dwordx4 v[5:6], v[0:3], off
.LBB41_13:
	s_endpgm
	.section	.rodata,"a",@progbits
	.p2align	6, 0x0
	.amdhsa_kernel _ZN9rocsparseL22partial_scale_y_kernelIl21rocsparse_complex_numIdES2_EEvT_S3_S3_NS_24const_host_device_scalarIT1_EEPT0_b
		.amdhsa_group_segment_fixed_size 0
		.amdhsa_private_segment_fixed_size 0
		.amdhsa_kernarg_size 52
		.amdhsa_user_sgpr_count 6
		.amdhsa_user_sgpr_private_segment_buffer 1
		.amdhsa_user_sgpr_dispatch_ptr 0
		.amdhsa_user_sgpr_queue_ptr 0
		.amdhsa_user_sgpr_kernarg_segment_ptr 1
		.amdhsa_user_sgpr_dispatch_id 0
		.amdhsa_user_sgpr_flat_scratch_init 0
		.amdhsa_user_sgpr_private_segment_size 0
		.amdhsa_uses_dynamic_stack 0
		.amdhsa_system_sgpr_private_segment_wavefront_offset 0
		.amdhsa_system_sgpr_workgroup_id_x 1
		.amdhsa_system_sgpr_workgroup_id_y 0
		.amdhsa_system_sgpr_workgroup_id_z 0
		.amdhsa_system_sgpr_workgroup_info 0
		.amdhsa_system_vgpr_workitem_id 0
		.amdhsa_next_free_vgpr 13
		.amdhsa_next_free_sgpr 16
		.amdhsa_reserve_vcc 1
		.amdhsa_reserve_flat_scratch 0
		.amdhsa_float_round_mode_32 0
		.amdhsa_float_round_mode_16_64 0
		.amdhsa_float_denorm_mode_32 3
		.amdhsa_float_denorm_mode_16_64 3
		.amdhsa_dx10_clamp 1
		.amdhsa_ieee_mode 1
		.amdhsa_fp16_overflow 0
		.amdhsa_exception_fp_ieee_invalid_op 0
		.amdhsa_exception_fp_denorm_src 0
		.amdhsa_exception_fp_ieee_div_zero 0
		.amdhsa_exception_fp_ieee_overflow 0
		.amdhsa_exception_fp_ieee_underflow 0
		.amdhsa_exception_fp_ieee_inexact 0
		.amdhsa_exception_int_div_zero 0
	.end_amdhsa_kernel
	.section	.text._ZN9rocsparseL22partial_scale_y_kernelIl21rocsparse_complex_numIdES2_EEvT_S3_S3_NS_24const_host_device_scalarIT1_EEPT0_b,"axG",@progbits,_ZN9rocsparseL22partial_scale_y_kernelIl21rocsparse_complex_numIdES2_EEvT_S3_S3_NS_24const_host_device_scalarIT1_EEPT0_b,comdat
.Lfunc_end41:
	.size	_ZN9rocsparseL22partial_scale_y_kernelIl21rocsparse_complex_numIdES2_EEvT_S3_S3_NS_24const_host_device_scalarIT1_EEPT0_b, .Lfunc_end41-_ZN9rocsparseL22partial_scale_y_kernelIl21rocsparse_complex_numIdES2_EEvT_S3_S3_NS_24const_host_device_scalarIT1_EEPT0_b
                                        ; -- End function
	.set _ZN9rocsparseL22partial_scale_y_kernelIl21rocsparse_complex_numIdES2_EEvT_S3_S3_NS_24const_host_device_scalarIT1_EEPT0_b.num_vgpr, 13
	.set _ZN9rocsparseL22partial_scale_y_kernelIl21rocsparse_complex_numIdES2_EEvT_S3_S3_NS_24const_host_device_scalarIT1_EEPT0_b.num_agpr, 0
	.set _ZN9rocsparseL22partial_scale_y_kernelIl21rocsparse_complex_numIdES2_EEvT_S3_S3_NS_24const_host_device_scalarIT1_EEPT0_b.numbered_sgpr, 16
	.set _ZN9rocsparseL22partial_scale_y_kernelIl21rocsparse_complex_numIdES2_EEvT_S3_S3_NS_24const_host_device_scalarIT1_EEPT0_b.num_named_barrier, 0
	.set _ZN9rocsparseL22partial_scale_y_kernelIl21rocsparse_complex_numIdES2_EEvT_S3_S3_NS_24const_host_device_scalarIT1_EEPT0_b.private_seg_size, 0
	.set _ZN9rocsparseL22partial_scale_y_kernelIl21rocsparse_complex_numIdES2_EEvT_S3_S3_NS_24const_host_device_scalarIT1_EEPT0_b.uses_vcc, 1
	.set _ZN9rocsparseL22partial_scale_y_kernelIl21rocsparse_complex_numIdES2_EEvT_S3_S3_NS_24const_host_device_scalarIT1_EEPT0_b.uses_flat_scratch, 0
	.set _ZN9rocsparseL22partial_scale_y_kernelIl21rocsparse_complex_numIdES2_EEvT_S3_S3_NS_24const_host_device_scalarIT1_EEPT0_b.has_dyn_sized_stack, 0
	.set _ZN9rocsparseL22partial_scale_y_kernelIl21rocsparse_complex_numIdES2_EEvT_S3_S3_NS_24const_host_device_scalarIT1_EEPT0_b.has_recursion, 0
	.set _ZN9rocsparseL22partial_scale_y_kernelIl21rocsparse_complex_numIdES2_EEvT_S3_S3_NS_24const_host_device_scalarIT1_EEPT0_b.has_indirect_call, 0
	.section	.AMDGPU.csdata,"",@progbits
; Kernel info:
; codeLenInByte = 448
; TotalNumSgprs: 20
; NumVgprs: 13
; ScratchSize: 0
; MemoryBound: 0
; FloatMode: 240
; IeeeMode: 1
; LDSByteSize: 0 bytes/workgroup (compile time only)
; SGPRBlocks: 2
; VGPRBlocks: 3
; NumSGPRsForWavesPerEU: 20
; NumVGPRsForWavesPerEU: 13
; Occupancy: 10
; WaveLimiterHint : 0
; COMPUTE_PGM_RSRC2:SCRATCH_EN: 0
; COMPUTE_PGM_RSRC2:USER_SGPR: 6
; COMPUTE_PGM_RSRC2:TRAP_HANDLER: 0
; COMPUTE_PGM_RSRC2:TGID_X_EN: 1
; COMPUTE_PGM_RSRC2:TGID_Y_EN: 0
; COMPUTE_PGM_RSRC2:TGID_Z_EN: 0
; COMPUTE_PGM_RSRC2:TIDIG_COMP_CNT: 0
	.section	.text._ZN9rocsparseL27csrmvn_symm_adaptive_kernelIll21rocsparse_complex_numIdES2_S2_S2_EEvbT_S3_PKS3_NS_24const_host_device_scalarIT4_EES5_PKT0_PKT1_PKT2_S8_PT3_21rocsparse_index_base_b,"axG",@progbits,_ZN9rocsparseL27csrmvn_symm_adaptive_kernelIll21rocsparse_complex_numIdES2_S2_S2_EEvbT_S3_PKS3_NS_24const_host_device_scalarIT4_EES5_PKT0_PKT1_PKT2_S8_PT3_21rocsparse_index_base_b,comdat
	.globl	_ZN9rocsparseL27csrmvn_symm_adaptive_kernelIll21rocsparse_complex_numIdES2_S2_S2_EEvbT_S3_PKS3_NS_24const_host_device_scalarIT4_EES5_PKT0_PKT1_PKT2_S8_PT3_21rocsparse_index_base_b ; -- Begin function _ZN9rocsparseL27csrmvn_symm_adaptive_kernelIll21rocsparse_complex_numIdES2_S2_S2_EEvbT_S3_PKS3_NS_24const_host_device_scalarIT4_EES5_PKT0_PKT1_PKT2_S8_PT3_21rocsparse_index_base_b
	.p2align	8
	.type	_ZN9rocsparseL27csrmvn_symm_adaptive_kernelIll21rocsparse_complex_numIdES2_S2_S2_EEvbT_S3_PKS3_NS_24const_host_device_scalarIT4_EES5_PKT0_PKT1_PKT2_S8_PT3_21rocsparse_index_base_b,@function
_ZN9rocsparseL27csrmvn_symm_adaptive_kernelIll21rocsparse_complex_numIdES2_S2_S2_EEvbT_S3_PKS3_NS_24const_host_device_scalarIT4_EES5_PKT0_PKT1_PKT2_S8_PT3_21rocsparse_index_base_b: ; @_ZN9rocsparseL27csrmvn_symm_adaptive_kernelIll21rocsparse_complex_numIdES2_S2_S2_EEvbT_S3_PKS3_NS_24const_host_device_scalarIT4_EES5_PKT0_PKT1_PKT2_S8_PT3_21rocsparse_index_base_b
; %bb.0:
	s_load_dwordx2 s[34:35], s[4:5], 0x68
	s_load_dwordx2 s[0:1], s[4:5], 0x20
	s_add_u32 s7, s4, 32
	s_addc_u32 s10, s5, 0
	s_waitcnt lgkmcnt(0)
	s_bitcmp1_b32 s35, 0
	s_cselect_b64 s[8:9], -1, 0
	s_and_b64 s[2:3], s[8:9], exec
	s_cselect_b32 s1, s10, s1
	s_cselect_b32 s0, s7, s0
	v_mov_b32_e32 v1, s0
	v_mov_b32_e32 v2, s1
	flat_load_dwordx4 v[2:5], v[1:2]
	s_waitcnt vmcnt(0) lgkmcnt(0)
	v_cmp_eq_f64_e32 vcc, 0, v[2:3]
	v_cmp_eq_f64_e64 s[0:1], 0, v[4:5]
	s_and_b64 s[10:11], vcc, s[0:1]
	s_mov_b64 s[0:1], -1
	s_and_saveexec_b64 s[2:3], s[10:11]
	s_cbranch_execz .LBB42_2
; %bb.1:
	s_load_dwordx2 s[0:1], s[4:5], 0x50
	s_add_u32 s7, s4, 0x50
	s_addc_u32 s10, s5, 0
	s_and_b64 s[8:9], s[8:9], exec
	s_waitcnt lgkmcnt(0)
	s_cselect_b32 s1, s10, s1
	s_cselect_b32 s0, s7, s0
	v_mov_b32_e32 v6, s0
	v_mov_b32_e32 v7, s1
	flat_load_dwordx4 v[6:9], v[6:7]
	s_waitcnt vmcnt(0) lgkmcnt(0)
	v_cmp_neq_f64_e32 vcc, 1.0, v[6:7]
	v_cmp_neq_f64_e64 s[0:1], 0, v[8:9]
	s_or_b64 s[0:1], vcc, s[0:1]
	s_orn2_b64 s[0:1], s[0:1], exec
.LBB42_2:
	s_or_b64 exec, exec, s[2:3]
	s_and_saveexec_b64 s[2:3], s[0:1]
	s_cbranch_execz .LBB42_199
; %bb.3:
	s_load_dword s0, s[4:5], 0x0
	s_load_dwordx2 s[2:3], s[4:5], 0x18
	s_mov_b32 s8, 0
	s_mov_b32 s9, s8
	;; [unrolled: 1-line block ×3, first 2 shown]
	s_waitcnt lgkmcnt(0)
	s_bitcmp1_b32 s0, 0
	s_cselect_b64 s[0:1], -1, 0
	s_ashr_i32 s7, s6, 31
	s_lshl_b64 s[6:7], s[6:7], 3
	s_mov_b32 s11, s8
	v_mov_b32_e32 v6, s8
	s_add_u32 s2, s2, s6
	v_lshlrev_b32_e32 v26, 4, v0
	v_mov_b32_e32 v7, s9
	v_mov_b32_e32 v8, s10
	;; [unrolled: 1-line block ×3, first 2 shown]
	s_addc_u32 s3, s3, s7
	ds_write_b128 v26, v[6:9]
	ds_write_b128 v26, v[6:9] offset:4096
	ds_write_b128 v26, v[6:9] offset:8192
	;; [unrolled: 1-line block ×3, first 2 shown]
	s_waitcnt lgkmcnt(0)
	s_barrier
	s_load_dwordx4 s[24:27], s[2:3], 0x0
	s_load_dwordx2 s[28:29], s[4:5], 0x60
	s_load_dwordx8 s[16:23], s[4:5], 0x30
	s_mov_b64 s[2:3], -1
	s_waitcnt lgkmcnt(0)
	s_sub_u32 s30, s26, s24
	s_subb_u32 s31, s27, s25
	v_cmp_gt_i64_e64 s[6:7], s[30:31], 2
	s_and_b64 vcc, exec, s[6:7]
	s_cbranch_vccnz .LBB42_47
; %bb.4:
	v_mov_b32_e32 v6, s24
	v_mov_b32_e32 v7, s25
	v_cmp_le_i64_e32 vcc, s[26:27], v[6:7]
	v_subrev_co_u32_e64 v1, s[2:3], s34, v0
	v_mov_b32_e32 v19, 0
	v_subb_co_u32_e64 v18, s[2:3], 0, 0, s[2:3]
	s_cbranch_vccnz .LBB42_34
; %bb.5:
	s_movk_i32 s33, 0x100
	s_add_u32 s35, s20, 8
	v_mov_b32_e32 v14, s26
	v_cmp_gt_u32_e64 s[2:3], s33, v0
	v_cmp_gt_u32_e64 s[6:7], 64, v0
	;; [unrolled: 1-line block ×4, first 2 shown]
	v_cmp_eq_u32_e64 s[12:13], 0, v0
	s_addc_u32 s44, s21, 0
	v_mov_b32_e32 v15, s27
	s_mov_b64 s[36:37], s[24:25]
	s_branch .LBB42_7
.LBB42_6:                               ;   in Loop: Header=BB42_7 Depth=1
	s_or_b64 exec, exec, s[14:15]
	s_add_u32 s36, s36, 1
	s_addc_u32 s37, s37, 0
	v_cmp_ge_i64_e32 vcc, s[36:37], v[14:15]
	s_cbranch_vccnz .LBB42_34
.LBB42_7:                               ; =>This Loop Header: Depth=1
                                        ;     Child Loop BB42_9 Depth 2
                                        ;     Child Loop BB42_23 Depth 2
	;; [unrolled: 1-line block ×5, first 2 shown]
	s_lshl_b64 s[14:15], s[36:37], 3
	s_add_u32 s14, s16, s14
	s_addc_u32 s15, s17, s15
	s_load_dwordx4 s[40:43], s[14:15], 0x0
	v_mov_b32_e32 v8, 0
	v_mov_b32_e32 v9, 0
	s_waitcnt lgkmcnt(0)
	s_sub_u32 s38, s42, s34
	v_mov_b32_e32 v6, s41
	v_add_co_u32_e32 v10, vcc, s40, v1
	s_subb_u32 s39, s43, 0
	v_addc_co_u32_e32 v11, vcc, v6, v18, vcc
	v_cmp_gt_i64_e32 vcc, s[38:39], v[10:11]
	v_mov_b32_e32 v6, 0
	v_mov_b32_e32 v7, 0
	s_and_saveexec_b64 s[40:41], vcc
	s_cbranch_execz .LBB42_11
; %bb.8:                                ;   in Loop: Header=BB42_7 Depth=1
	v_lshlrev_b64 v[6:7], 3, v[10:11]
	v_mov_b32_e32 v8, s19
	v_add_co_u32_e32 v12, vcc, s18, v6
	v_addc_co_u32_e32 v13, vcc, v8, v7, vcc
	v_lshlrev_b64 v[6:7], 4, v[10:11]
	v_mov_b32_e32 v8, s44
	v_add_co_u32_e32 v16, vcc, s35, v6
	v_addc_co_u32_e32 v17, vcc, v8, v7, vcc
	v_mov_b32_e32 v8, 0
	v_mov_b32_e32 v9, 0
	;; [unrolled: 1-line block ×3, first 2 shown]
	s_mov_b64 s[42:43], 0
	v_mov_b32_e32 v7, v9
.LBB42_9:                               ;   Parent Loop BB42_7 Depth=1
                                        ; =>  This Inner Loop Header: Depth=2
	global_load_dwordx2 v[24:25], v[12:13], off
	global_load_dwordx4 v[20:23], v[16:17], off offset:-8
	v_mov_b32_e32 v27, s23
	s_waitcnt vmcnt(1)
	v_subrev_co_u32_e32 v24, vcc, s34, v24
	v_subbrev_co_u32_e32 v25, vcc, 0, v25, vcc
	v_lshlrev_b64 v[24:25], 4, v[24:25]
	v_add_co_u32_e32 v24, vcc, s22, v24
	v_addc_co_u32_e32 v25, vcc, v27, v25, vcc
	global_load_dwordx4 v[27:30], v[24:25], off
	s_waitcnt vmcnt(1)
	v_xor_b32_e32 v24, 0x80000000, v23
	v_cndmask_b32_e64 v23, v23, v24, s[0:1]
	v_add_co_u32_e32 v10, vcc, s33, v10
	v_addc_co_u32_e32 v11, vcc, 0, v11, vcc
	v_add_co_u32_e32 v12, vcc, 0x800, v12
	v_addc_co_u32_e32 v13, vcc, 0, v13, vcc
	v_cmp_le_i64_e64 s[14:15], s[38:39], v[10:11]
	v_add_co_u32_e32 v16, vcc, 0x1000, v16
	s_or_b64 s[42:43], s[14:15], s[42:43]
	v_addc_co_u32_e32 v17, vcc, 0, v17, vcc
	s_waitcnt vmcnt(0)
	v_fma_f64 v[6:7], v[20:21], v[27:28], v[6:7]
	v_fma_f64 v[8:9], v[22:23], v[27:28], v[8:9]
	v_fma_f64 v[6:7], -v[22:23], v[29:30], v[6:7]
	v_fma_f64 v[8:9], v[20:21], v[29:30], v[8:9]
	s_andn2_b64 exec, exec, s[42:43]
	s_cbranch_execnz .LBB42_9
; %bb.10:                               ;   in Loop: Header=BB42_7 Depth=1
	s_or_b64 exec, exec, s[42:43]
.LBB42_11:                              ;   in Loop: Header=BB42_7 Depth=1
	s_or_b64 exec, exec, s[40:41]
	ds_write_b128 v26, v[6:9]
	s_waitcnt lgkmcnt(0)
	s_barrier
	s_and_saveexec_b64 s[14:15], s[2:3]
	s_cbranch_execz .LBB42_13
; %bb.12:                               ;   in Loop: Header=BB42_7 Depth=1
	ds_read_b128 v[6:9], v26 offset:4096
	ds_read_b128 v[10:13], v26 offset:8192
	ds_read_b128 v[20:23], v26 offset:12288
	ds_read_b128 v[27:30], v26
	s_waitcnt lgkmcnt(2)
	v_add_f64 v[6:7], v[10:11], v[6:7]
	v_add_f64 v[8:9], v[12:13], v[8:9]
	s_waitcnt lgkmcnt(1)
	v_add_f64 v[6:7], v[6:7], v[20:21]
	v_add_f64 v[8:9], v[8:9], v[22:23]
	s_waitcnt lgkmcnt(0)
	v_add_f64 v[6:7], v[6:7], v[27:28]
	v_add_f64 v[8:9], v[8:9], v[29:30]
	ds_write_b128 v26, v[6:9]
.LBB42_13:                              ;   in Loop: Header=BB42_7 Depth=1
	s_or_b64 exec, exec, s[14:15]
	s_waitcnt lgkmcnt(0)
	s_barrier
	s_and_saveexec_b64 s[14:15], s[6:7]
	s_cbranch_execz .LBB42_15
; %bb.14:                               ;   in Loop: Header=BB42_7 Depth=1
	ds_read_b128 v[6:9], v26 offset:1024
	ds_read_b128 v[10:13], v26 offset:2048
	ds_read_b128 v[20:23], v26 offset:3072
	ds_read_b128 v[27:30], v26
	s_waitcnt lgkmcnt(2)
	v_add_f64 v[6:7], v[10:11], v[6:7]
	v_add_f64 v[8:9], v[12:13], v[8:9]
	s_waitcnt lgkmcnt(1)
	v_add_f64 v[6:7], v[6:7], v[20:21]
	v_add_f64 v[8:9], v[8:9], v[22:23]
	s_waitcnt lgkmcnt(0)
	v_add_f64 v[6:7], v[6:7], v[27:28]
	v_add_f64 v[8:9], v[8:9], v[29:30]
	ds_write_b128 v26, v[6:9]
.LBB42_15:                              ;   in Loop: Header=BB42_7 Depth=1
	s_or_b64 exec, exec, s[14:15]
	;; [unrolled: 21-line block ×5, first 2 shown]
	s_waitcnt lgkmcnt(0)
	s_barrier
	s_and_saveexec_b64 s[14:15], s[12:13]
	s_cbranch_execz .LBB42_6
; %bb.22:                               ;   in Loop: Header=BB42_7 Depth=1
	ds_read_b128 v[6:9], v19
	v_mov_b32_e32 v16, 0
	s_mov_b64 s[38:39], exec
	v_bfrev_b32_e32 v17, 1
	s_waitcnt lgkmcnt(0)
	v_mul_f64 v[10:11], v[8:9], -v[4:5]
	v_fma_f64 v[10:11], v[2:3], v[6:7], v[10:11]
.LBB42_23:                              ;   Parent Loop BB42_7 Depth=1
                                        ; =>  This Inner Loop Header: Depth=2
	s_ff1_i32_b64 s42, s[38:39]
	v_readlane_b32 s41, v11, s42
	v_readlane_b32 s40, v10, s42
	v_add_f64 v[16:17], v[16:17], s[40:41]
	s_lshl_b64 s[40:41], 1, s42
	s_andn2_b64 s[38:39], s[38:39], s[40:41]
	s_cmp_lg_u64 s[38:39], 0
	s_cbranch_scc1 .LBB42_23
; %bb.24:                               ;   in Loop: Header=BB42_7 Depth=1
	s_lshl_b64 s[38:39], s[36:37], 4
	v_mbcnt_lo_u32_b32 v10, exec_lo, 0
	s_add_u32 s38, s28, s38
	v_mbcnt_hi_u32_b32 v10, exec_hi, v10
	s_addc_u32 s39, s29, s39
	v_cmp_eq_u32_e32 vcc, 0, v10
	s_and_saveexec_b64 s[40:41], vcc
	s_xor_b64 s[40:41], exec, s[40:41]
	s_cbranch_execz .LBB42_28
; %bb.25:                               ;   in Loop: Header=BB42_7 Depth=1
	global_load_dwordx2 v[12:13], v19, s[38:39]
	s_mov_b64 s[42:43], 0
.LBB42_26:                              ;   Parent Loop BB42_7 Depth=1
                                        ; =>  This Inner Loop Header: Depth=2
	s_waitcnt vmcnt(0)
	v_add_f64 v[10:11], v[12:13], v[16:17]
	global_atomic_cmpswap_x2 v[10:11], v19, v[10:13], s[38:39] glc
	s_waitcnt vmcnt(0)
	v_cmp_eq_u64_e32 vcc, v[10:11], v[12:13]
	v_mov_b32_e32 v13, v11
	s_or_b64 s[42:43], vcc, s[42:43]
	v_mov_b32_e32 v12, v10
	s_andn2_b64 exec, exec, s[42:43]
	s_cbranch_execnz .LBB42_26
; %bb.27:                               ;   in Loop: Header=BB42_7 Depth=1
	s_or_b64 exec, exec, s[42:43]
.LBB42_28:                              ;   in Loop: Header=BB42_7 Depth=1
	s_or_b64 exec, exec, s[40:41]
	v_mul_f64 v[8:9], v[2:3], v[8:9]
	v_mov_b32_e32 v10, 0
	s_mov_b64 s[40:41], exec
	v_bfrev_b32_e32 v11, 1
	v_fma_f64 v[6:7], v[4:5], v[6:7], v[8:9]
.LBB42_29:                              ;   Parent Loop BB42_7 Depth=1
                                        ; =>  This Inner Loop Header: Depth=2
	s_ff1_i32_b64 s45, s[40:41]
	v_readlane_b32 s43, v7, s45
	v_readlane_b32 s42, v6, s45
	v_add_f64 v[10:11], v[10:11], s[42:43]
	s_lshl_b64 s[42:43], 1, s45
	s_andn2_b64 s[40:41], s[40:41], s[42:43]
	s_cmp_lg_u64 s[40:41], 0
	s_cbranch_scc1 .LBB42_29
; %bb.30:                               ;   in Loop: Header=BB42_7 Depth=1
	v_mbcnt_lo_u32_b32 v6, exec_lo, 0
	v_mbcnt_hi_u32_b32 v6, exec_hi, v6
	v_cmp_eq_u32_e32 vcc, 0, v6
	s_and_saveexec_b64 s[40:41], vcc
	s_xor_b64 s[40:41], exec, s[40:41]
	s_cbranch_execz .LBB42_6
; %bb.31:                               ;   in Loop: Header=BB42_7 Depth=1
	global_load_dwordx2 v[8:9], v19, s[38:39] offset:8
	s_mov_b64 s[40:41], 0
.LBB42_32:                              ;   Parent Loop BB42_7 Depth=1
                                        ; =>  This Inner Loop Header: Depth=2
	s_waitcnt vmcnt(0)
	v_add_f64 v[6:7], v[8:9], v[10:11]
	global_atomic_cmpswap_x2 v[6:7], v19, v[6:9], s[38:39] offset:8 glc
	s_waitcnt vmcnt(0)
	v_cmp_eq_u64_e32 vcc, v[6:7], v[8:9]
	v_mov_b32_e32 v9, v7
	s_or_b64 s[40:41], vcc, s[40:41]
	v_mov_b32_e32 v8, v6
	s_andn2_b64 exec, exec, s[40:41]
	s_cbranch_execnz .LBB42_32
; %bb.33:                               ;   in Loop: Header=BB42_7 Depth=1
	s_or_b64 exec, exec, s[40:41]
	s_branch .LBB42_6
.LBB42_34:
	s_lshl_b64 s[2:3], s[24:25], 3
	s_add_u32 s2, s16, s2
	s_addc_u32 s3, s17, s3
	s_lshl_b64 s[6:7], s[26:27], 3
	s_add_u32 s6, s16, s6
	s_addc_u32 s7, s17, s7
	s_load_dwordx2 s[10:11], s[2:3], 0x0
	s_load_dwordx2 s[8:9], s[6:7], 0x0
	s_waitcnt lgkmcnt(0)
	v_mov_b32_e32 v6, s11
	s_sub_u32 s8, s8, s34
	v_add_co_u32_e32 v14, vcc, s10, v1
	s_subb_u32 s9, s9, 0
	v_addc_co_u32_e32 v15, vcc, v6, v18, vcc
	v_cmp_gt_i64_e32 vcc, s[8:9], v[14:15]
	s_and_saveexec_b64 s[10:11], vcc
	s_cbranch_execz .LBB42_46
; %bb.35:
	s_add_u32 s12, s26, -1
	s_addc_u32 s13, s27, -1
	v_mov_b32_e32 v6, s12
	s_add_u32 s2, s26, -2
	v_mov_b32_e32 v7, s13
	s_addc_u32 s3, s27, -1
	v_cmp_lt_i64_e32 vcc, s[24:25], v[6:7]
	s_cmp_lg_u64 s[24:25], s[2:3]
	s_cselect_b64 s[2:3], -1, 0
	s_and_b64 s[2:3], vcc, s[2:3]
	v_cndmask_b32_e64 v1, 0, 1, s[2:3]
	s_mov_b64 s[14:15], 0
	v_cmp_ne_u32_e64 s[2:3], 1, v1
	v_mov_b32_e32 v1, s17
	v_mov_b32_e32 v24, s19
	s_branch .LBB42_37
.LBB42_36:                              ;   in Loop: Header=BB42_37 Depth=1
	s_or_b64 exec, exec, s[6:7]
	v_add_co_u32_e32 v14, vcc, 0x100, v14
	v_addc_co_u32_e32 v15, vcc, 0, v15, vcc
	v_cmp_le_i64_e32 vcc, s[8:9], v[14:15]
	s_or_b64 s[14:15], vcc, s[14:15]
	s_andn2_b64 exec, exec, s[14:15]
	s_cbranch_execz .LBB42_46
.LBB42_37:                              ; =>This Loop Header: Depth=1
                                        ;     Child Loop BB42_39 Depth 2
                                        ;     Child Loop BB42_43 Depth 2
	;; [unrolled: 1-line block ×3, first 2 shown]
	v_mov_b32_e32 v6, s24
	v_mov_b32_e32 v8, s12
	s_and_b64 vcc, exec, s[2:3]
	v_mov_b32_e32 v7, s25
	v_mov_b32_e32 v9, s13
	s_cbranch_vccnz .LBB42_41
; %bb.38:                               ;   in Loop: Header=BB42_37 Depth=1
	v_mov_b32_e32 v6, s24
	v_mov_b32_e32 v8, s12
	s_mov_b64 s[36:37], 0
	v_mov_b32_e32 v7, s25
	v_mov_b32_e32 v9, s13
.LBB42_39:                              ;   Parent Loop BB42_37 Depth=1
                                        ; =>  This Inner Loop Header: Depth=2
	v_add_co_u32_e32 v10, vcc, v8, v6
	v_addc_co_u32_e32 v11, vcc, v9, v7, vcc
	v_lshrrev_b32_e32 v12, 31, v11
	v_add_co_u32_e32 v10, vcc, v10, v12
	v_addc_co_u32_e32 v11, vcc, 0, v11, vcc
	v_ashrrev_i64 v[10:11], 1, v[10:11]
	v_mov_b32_e32 v16, s17
	v_lshlrev_b64 v[12:13], 3, v[10:11]
	v_add_co_u32_e32 v12, vcc, s16, v12
	v_addc_co_u32_e32 v13, vcc, v16, v13, vcc
	global_load_dwordx2 v[12:13], v[12:13], off
	s_waitcnt vmcnt(0)
	v_subrev_co_u32_e32 v12, vcc, s34, v12
	v_subbrev_co_u32_e32 v13, vcc, 0, v13, vcc
	v_cmp_lt_i64_e32 vcc, v[14:15], v[12:13]
	v_cndmask_b32_e32 v8, v8, v10, vcc
	v_cndmask_b32_e32 v9, v9, v11, vcc
	;; [unrolled: 1-line block ×3, first 2 shown]
	v_add_co_u32_e64 v10, s[6:7], -1, v8
	v_cndmask_b32_e32 v7, v11, v7, vcc
	v_addc_co_u32_e64 v11, s[6:7], -1, v9, s[6:7]
	v_cmp_ge_i64_e32 vcc, v[6:7], v[8:9]
	v_cmp_eq_u64_e64 s[6:7], v[6:7], v[10:11]
	s_or_b64 s[6:7], vcc, s[6:7]
	s_and_b64 s[6:7], exec, s[6:7]
	s_or_b64 s[36:37], s[6:7], s[36:37]
	s_andn2_b64 exec, exec, s[36:37]
	s_cbranch_execnz .LBB42_39
; %bb.40:                               ;   in Loop: Header=BB42_37 Depth=1
	s_or_b64 exec, exec, s[36:37]
.LBB42_41:                              ;   in Loop: Header=BB42_37 Depth=1
	v_lshlrev_b64 v[10:11], 3, v[8:9]
	v_lshlrev_b64 v[12:13], 3, v[14:15]
	v_add_co_u32_e32 v10, vcc, s16, v10
	v_addc_co_u32_e32 v11, vcc, v1, v11, vcc
	global_load_dwordx2 v[10:11], v[10:11], off
	v_add_co_u32_e32 v12, vcc, s18, v12
	v_addc_co_u32_e32 v13, vcc, v24, v13, vcc
	global_load_dwordx2 v[12:13], v[12:13], off
	s_waitcnt vmcnt(1)
	v_subrev_co_u32_e32 v10, vcc, s34, v10
	v_subbrev_co_u32_e32 v11, vcc, 0, v11, vcc
	v_cmp_lt_i64_e32 vcc, v[14:15], v[10:11]
	v_cndmask_b32_e32 v7, v9, v7, vcc
	v_cndmask_b32_e32 v6, v8, v6, vcc
	s_waitcnt vmcnt(0)
	v_subrev_co_u32_e32 v10, vcc, s34, v12
	v_subbrev_co_u32_e32 v11, vcc, 0, v13, vcc
	v_cmp_ne_u64_e32 vcc, v[10:11], v[6:7]
	s_and_saveexec_b64 s[6:7], vcc
	s_cbranch_execz .LBB42_36
; %bb.42:                               ;   in Loop: Header=BB42_37 Depth=1
	v_lshlrev_b64 v[8:9], 4, v[14:15]
	v_mov_b32_e32 v12, s21
	v_add_co_u32_e32 v8, vcc, s20, v8
	v_addc_co_u32_e32 v9, vcc, v12, v9, vcc
	global_load_dwordx4 v[20:23], v[8:9], off
	v_lshlrev_b64 v[6:7], 4, v[6:7]
	v_mov_b32_e32 v8, s23
	v_add_co_u32_e32 v6, vcc, s22, v6
	v_addc_co_u32_e32 v7, vcc, v8, v7, vcc
	global_load_dwordx4 v[6:9], v[6:7], off
	v_lshlrev_b64 v[10:11], 4, v[10:11]
	v_mov_b32_e32 v12, s29
	v_add_co_u32_e32 v16, vcc, s28, v10
	v_addc_co_u32_e32 v17, vcc, v12, v11, vcc
	global_load_dwordx2 v[12:13], v[16:17], off
	s_mov_b64 s[36:37], 0
	s_waitcnt vmcnt(2)
	v_xor_b32_e32 v10, 0x80000000, v23
	v_cndmask_b32_e64 v23, v23, v10, s[0:1]
	v_mul_f64 v[10:11], v[2:3], v[22:23]
	v_mul_f64 v[22:23], v[22:23], -v[4:5]
	v_fma_f64 v[18:19], v[4:5], v[20:21], v[10:11]
	v_fma_f64 v[20:21], v[2:3], v[20:21], v[22:23]
	s_waitcnt vmcnt(1)
	v_mul_f64 v[10:11], v[8:9], -v[18:19]
	v_fma_f64 v[22:23], v[20:21], v[6:7], v[10:11]
.LBB42_43:                              ;   Parent Loop BB42_37 Depth=1
                                        ; =>  This Inner Loop Header: Depth=2
	s_waitcnt vmcnt(0)
	v_add_f64 v[10:11], v[12:13], v[22:23]
	global_atomic_cmpswap_x2 v[10:11], v[16:17], v[10:13], off glc
	s_waitcnt vmcnt(0)
	v_cmp_eq_u64_e32 vcc, v[10:11], v[12:13]
	v_mov_b32_e32 v13, v11
	s_or_b64 s[36:37], vcc, s[36:37]
	v_mov_b32_e32 v12, v10
	s_andn2_b64 exec, exec, s[36:37]
	s_cbranch_execnz .LBB42_43
; %bb.44:                               ;   in Loop: Header=BB42_37 Depth=1
	s_or_b64 exec, exec, s[36:37]
	global_load_dwordx2 v[10:11], v[16:17], off offset:8
	v_mul_f64 v[8:9], v[8:9], v[20:21]
	s_mov_b64 s[36:37], 0
	v_fma_f64 v[6:7], v[18:19], v[6:7], v[8:9]
.LBB42_45:                              ;   Parent Loop BB42_37 Depth=1
                                        ; =>  This Inner Loop Header: Depth=2
	s_waitcnt vmcnt(0)
	v_add_f64 v[8:9], v[10:11], v[6:7]
	global_atomic_cmpswap_x2 v[8:9], v[16:17], v[8:11], off offset:8 glc
	s_waitcnt vmcnt(0)
	v_cmp_eq_u64_e32 vcc, v[8:9], v[10:11]
	v_mov_b32_e32 v11, v9
	s_or_b64 s[36:37], vcc, s[36:37]
	v_mov_b32_e32 v10, v8
	s_andn2_b64 exec, exec, s[36:37]
	s_cbranch_execnz .LBB42_45
	s_branch .LBB42_36
.LBB42_46:
	s_or_b64 exec, exec, s[10:11]
	s_mov_b64 s[2:3], 0
.LBB42_47:
	s_and_b64 vcc, exec, s[2:3]
	s_cbranch_vccz .LBB42_199
; %bb.48:
	s_load_dword s2, s[4:5], 0x7c
	v_mov_b32_e32 v6, s30
	s_mov_b32 s13, 0
	v_mov_b32_e32 v7, s31
	s_mov_b64 s[36:37], 0
	s_waitcnt lgkmcnt(0)
	s_and_b32 s12, s2, 0xffff
	v_cmp_lt_u64_e32 vcc, s[12:13], v[6:7]
	s_cbranch_vccnz .LBB42_50
; %bb.49:
	v_cvt_f32_u32_e32 v1, s30
	s_sub_i32 s2, 0, s30
	v_rcp_iflag_f32_e32 v1, v1
	v_mul_f32_e32 v1, 0x4f7ffffe, v1
	v_cvt_u32_f32_e32 v1, v1
	v_readfirstlane_b32 s3, v1
	s_mul_i32 s2, s2, s3
	s_mul_hi_u32 s2, s3, s2
	s_add_i32 s3, s3, s2
	s_mul_hi_u32 s2, s12, s3
	s_mul_i32 s6, s2, s30
	s_sub_i32 s6, s12, s6
	s_add_i32 s3, s2, 1
	s_sub_i32 s7, s6, s30
	s_cmp_ge_u32 s6, s30
	s_cselect_b32 s2, s3, s2
	s_cselect_b32 s6, s7, s6
	s_add_i32 s3, s2, 1
	s_cmp_ge_u32 s6, s30
	s_cselect_b32 s36, s3, s2
.LBB42_50:
	s_lshl_b64 s[2:3], s[24:25], 3
	s_add_u32 s14, s16, s2
	s_addc_u32 s15, s17, s3
	s_load_dwordx2 s[6:7], s[14:15], 0x0
	s_load_dwordx4 s[8:11], s[4:5], 0x8
	v_subrev_co_u32_e32 v1, vcc, s34, v0
	v_subb_co_u32_e64 v6, s[2:3], 0, 0, vcc
	s_waitcnt lgkmcnt(0)
	v_mov_b32_e32 v7, s7
	v_add_co_u32_e32 v14, vcc, s6, v1
	v_addc_co_u32_e32 v15, vcc, v7, v6, vcc
	v_add_co_u32_e32 v16, vcc, 0x300, v14
	v_addc_co_u32_e32 v17, vcc, 0, v15, vcc
	v_cmp_le_i64_e64 s[2:3], s[8:9], v[16:17]
	v_mov_b32_e32 v1, 0
	s_and_saveexec_b64 s[4:5], s[2:3]
	s_xor_b64 s[4:5], exec, s[4:5]
	s_cbranch_execnz .LBB42_53
; %bb.51:
	s_andn2_saveexec_b64 s[4:5], s[4:5]
	s_cbranch_execnz .LBB42_57
.LBB42_52:
	s_or_b64 exec, exec, s[4:5]
	v_cmp_gt_i64_e32 vcc, s[10:11], v[0:1]
	s_and_saveexec_b64 s[0:1], vcc
	s_cbranch_execnz .LBB42_58
	s_branch .LBB42_60
.LBB42_53:
	s_lshl_b64 s[8:9], s[26:27], 3
	s_add_u32 s8, s16, s8
	s_addc_u32 s9, s17, s9
	s_load_dwordx2 s[8:9], s[8:9], 0x0
	s_waitcnt lgkmcnt(0)
	s_sub_u32 s8, s8, s6
	s_subb_u32 s9, s9, s7
	v_cmp_gt_i64_e32 vcc, s[8:9], v[0:1]
	s_and_saveexec_b64 s[38:39], vcc
	s_cbranch_execz .LBB42_56
; %bb.54:
	v_lshlrev_b64 v[6:7], 4, v[14:15]
	v_mov_b32_e32 v8, s21
	v_add_co_u32_e32 v6, vcc, s20, v6
	v_addc_co_u32_e32 v7, vcc, v8, v7, vcc
	v_add_co_u32_e32 v6, vcc, 8, v6
	v_mov_b32_e32 v9, v1
	v_addc_co_u32_e32 v7, vcc, 0, v7, vcc
	s_mov_b64 s[40:41], 0
	v_mov_b32_e32 v10, v26
	v_mov_b32_e32 v8, v0
.LBB42_55:                              ; =>This Inner Loop Header: Depth=1
	global_load_dwordx4 v[18:21], v[6:7], off offset:-8
	v_add_co_u32_e32 v6, vcc, 0x1000, v6
	v_addc_co_u32_e32 v7, vcc, 0, v7, vcc
	v_add_co_u32_e32 v8, vcc, 0x100, v8
	v_addc_co_u32_e32 v9, vcc, 0, v9, vcc
	v_cmp_le_i64_e32 vcc, s[8:9], v[8:9]
	s_or_b64 s[40:41], vcc, s[40:41]
	s_waitcnt vmcnt(0)
	v_xor_b32_e32 v11, 0x80000000, v21
	v_cndmask_b32_e64 v21, v21, v11, s[0:1]
	v_mul_f64 v[11:12], v[20:21], -v[4:5]
	v_mul_f64 v[22:23], v[2:3], v[20:21]
	v_fma_f64 v[20:21], v[2:3], v[18:19], v[11:12]
	v_fma_f64 v[22:23], v[4:5], v[18:19], v[22:23]
	ds_write_b128 v10, v[20:23]
	v_add_u32_e32 v10, 0x1000, v10
	s_andn2_b64 exec, exec, s[40:41]
	s_cbranch_execnz .LBB42_55
.LBB42_56:
	s_or_b64 exec, exec, s[38:39]
                                        ; implicit-def: $vgpr4_vgpr5
	s_andn2_saveexec_b64 s[4:5], s[4:5]
	s_cbranch_execz .LBB42_52
.LBB42_57:
	v_lshlrev_b64 v[6:7], 4, v[14:15]
	v_mov_b32_e32 v8, s21
	v_add_co_u32_e32 v22, vcc, s20, v6
	v_addc_co_u32_e32 v23, vcc, v8, v7, vcc
	s_movk_i32 s8, 0x2000
	v_add_co_u32_e32 v24, vcc, s8, v22
	global_load_dwordx4 v[6:9], v[22:23], off
	v_addc_co_u32_e32 v25, vcc, 0, v23, vcc
	s_movk_i32 s8, 0x3000
	v_add_co_u32_e32 v22, vcc, s8, v22
	global_load_dwordx4 v[10:13], v[24:25], off offset:-4096
	global_load_dwordx4 v[18:21], v[24:25], off
	v_addc_co_u32_e32 v23, vcc, 0, v23, vcc
	global_load_dwordx4 v[22:25], v[22:23], off
	s_waitcnt vmcnt(3)
	v_xor_b32_e32 v27, 0x80000000, v9
	v_cndmask_b32_e64 v9, v9, v27, s[0:1]
	v_mul_f64 v[27:28], v[8:9], -v[4:5]
	v_mul_f64 v[8:9], v[2:3], v[8:9]
	s_waitcnt vmcnt(2)
	v_xor_b32_e32 v29, 0x80000000, v13
	s_waitcnt vmcnt(1)
	v_xor_b32_e32 v30, 0x80000000, v21
	v_cndmask_b32_e64 v13, v13, v29, s[0:1]
	v_cndmask_b32_e64 v21, v21, v30, s[0:1]
	s_waitcnt vmcnt(0)
	v_xor_b32_e32 v29, 0x80000000, v25
	v_mul_f64 v[31:32], v[12:13], -v[4:5]
	v_mul_f64 v[12:13], v[2:3], v[12:13]
	v_mul_f64 v[33:34], v[20:21], -v[4:5]
	v_mul_f64 v[20:21], v[2:3], v[20:21]
	v_cndmask_b32_e64 v25, v25, v29, s[0:1]
	v_mul_f64 v[35:36], v[24:25], -v[4:5]
	v_mul_f64 v[24:25], v[2:3], v[24:25]
	v_fma_f64 v[27:28], v[2:3], v[6:7], v[27:28]
	v_fma_f64 v[29:30], v[4:5], v[6:7], v[8:9]
	;; [unrolled: 1-line block ×8, first 2 shown]
	ds_write_b128 v26, v[27:30]
	ds_write_b128 v26, v[6:9] offset:4096
	ds_write_b128 v26, v[10:13] offset:8192
	;; [unrolled: 1-line block ×3, first 2 shown]
	s_or_b64 exec, exec, s[4:5]
	v_cmp_gt_i64_e32 vcc, s[10:11], v[0:1]
	s_and_saveexec_b64 s[0:1], vcc
	s_cbranch_execz .LBB42_60
.LBB42_58:
	s_mov_b32 s8, 0
	v_mov_b32_e32 v2, 0x4000
	s_mov_b32 s20, s8
	v_lshl_add_u32 v8, v0, 4, v2
	s_mov_b32 s9, s8
	s_mov_b32 s21, s8
	v_mov_b32_e32 v2, s8
	v_mov_b32_e32 v4, s20
	;; [unrolled: 1-line block ×3, first 2 shown]
	s_mov_b64 s[4:5], 0
	v_mov_b32_e32 v3, s9
	v_mov_b32_e32 v5, s21
	v_mov_b32_e32 v6, v0
.LBB42_59:                              ; =>This Inner Loop Header: Depth=1
	v_add_co_u32_e32 v6, vcc, 0x100, v6
	v_addc_co_u32_e32 v7, vcc, 0, v7, vcc
	v_cmp_le_i64_e32 vcc, s[10:11], v[6:7]
	ds_write2_b64 v8, v[2:3], v[4:5] offset1:1
	s_or_b64 s[4:5], vcc, s[4:5]
	v_add_u32_e32 v8, 0x1000, v8
	s_andn2_b64 exec, exec, s[4:5]
	s_cbranch_execnz .LBB42_59
.LBB42_60:
	s_or_b64 exec, exec, s[0:1]
	v_mov_b32_e32 v2, s10
	v_mov_b32_e32 v3, s11
	s_sub_u32 s4, s26, s10
	v_cmp_ge_i64_e32 vcc, s[26:27], v[2:3]
	s_subb_u32 s5, s27, s11
	s_and_b64 s[0:1], vcc, exec
	s_cselect_b32 s9, s5, 0
	s_cselect_b32 s8, s4, 0
	s_waitcnt lgkmcnt(0)
	s_barrier
	s_and_saveexec_b64 s[0:1], s[2:3]
	s_xor_b64 s[20:21], exec, s[0:1]
	s_cbranch_execz .LBB42_85
; %bb.61:
	s_lshl_b64 s[0:1], s[26:27], 3
	s_add_u32 s0, s16, s0
	s_addc_u32 s1, s17, s1
	s_load_dwordx2 s[0:1], s[0:1], 0x0
	s_waitcnt lgkmcnt(0)
	s_sub_u32 s38, s0, s6
	s_subb_u32 s39, s1, s7
	v_cmp_gt_i64_e32 vcc, s[38:39], v[0:1]
	s_and_saveexec_b64 s[40:41], vcc
	s_cbranch_execz .LBB42_84
; %bb.62:
	s_add_u32 s42, s26, -1
	s_addc_u32 s43, s27, -1
	s_add_u32 s2, s26, -2
	s_addc_u32 s3, s27, -1
	s_cmp_lg_u64 s[24:25], s[2:3]
	s_cselect_b64 s[2:3], -1, 0
	s_sub_u32 s44, s0, s34
	v_cndmask_b32_e64 v2, 0, 1, s[2:3]
	s_subb_u32 s45, s1, 0
	s_mov_b64 s[46:47], 0
	v_cmp_ne_u32_e64 s[0:1], 1, v2
	v_mov_b32_e32 v24, s17
	v_mov_b32_e32 v25, s19
	v_mov_b32_e32 v27, s23
	v_mov_b32_e32 v28, 0x4000
	s_mov_b64 s[48:49], 0
	s_branch .LBB42_65
.LBB42_63:                              ;   in Loop: Header=BB42_65 Depth=1
	s_or_b64 exec, exec, s[2:3]
.LBB42_64:                              ;   in Loop: Header=BB42_65 Depth=1
	s_or_b64 exec, exec, s[4:5]
	v_lshlrev_b64 v[6:7], 4, v[16:17]
	s_add_u32 s48, s48, 0x100
	v_add_co_u32_e32 v6, vcc, s22, v6
	v_addc_co_u32_e32 v7, vcc, v27, v7, vcc
	global_load_dwordx4 v[6:9], v[6:7], off
	s_addc_u32 s49, s49, 0
	s_waitcnt vmcnt(0)
	v_mul_f64 v[10:11], v[8:9], v[18:19]
	v_mul_f64 v[8:9], v[8:9], v[2:3]
	v_fma_f64 v[2:3], v[2:3], v[6:7], v[10:11]
	v_fma_f64 v[4:5], v[4:5], v[6:7], v[8:9]
	v_mov_b32_e32 v7, s49
	v_add_co_u32_e32 v6, vcc, s48, v0
	v_addc_co_u32_e32 v7, vcc, 0, v7, vcc
	v_cmp_le_i64_e32 vcc, s[38:39], v[6:7]
	v_lshlrev_b32_e32 v6, 4, v29
	s_or_b64 s[46:47], vcc, s[46:47]
	ds_write_b128 v6, v[2:5]
	s_andn2_b64 exec, exec, s[46:47]
	s_cbranch_execz .LBB42_84
.LBB42_65:                              ; =>This Loop Header: Depth=1
                                        ;     Child Loop BB42_67 Depth 2
                                        ;     Child Loop BB42_74 Depth 2
	;; [unrolled: 1-line block ×5, first 2 shown]
	v_mov_b32_e32 v3, s49
	v_add_co_u32_e32 v2, vcc, s48, v14
	v_addc_co_u32_e32 v3, vcc, v3, v15, vcc
	v_mov_b32_e32 v4, s24
	v_mov_b32_e32 v6, s42
	s_and_b64 vcc, exec, s[0:1]
	v_mov_b32_e32 v5, s25
	v_mov_b32_e32 v7, s43
	s_cbranch_vccnz .LBB42_69
; %bb.66:                               ;   in Loop: Header=BB42_65 Depth=1
	v_mov_b32_e32 v4, s24
	v_mov_b32_e32 v6, s42
	s_mov_b64 s[4:5], 0
	v_mov_b32_e32 v5, s25
	v_mov_b32_e32 v7, s43
.LBB42_67:                              ;   Parent Loop BB42_65 Depth=1
                                        ; =>  This Inner Loop Header: Depth=2
	v_add_co_u32_e32 v8, vcc, v6, v4
	v_addc_co_u32_e32 v9, vcc, v7, v5, vcc
	v_lshrrev_b32_e32 v10, 31, v9
	v_add_co_u32_e32 v8, vcc, v8, v10
	v_addc_co_u32_e32 v9, vcc, 0, v9, vcc
	v_ashrrev_i64 v[8:9], 1, v[8:9]
	v_mov_b32_e32 v12, s17
	v_lshlrev_b64 v[10:11], 3, v[8:9]
	v_add_co_u32_e32 v10, vcc, s16, v10
	v_addc_co_u32_e32 v11, vcc, v12, v11, vcc
	global_load_dwordx2 v[10:11], v[10:11], off
	s_waitcnt vmcnt(0)
	v_subrev_co_u32_e32 v10, vcc, s34, v10
	v_subbrev_co_u32_e32 v11, vcc, 0, v11, vcc
	v_cmp_lt_i64_e32 vcc, v[2:3], v[10:11]
	v_cndmask_b32_e32 v6, v6, v8, vcc
	v_cndmask_b32_e32 v7, v7, v9, vcc
	;; [unrolled: 1-line block ×3, first 2 shown]
	v_add_co_u32_e64 v8, s[2:3], -1, v6
	v_cndmask_b32_e32 v5, v9, v5, vcc
	v_addc_co_u32_e64 v9, s[2:3], -1, v7, s[2:3]
	v_cmp_ge_i64_e32 vcc, v[4:5], v[6:7]
	v_cmp_eq_u64_e64 s[2:3], v[4:5], v[8:9]
	s_or_b64 s[2:3], vcc, s[2:3]
	s_and_b64 s[2:3], exec, s[2:3]
	s_or_b64 s[4:5], s[2:3], s[4:5]
	s_andn2_b64 exec, exec, s[4:5]
	s_cbranch_execnz .LBB42_67
; %bb.68:                               ;   in Loop: Header=BB42_65 Depth=1
	s_or_b64 exec, exec, s[4:5]
.LBB42_69:                              ;   in Loop: Header=BB42_65 Depth=1
	v_lshlrev_b64 v[8:9], 3, v[6:7]
	v_lshlrev_b64 v[10:11], 3, v[2:3]
	v_add_co_u32_e32 v8, vcc, s16, v8
	v_addc_co_u32_e32 v9, vcc, v24, v9, vcc
	global_load_dwordx2 v[8:9], v[8:9], off
	v_add_co_u32_e32 v10, vcc, s18, v10
	v_addc_co_u32_e32 v11, vcc, v25, v11, vcc
	global_load_dwordx2 v[10:11], v[10:11], off
	v_cmp_le_i64_e32 vcc, s[44:45], v[2:3]
	v_add_co_u32_e64 v29, s[4:5], s48, v0
                                        ; implicit-def: $vgpr18_vgpr19
	s_waitcnt vmcnt(1)
	v_subrev_co_u32_e64 v8, s[2:3], s34, v8
	v_subbrev_co_u32_e64 v9, s[2:3], 0, v9, s[2:3]
	s_waitcnt vmcnt(0)
	v_subrev_co_u32_e64 v16, s[2:3], s34, v10
	v_subbrev_co_u32_e64 v17, s[2:3], 0, v11, s[2:3]
	v_cmp_lt_i64_e64 s[2:3], v[2:3], v[8:9]
	v_lshlrev_b32_e32 v10, 4, v29
	v_cndmask_b32_e64 v7, v7, v5, s[2:3]
	v_cndmask_b32_e64 v6, v6, v4, s[2:3]
	v_cmp_eq_u64_e64 s[2:3], v[16:17], v[6:7]
                                        ; implicit-def: $vgpr2_vgpr3
	s_or_b64 s[2:3], s[2:3], vcc
	s_and_saveexec_b64 s[4:5], s[2:3]
	s_xor_b64 s[2:3], exec, s[4:5]
	s_cbranch_execz .LBB42_71
; %bb.70:                               ;   in Loop: Header=BB42_65 Depth=1
	ds_read_b128 v[2:5], v10
                                        ; implicit-def: $vgpr6_vgpr7
                                        ; implicit-def: $vgpr10
	s_waitcnt lgkmcnt(0)
	v_xor_b32_e32 v19, 0x80000000, v5
	v_mov_b32_e32 v18, v4
.LBB42_71:                              ;   in Loop: Header=BB42_65 Depth=1
	s_andn2_saveexec_b64 s[4:5], s[2:3]
	s_cbranch_execz .LBB42_64
; %bb.72:                               ;   in Loop: Header=BB42_65 Depth=1
	v_cmp_gt_i64_e32 vcc, s[8:9], v[16:17]
	v_cmp_le_i64_e64 s[2:3], s[26:27], v[16:17]
	v_lshlrev_b64 v[6:7], 4, v[6:7]
	s_or_b64 s[2:3], vcc, s[2:3]
                                        ; implicit-def: $vgpr2_vgpr3
                                        ; implicit-def: $vgpr18_vgpr19
	s_and_saveexec_b64 s[50:51], s[2:3]
	s_xor_b64 s[2:3], exec, s[50:51]
	s_cbranch_execz .LBB42_78
; %bb.73:                               ;   in Loop: Header=BB42_65 Depth=1
	v_mov_b32_e32 v3, s23
	v_add_co_u32_e32 v2, vcc, s22, v6
	v_addc_co_u32_e32 v3, vcc, v3, v7, vcc
	global_load_dwordx4 v[6:9], v[2:3], off
	v_lshlrev_b64 v[2:3], 4, v[16:17]
	v_mov_b32_e32 v4, s29
	v_add_co_u32_e32 v20, vcc, s28, v2
	v_addc_co_u32_e32 v21, vcc, v4, v3, vcc
	global_load_dwordx2 v[12:13], v[20:21], off
	ds_read_b128 v[2:5], v10
	s_mov_b64 s[50:51], 0
	s_waitcnt lgkmcnt(0)
	v_xor_b32_e32 v19, 0x80000000, v5
	v_mov_b32_e32 v18, v4
	s_waitcnt vmcnt(1)
	v_mul_f64 v[10:11], v[8:9], -v[4:5]
	v_fma_f64 v[22:23], v[2:3], v[6:7], v[10:11]
.LBB42_74:                              ;   Parent Loop BB42_65 Depth=1
                                        ; =>  This Inner Loop Header: Depth=2
	s_waitcnt vmcnt(0)
	v_add_f64 v[10:11], v[12:13], v[22:23]
	global_atomic_cmpswap_x2 v[10:11], v[20:21], v[10:13], off glc
	s_waitcnt vmcnt(0)
	v_cmp_eq_u64_e32 vcc, v[10:11], v[12:13]
	v_mov_b32_e32 v13, v11
	s_or_b64 s[50:51], vcc, s[50:51]
	v_mov_b32_e32 v12, v10
	s_andn2_b64 exec, exec, s[50:51]
	s_cbranch_execnz .LBB42_74
; %bb.75:                               ;   in Loop: Header=BB42_65 Depth=1
	s_or_b64 exec, exec, s[50:51]
	global_load_dwordx2 v[10:11], v[20:21], off offset:8
	v_mul_f64 v[8:9], v[8:9], v[2:3]
	s_mov_b64 s[50:51], 0
	v_fma_f64 v[6:7], v[4:5], v[6:7], v[8:9]
.LBB42_76:                              ;   Parent Loop BB42_65 Depth=1
                                        ; =>  This Inner Loop Header: Depth=2
	s_waitcnt vmcnt(0)
	v_add_f64 v[8:9], v[10:11], v[6:7]
	global_atomic_cmpswap_x2 v[8:9], v[20:21], v[8:11], off offset:8 glc
	s_waitcnt vmcnt(0)
	v_cmp_eq_u64_e32 vcc, v[8:9], v[10:11]
	v_mov_b32_e32 v11, v9
	s_or_b64 s[50:51], vcc, s[50:51]
	v_mov_b32_e32 v10, v8
	s_andn2_b64 exec, exec, s[50:51]
	s_cbranch_execnz .LBB42_76
; %bb.77:                               ;   in Loop: Header=BB42_65 Depth=1
	s_or_b64 exec, exec, s[50:51]
                                        ; implicit-def: $vgpr6_vgpr7
                                        ; implicit-def: $vgpr10
.LBB42_78:                              ;   in Loop: Header=BB42_65 Depth=1
	s_andn2_saveexec_b64 s[2:3], s[2:3]
	s_cbranch_execz .LBB42_63
; %bb.79:                               ;   in Loop: Header=BB42_65 Depth=1
	v_add_co_u32_e32 v2, vcc, s22, v6
	v_addc_co_u32_e32 v3, vcc, v27, v7, vcc
	global_load_dwordx4 v[6:9], v[2:3], off
	ds_read_b128 v[2:5], v10
	v_subrev_u32_e32 v12, s8, v16
	v_lshl_add_u32 v20, v12, 4, v28
	ds_read_b64 v[12:13], v20
	s_mov_b64 s[50:51], 0
	s_waitcnt lgkmcnt(1)
	v_xor_b32_e32 v19, 0x80000000, v5
	v_mov_b32_e32 v18, v4
	s_waitcnt vmcnt(0)
	v_mul_f64 v[10:11], v[8:9], -v[4:5]
	v_fma_f64 v[10:11], v[2:3], v[6:7], v[10:11]
.LBB42_80:                              ;   Parent Loop BB42_65 Depth=1
                                        ; =>  This Inner Loop Header: Depth=2
	s_waitcnt lgkmcnt(0)
	v_add_f64 v[21:22], v[12:13], v[10:11]
	ds_cmpst_rtn_b64 v[21:22], v20, v[12:13], v[21:22]
	s_waitcnt lgkmcnt(0)
	v_cmp_eq_u64_e32 vcc, v[21:22], v[12:13]
	v_mov_b32_e32 v12, v21
	s_or_b64 s[50:51], vcc, s[50:51]
	v_mov_b32_e32 v13, v22
	s_andn2_b64 exec, exec, s[50:51]
	s_cbranch_execnz .LBB42_80
; %bb.81:                               ;   in Loop: Header=BB42_65 Depth=1
	s_or_b64 exec, exec, s[50:51]
	v_mul_f64 v[8:9], v[8:9], v[2:3]
	s_mov_b64 s[50:51], 0
	v_fma_f64 v[6:7], v[4:5], v[6:7], v[8:9]
	ds_read_b64 v[8:9], v20 offset:8
.LBB42_82:                              ;   Parent Loop BB42_65 Depth=1
                                        ; =>  This Inner Loop Header: Depth=2
	s_waitcnt lgkmcnt(0)
	v_add_f64 v[10:11], v[8:9], v[6:7]
	ds_cmpst_rtn_b64 v[10:11], v20, v[8:9], v[10:11] offset:8
	s_waitcnt lgkmcnt(0)
	v_cmp_eq_u64_e32 vcc, v[10:11], v[8:9]
	v_mov_b32_e32 v8, v10
	s_or_b64 s[50:51], vcc, s[50:51]
	v_mov_b32_e32 v9, v11
	s_andn2_b64 exec, exec, s[50:51]
	s_cbranch_execnz .LBB42_82
; %bb.83:                               ;   in Loop: Header=BB42_65 Depth=1
	s_or_b64 exec, exec, s[50:51]
	s_branch .LBB42_63
.LBB42_84:
	s_or_b64 exec, exec, s[40:41]
                                        ; implicit-def: $vgpr16_vgpr17
                                        ; implicit-def: $vgpr14
.LBB42_85:
	s_andn2_saveexec_b64 s[4:5], s[20:21]
	s_cbranch_execz .LBB42_159
; %bb.86:
	s_add_u32 s20, s26, -1
	s_addc_u32 s21, s27, -1
	s_add_u32 s0, s26, -2
	s_addc_u32 s1, s27, -1
	s_cmp_lg_u64 s[24:25], s[0:1]
	v_mov_b32_e32 v2, s24
	v_mov_b32_e32 v4, s20
	s_cselect_b64 s[2:3], -1, 0
	s_cmp_eq_u64 s[24:25], s[0:1]
	v_mov_b32_e32 v3, s25
	v_mov_b32_e32 v5, s21
	s_cbranch_scc1 .LBB42_90
; %bb.87:
	v_mov_b32_e32 v2, s24
	v_mov_b32_e32 v4, s20
	s_mov_b64 s[38:39], 0
	v_mov_b32_e32 v3, s25
	v_mov_b32_e32 v5, s21
	;; [unrolled: 1-line block ×3, first 2 shown]
.LBB42_88:                              ; =>This Inner Loop Header: Depth=1
	v_add_co_u32_e32 v7, vcc, v4, v2
	v_addc_co_u32_e32 v8, vcc, v5, v3, vcc
	v_lshrrev_b32_e32 v9, 31, v8
	v_add_co_u32_e32 v7, vcc, v7, v9
	v_addc_co_u32_e32 v8, vcc, 0, v8, vcc
	v_ashrrev_i64 v[7:8], 1, v[7:8]
	v_lshlrev_b64 v[9:10], 3, v[7:8]
	v_add_co_u32_e32 v9, vcc, s16, v9
	v_addc_co_u32_e32 v10, vcc, v6, v10, vcc
	global_load_dwordx2 v[9:10], v[9:10], off
	s_waitcnt vmcnt(0)
	v_subrev_co_u32_e32 v9, vcc, s34, v9
	v_subbrev_co_u32_e32 v10, vcc, 0, v10, vcc
	v_cmp_lt_i64_e32 vcc, v[14:15], v[9:10]
	v_cndmask_b32_e32 v4, v4, v7, vcc
	v_cndmask_b32_e32 v5, v5, v8, vcc
	;; [unrolled: 1-line block ×3, first 2 shown]
	v_add_co_u32_e64 v7, s[0:1], -1, v4
	v_cndmask_b32_e32 v3, v8, v3, vcc
	v_addc_co_u32_e64 v8, s[0:1], -1, v5, s[0:1]
	v_cmp_ge_i64_e32 vcc, v[2:3], v[4:5]
	v_cmp_eq_u64_e64 s[0:1], v[2:3], v[7:8]
	s_or_b64 s[0:1], vcc, s[0:1]
	s_and_b64 s[0:1], exec, s[0:1]
	s_or_b64 s[38:39], s[0:1], s[38:39]
	s_andn2_b64 exec, exec, s[38:39]
	s_cbranch_execnz .LBB42_88
; %bb.89:
	s_or_b64 exec, exec, s[38:39]
.LBB42_90:
	v_lshlrev_b64 v[6:7], 3, v[4:5]
	v_mov_b32_e32 v8, s17
	v_add_co_u32_e32 v6, vcc, s16, v6
	v_addc_co_u32_e32 v7, vcc, v8, v7, vcc
	global_load_dwordx2 v[6:7], v[6:7], off
	v_lshlrev_b64 v[8:9], 3, v[14:15]
	v_mov_b32_e32 v10, s19
	v_add_co_u32_e32 v18, vcc, s18, v8
	v_addc_co_u32_e32 v19, vcc, v10, v9, vcc
	global_load_dwordx2 v[8:9], v[18:19], off
	s_lshl_b64 s[0:1], s[26:27], 3
	s_add_u32 s18, s16, s0
	s_addc_u32 s19, s17, s1
	s_waitcnt vmcnt(1)
	v_subrev_co_u32_e32 v6, vcc, s34, v6
	v_subbrev_co_u32_e32 v7, vcc, 0, v7, vcc
	v_cmp_lt_i64_e32 vcc, v[14:15], v[6:7]
	v_cndmask_b32_e32 v3, v5, v3, vcc
	v_cndmask_b32_e32 v2, v4, v2, vcc
	s_waitcnt vmcnt(0)
	v_subrev_co_u32_e32 v20, vcc, s34, v8
	v_subbrev_co_u32_e32 v21, vcc, 0, v9, vcc
	v_cmp_ne_u64_e32 vcc, v[20:21], v[2:3]
	s_and_saveexec_b64 s[38:39], vcc
	s_cbranch_execz .LBB42_104
; %bb.91:
	s_load_dwordx2 s[0:1], s[18:19], 0x0
	s_waitcnt lgkmcnt(0)
	s_sub_u32 s0, s0, s34
	s_subb_u32 s1, s1, 0
	v_cmp_gt_i64_e32 vcc, s[0:1], v[14:15]
	s_and_b64 exec, exec, vcc
	s_cbranch_execz .LBB42_104
; %bb.92:
	v_cmp_gt_i64_e32 vcc, s[8:9], v[20:21]
	v_cmp_le_i64_e64 s[0:1], s[26:27], v[20:21]
	v_lshlrev_b64 v[2:3], 4, v[2:3]
	s_or_b64 s[0:1], vcc, s[0:1]
	s_and_saveexec_b64 s[40:41], s[0:1]
	s_xor_b64 s[0:1], exec, s[40:41]
	s_cbranch_execz .LBB42_98
; %bb.93:
	v_mov_b32_e32 v4, s23
	v_add_co_u32_e32 v2, vcc, s22, v2
	v_addc_co_u32_e32 v3, vcc, v4, v3, vcc
	global_load_dwordx4 v[2:5], v[2:3], off
	v_lshlrev_b64 v[6:7], 4, v[20:21]
	v_mov_b32_e32 v8, s29
	v_add_co_u32_e32 v22, vcc, s28, v6
	v_addc_co_u32_e32 v23, vcc, v8, v7, vcc
	global_load_dwordx2 v[12:13], v[22:23], off
	ds_read_b128 v[6:9], v26
	s_mov_b64 s[40:41], 0
	s_waitcnt vmcnt(1) lgkmcnt(0)
	v_mul_f64 v[10:11], v[4:5], -v[8:9]
	v_fma_f64 v[24:25], v[6:7], v[2:3], v[10:11]
.LBB42_94:                              ; =>This Inner Loop Header: Depth=1
	s_waitcnt vmcnt(0)
	v_add_f64 v[10:11], v[12:13], v[24:25]
	global_atomic_cmpswap_x2 v[10:11], v[22:23], v[10:13], off glc
	s_waitcnt vmcnt(0)
	v_cmp_eq_u64_e32 vcc, v[10:11], v[12:13]
	v_mov_b32_e32 v13, v11
	s_or_b64 s[40:41], vcc, s[40:41]
	v_mov_b32_e32 v12, v10
	s_andn2_b64 exec, exec, s[40:41]
	s_cbranch_execnz .LBB42_94
; %bb.95:
	s_or_b64 exec, exec, s[40:41]
	global_load_dwordx2 v[10:11], v[22:23], off offset:8
	v_mul_f64 v[4:5], v[4:5], v[6:7]
	s_mov_b64 s[40:41], 0
	v_fma_f64 v[2:3], v[8:9], v[2:3], v[4:5]
.LBB42_96:                              ; =>This Inner Loop Header: Depth=1
	s_waitcnt vmcnt(0)
	v_add_f64 v[8:9], v[10:11], v[2:3]
	global_atomic_cmpswap_x2 v[4:5], v[22:23], v[8:11], off offset:8 glc
	s_waitcnt vmcnt(0)
	v_cmp_eq_u64_e32 vcc, v[4:5], v[10:11]
	v_mov_b32_e32 v11, v5
	s_or_b64 s[40:41], vcc, s[40:41]
	v_mov_b32_e32 v10, v4
	s_andn2_b64 exec, exec, s[40:41]
	s_cbranch_execnz .LBB42_96
; %bb.97:
	s_or_b64 exec, exec, s[40:41]
                                        ; implicit-def: $vgpr2_vgpr3
.LBB42_98:
	s_andn2_saveexec_b64 s[0:1], s[0:1]
	s_cbranch_execz .LBB42_104
; %bb.99:
	v_mov_b32_e32 v4, s23
	v_add_co_u32_e32 v2, vcc, s22, v2
	v_addc_co_u32_e32 v3, vcc, v4, v3, vcc
	global_load_dwordx4 v[2:5], v[2:3], off
	ds_read_b128 v[6:9], v26
	v_subrev_u32_e32 v12, s8, v20
	v_mov_b32_e32 v13, 0x4000
	v_lshl_add_u32 v22, v12, 4, v13
	ds_read_b64 v[12:13], v22
	s_mov_b64 s[0:1], 0
	s_waitcnt vmcnt(0) lgkmcnt(1)
	v_mul_f64 v[10:11], v[4:5], -v[8:9]
	v_fma_f64 v[10:11], v[6:7], v[2:3], v[10:11]
.LBB42_100:                             ; =>This Inner Loop Header: Depth=1
	s_waitcnt lgkmcnt(0)
	v_add_f64 v[23:24], v[12:13], v[10:11]
	ds_cmpst_rtn_b64 v[23:24], v22, v[12:13], v[23:24]
	s_waitcnt lgkmcnt(0)
	v_cmp_eq_u64_e32 vcc, v[23:24], v[12:13]
	v_mov_b32_e32 v12, v23
	s_or_b64 s[0:1], vcc, s[0:1]
	v_mov_b32_e32 v13, v24
	s_andn2_b64 exec, exec, s[0:1]
	s_cbranch_execnz .LBB42_100
; %bb.101:
	s_or_b64 exec, exec, s[0:1]
	v_mul_f64 v[4:5], v[4:5], v[6:7]
	s_mov_b64 s[0:1], 0
	v_fma_f64 v[2:3], v[8:9], v[2:3], v[4:5]
	ds_read_b64 v[4:5], v22 offset:8
.LBB42_102:                             ; =>This Inner Loop Header: Depth=1
	s_waitcnt lgkmcnt(0)
	v_add_f64 v[6:7], v[4:5], v[2:3]
	ds_cmpst_rtn_b64 v[6:7], v22, v[4:5], v[6:7] offset:8
	s_waitcnt lgkmcnt(0)
	v_cmp_eq_u64_e32 vcc, v[6:7], v[4:5]
	v_mov_b32_e32 v4, v6
	s_or_b64 s[0:1], vcc, s[0:1]
	v_mov_b32_e32 v5, v7
	s_andn2_b64 exec, exec, s[0:1]
	s_cbranch_execnz .LBB42_102
; %bb.103:
	s_or_b64 exec, exec, s[0:1]
.LBB42_104:
	s_or_b64 exec, exec, s[38:39]
	v_lshlrev_b64 v[2:3], 4, v[20:21]
	v_mov_b32_e32 v4, s23
	v_add_co_u32_e32 v2, vcc, s22, v2
	v_addc_co_u32_e32 v3, vcc, v4, v3, vcc
	global_load_dwordx4 v[3:6], v[2:3], off
	ds_read_b128 v[7:10], v26
	v_add_co_u32_e32 v2, vcc, 0x100, v14
	s_waitcnt vmcnt(0) lgkmcnt(0)
	v_mul_f64 v[11:12], v[5:6], -v[9:10]
	v_mul_f64 v[20:21], v[5:6], v[7:8]
	v_fma_f64 v[6:7], v[7:8], v[3:4], v[11:12]
	v_fma_f64 v[8:9], v[9:10], v[3:4], v[20:21]
	v_cndmask_b32_e64 v10, 0, 1, s[2:3]
	v_mov_b32_e32 v4, s24
	v_addc_co_u32_e32 v3, vcc, 0, v15, vcc
	v_mov_b32_e32 v5, s25
	v_cmp_ne_u32_e64 s[0:1], 1, v10
	s_andn2_b64 vcc, exec, s[2:3]
	ds_write_b128 v26, v[6:9]
	v_mov_b32_e32 v6, s20
	v_mov_b32_e32 v7, s21
	s_cbranch_vccnz .LBB42_108
; %bb.105:
	v_mov_b32_e32 v4, s24
	v_mov_b32_e32 v6, s20
	s_mov_b64 s[38:39], 0
	v_mov_b32_e32 v5, s25
	v_mov_b32_e32 v7, s21
	;; [unrolled: 1-line block ×3, first 2 shown]
.LBB42_106:                             ; =>This Inner Loop Header: Depth=1
	v_add_co_u32_e32 v9, vcc, v6, v4
	v_addc_co_u32_e32 v10, vcc, v7, v5, vcc
	v_lshrrev_b32_e32 v11, 31, v10
	v_add_co_u32_e32 v9, vcc, v9, v11
	v_addc_co_u32_e32 v10, vcc, 0, v10, vcc
	v_ashrrev_i64 v[9:10], 1, v[9:10]
	v_lshlrev_b64 v[11:12], 3, v[9:10]
	v_add_co_u32_e32 v11, vcc, s16, v11
	v_addc_co_u32_e32 v12, vcc, v8, v12, vcc
	global_load_dwordx2 v[11:12], v[11:12], off
	s_waitcnt vmcnt(0)
	v_subrev_co_u32_e32 v11, vcc, s34, v11
	v_subbrev_co_u32_e32 v12, vcc, 0, v12, vcc
	v_cmp_lt_i64_e32 vcc, v[2:3], v[11:12]
	v_cndmask_b32_e32 v6, v6, v9, vcc
	v_cndmask_b32_e32 v7, v7, v10, vcc
	;; [unrolled: 1-line block ×3, first 2 shown]
	v_add_co_u32_e64 v9, s[2:3], -1, v6
	v_cndmask_b32_e32 v5, v10, v5, vcc
	v_addc_co_u32_e64 v10, s[2:3], -1, v7, s[2:3]
	v_cmp_ge_i64_e32 vcc, v[4:5], v[6:7]
	v_cmp_eq_u64_e64 s[2:3], v[4:5], v[9:10]
	s_or_b64 s[2:3], vcc, s[2:3]
	s_and_b64 s[2:3], exec, s[2:3]
	s_or_b64 s[38:39], s[2:3], s[38:39]
	s_andn2_b64 exec, exec, s[38:39]
	s_cbranch_execnz .LBB42_106
; %bb.107:
	s_or_b64 exec, exec, s[38:39]
.LBB42_108:
	v_lshlrev_b64 v[8:9], 3, v[6:7]
	v_mov_b32_e32 v10, s17
	v_add_co_u32_e32 v8, vcc, s16, v8
	v_addc_co_u32_e32 v9, vcc, v10, v9, vcc
	global_load_dwordx2 v[10:11], v[8:9], off
	global_load_dwordx2 v[12:13], v[18:19], off offset:2048
	s_waitcnt vmcnt(1)
	v_subrev_co_u32_e32 v8, vcc, s34, v10
	v_subbrev_co_u32_e32 v9, vcc, 0, v11, vcc
	v_cmp_lt_i64_e32 vcc, v[2:3], v[8:9]
	v_cndmask_b32_e32 v5, v7, v5, vcc
	v_cndmask_b32_e32 v4, v6, v4, vcc
	s_waitcnt vmcnt(0)
	v_subrev_co_u32_e32 v20, vcc, s34, v12
	v_subbrev_co_u32_e32 v21, vcc, 0, v13, vcc
	v_cmp_ne_u64_e32 vcc, v[20:21], v[4:5]
	s_and_saveexec_b64 s[38:39], vcc
	s_cbranch_execz .LBB42_122
; %bb.109:
	s_load_dwordx2 s[2:3], s[18:19], 0x0
	s_waitcnt lgkmcnt(0)
	s_sub_u32 s2, s2, s34
	s_subb_u32 s3, s3, 0
	v_cmp_gt_i64_e32 vcc, s[2:3], v[2:3]
	s_and_b64 exec, exec, vcc
	s_cbranch_execz .LBB42_122
; %bb.110:
	v_cmp_gt_i64_e32 vcc, s[8:9], v[20:21]
	v_cmp_le_i64_e64 s[2:3], s[26:27], v[20:21]
	v_lshlrev_b64 v[2:3], 4, v[4:5]
	s_or_b64 s[2:3], vcc, s[2:3]
	s_and_saveexec_b64 s[40:41], s[2:3]
	s_xor_b64 s[2:3], exec, s[40:41]
	s_cbranch_execz .LBB42_116
; %bb.111:
	v_mov_b32_e32 v4, s23
	v_add_co_u32_e32 v2, vcc, s22, v2
	v_addc_co_u32_e32 v3, vcc, v4, v3, vcc
	global_load_dwordx4 v[2:5], v[2:3], off
	v_lshlrev_b64 v[6:7], 4, v[20:21]
	v_mov_b32_e32 v8, s29
	v_add_co_u32_e32 v22, vcc, s28, v6
	v_addc_co_u32_e32 v23, vcc, v8, v7, vcc
	global_load_dwordx2 v[12:13], v[22:23], off
	ds_read_b128 v[6:9], v26 offset:4096
	s_mov_b64 s[40:41], 0
	s_waitcnt vmcnt(1) lgkmcnt(0)
	v_mul_f64 v[10:11], v[4:5], -v[8:9]
	v_fma_f64 v[24:25], v[6:7], v[2:3], v[10:11]
.LBB42_112:                             ; =>This Inner Loop Header: Depth=1
	s_waitcnt vmcnt(0)
	v_add_f64 v[10:11], v[12:13], v[24:25]
	global_atomic_cmpswap_x2 v[10:11], v[22:23], v[10:13], off glc
	s_waitcnt vmcnt(0)
	v_cmp_eq_u64_e32 vcc, v[10:11], v[12:13]
	v_mov_b32_e32 v13, v11
	s_or_b64 s[40:41], vcc, s[40:41]
	v_mov_b32_e32 v12, v10
	s_andn2_b64 exec, exec, s[40:41]
	s_cbranch_execnz .LBB42_112
; %bb.113:
	s_or_b64 exec, exec, s[40:41]
	global_load_dwordx2 v[10:11], v[22:23], off offset:8
	v_mul_f64 v[4:5], v[4:5], v[6:7]
	s_mov_b64 s[40:41], 0
	v_fma_f64 v[2:3], v[8:9], v[2:3], v[4:5]
.LBB42_114:                             ; =>This Inner Loop Header: Depth=1
	s_waitcnt vmcnt(0)
	v_add_f64 v[8:9], v[10:11], v[2:3]
	global_atomic_cmpswap_x2 v[4:5], v[22:23], v[8:11], off offset:8 glc
	s_waitcnt vmcnt(0)
	v_cmp_eq_u64_e32 vcc, v[4:5], v[10:11]
	v_mov_b32_e32 v11, v5
	s_or_b64 s[40:41], vcc, s[40:41]
	v_mov_b32_e32 v10, v4
	s_andn2_b64 exec, exec, s[40:41]
	s_cbranch_execnz .LBB42_114
; %bb.115:
	s_or_b64 exec, exec, s[40:41]
                                        ; implicit-def: $vgpr2_vgpr3
.LBB42_116:
	s_andn2_saveexec_b64 s[2:3], s[2:3]
	s_cbranch_execz .LBB42_122
; %bb.117:
	v_mov_b32_e32 v4, s23
	v_add_co_u32_e32 v2, vcc, s22, v2
	v_addc_co_u32_e32 v3, vcc, v4, v3, vcc
	global_load_dwordx4 v[2:5], v[2:3], off
	ds_read_b128 v[6:9], v26 offset:4096
	v_subrev_u32_e32 v12, s8, v20
	v_mov_b32_e32 v13, 0x4000
	v_lshl_add_u32 v22, v12, 4, v13
	ds_read_b64 v[12:13], v22
	s_mov_b64 s[2:3], 0
	s_waitcnt vmcnt(0) lgkmcnt(1)
	v_mul_f64 v[10:11], v[4:5], -v[8:9]
	v_fma_f64 v[10:11], v[6:7], v[2:3], v[10:11]
.LBB42_118:                             ; =>This Inner Loop Header: Depth=1
	s_waitcnt lgkmcnt(0)
	v_add_f64 v[23:24], v[12:13], v[10:11]
	ds_cmpst_rtn_b64 v[23:24], v22, v[12:13], v[23:24]
	s_waitcnt lgkmcnt(0)
	v_cmp_eq_u64_e32 vcc, v[23:24], v[12:13]
	v_mov_b32_e32 v12, v23
	s_or_b64 s[2:3], vcc, s[2:3]
	v_mov_b32_e32 v13, v24
	s_andn2_b64 exec, exec, s[2:3]
	s_cbranch_execnz .LBB42_118
; %bb.119:
	s_or_b64 exec, exec, s[2:3]
	v_mul_f64 v[4:5], v[4:5], v[6:7]
	s_mov_b64 s[2:3], 0
	v_fma_f64 v[2:3], v[8:9], v[2:3], v[4:5]
	ds_read_b64 v[4:5], v22 offset:8
.LBB42_120:                             ; =>This Inner Loop Header: Depth=1
	s_waitcnt lgkmcnt(0)
	v_add_f64 v[6:7], v[4:5], v[2:3]
	ds_cmpst_rtn_b64 v[6:7], v22, v[4:5], v[6:7] offset:8
	s_waitcnt lgkmcnt(0)
	v_cmp_eq_u64_e32 vcc, v[6:7], v[4:5]
	v_mov_b32_e32 v4, v6
	s_or_b64 s[2:3], vcc, s[2:3]
	v_mov_b32_e32 v5, v7
	s_andn2_b64 exec, exec, s[2:3]
	s_cbranch_execnz .LBB42_120
; %bb.121:
	s_or_b64 exec, exec, s[2:3]
.LBB42_122:
	s_or_b64 exec, exec, s[38:39]
	v_lshlrev_b64 v[2:3], 4, v[20:21]
	v_mov_b32_e32 v4, s23
	v_add_co_u32_e32 v2, vcc, s22, v2
	v_addc_co_u32_e32 v3, vcc, v4, v3, vcc
	global_load_dwordx4 v[2:5], v[2:3], off
	ds_read_b128 v[6:9], v26 offset:4096
	s_waitcnt vmcnt(0) lgkmcnt(0)
	v_mul_f64 v[10:11], v[4:5], -v[8:9]
	v_mul_f64 v[4:5], v[4:5], v[6:7]
	v_fma_f64 v[6:7], v[6:7], v[2:3], v[10:11]
	v_fma_f64 v[8:9], v[8:9], v[2:3], v[4:5]
	v_add_co_u32_e32 v2, vcc, 0x200, v14
	v_mov_b32_e32 v4, s24
	v_addc_co_u32_e32 v3, vcc, 0, v15, vcc
	v_mov_b32_e32 v5, s25
	s_and_b64 vcc, exec, s[0:1]
	ds_write_b128 v26, v[6:9] offset:4096
	v_mov_b32_e32 v6, s20
	v_mov_b32_e32 v7, s21
	s_cbranch_vccnz .LBB42_126
; %bb.123:
	v_mov_b32_e32 v4, s24
	v_mov_b32_e32 v6, s20
	s_mov_b64 s[38:39], 0
	v_mov_b32_e32 v5, s25
	v_mov_b32_e32 v7, s21
	v_mov_b32_e32 v8, s17
.LBB42_124:                             ; =>This Inner Loop Header: Depth=1
	v_add_co_u32_e32 v9, vcc, v6, v4
	v_addc_co_u32_e32 v10, vcc, v7, v5, vcc
	v_lshrrev_b32_e32 v11, 31, v10
	v_add_co_u32_e32 v9, vcc, v9, v11
	v_addc_co_u32_e32 v10, vcc, 0, v10, vcc
	v_ashrrev_i64 v[9:10], 1, v[9:10]
	v_lshlrev_b64 v[11:12], 3, v[9:10]
	v_add_co_u32_e32 v11, vcc, s16, v11
	v_addc_co_u32_e32 v12, vcc, v8, v12, vcc
	global_load_dwordx2 v[11:12], v[11:12], off
	s_waitcnt vmcnt(0)
	v_subrev_co_u32_e32 v11, vcc, s34, v11
	v_subbrev_co_u32_e32 v12, vcc, 0, v12, vcc
	v_cmp_lt_i64_e32 vcc, v[2:3], v[11:12]
	v_cndmask_b32_e32 v6, v6, v9, vcc
	v_cndmask_b32_e32 v7, v7, v10, vcc
	;; [unrolled: 1-line block ×3, first 2 shown]
	v_add_co_u32_e64 v9, s[2:3], -1, v6
	v_cndmask_b32_e32 v5, v10, v5, vcc
	v_addc_co_u32_e64 v10, s[2:3], -1, v7, s[2:3]
	v_cmp_ge_i64_e32 vcc, v[4:5], v[6:7]
	v_cmp_eq_u64_e64 s[2:3], v[4:5], v[9:10]
	s_or_b64 s[2:3], vcc, s[2:3]
	s_and_b64 s[2:3], exec, s[2:3]
	s_or_b64 s[38:39], s[2:3], s[38:39]
	s_andn2_b64 exec, exec, s[38:39]
	s_cbranch_execnz .LBB42_124
; %bb.125:
	s_or_b64 exec, exec, s[38:39]
.LBB42_126:
	v_lshlrev_b64 v[8:9], 3, v[6:7]
	v_mov_b32_e32 v10, s17
	v_add_co_u32_e32 v8, vcc, s16, v8
	v_addc_co_u32_e32 v9, vcc, v10, v9, vcc
	global_load_dwordx2 v[8:9], v[8:9], off
	v_add_co_u32_e32 v10, vcc, 0x1000, v18
	v_addc_co_u32_e32 v11, vcc, 0, v19, vcc
	global_load_dwordx2 v[10:11], v[10:11], off
	s_waitcnt vmcnt(1)
	v_subrev_co_u32_e32 v8, vcc, s34, v8
	v_subbrev_co_u32_e32 v9, vcc, 0, v9, vcc
	v_cmp_lt_i64_e32 vcc, v[2:3], v[8:9]
	v_cndmask_b32_e32 v5, v7, v5, vcc
	v_cndmask_b32_e32 v4, v6, v4, vcc
	s_waitcnt vmcnt(0)
	v_subrev_co_u32_e32 v14, vcc, s34, v10
	v_subbrev_co_u32_e32 v15, vcc, 0, v11, vcc
	v_cmp_ne_u64_e32 vcc, v[14:15], v[4:5]
	s_and_saveexec_b64 s[38:39], vcc
	s_cbranch_execz .LBB42_140
; %bb.127:
	s_load_dwordx2 s[2:3], s[18:19], 0x0
	s_waitcnt lgkmcnt(0)
	s_sub_u32 s2, s2, s34
	s_subb_u32 s3, s3, 0
	v_cmp_gt_i64_e32 vcc, s[2:3], v[2:3]
	s_and_b64 exec, exec, vcc
	s_cbranch_execz .LBB42_140
; %bb.128:
	v_cmp_gt_i64_e32 vcc, s[8:9], v[14:15]
	v_cmp_le_i64_e64 s[2:3], s[26:27], v[14:15]
	v_lshlrev_b64 v[2:3], 4, v[4:5]
	s_or_b64 s[2:3], vcc, s[2:3]
	s_and_saveexec_b64 s[40:41], s[2:3]
	s_xor_b64 s[2:3], exec, s[40:41]
	s_cbranch_execz .LBB42_134
; %bb.129:
	v_mov_b32_e32 v4, s23
	v_add_co_u32_e32 v2, vcc, s22, v2
	v_addc_co_u32_e32 v3, vcc, v4, v3, vcc
	global_load_dwordx4 v[2:5], v[2:3], off
	v_lshlrev_b64 v[6:7], 4, v[14:15]
	v_mov_b32_e32 v8, s29
	v_add_co_u32_e32 v20, vcc, s28, v6
	v_addc_co_u32_e32 v21, vcc, v8, v7, vcc
	global_load_dwordx2 v[12:13], v[20:21], off
	ds_read_b128 v[6:9], v26 offset:8192
	s_mov_b64 s[40:41], 0
	s_waitcnt vmcnt(1) lgkmcnt(0)
	v_mul_f64 v[10:11], v[4:5], -v[8:9]
	v_fma_f64 v[22:23], v[6:7], v[2:3], v[10:11]
.LBB42_130:                             ; =>This Inner Loop Header: Depth=1
	s_waitcnt vmcnt(0)
	v_add_f64 v[10:11], v[12:13], v[22:23]
	global_atomic_cmpswap_x2 v[10:11], v[20:21], v[10:13], off glc
	s_waitcnt vmcnt(0)
	v_cmp_eq_u64_e32 vcc, v[10:11], v[12:13]
	v_mov_b32_e32 v13, v11
	s_or_b64 s[40:41], vcc, s[40:41]
	v_mov_b32_e32 v12, v10
	s_andn2_b64 exec, exec, s[40:41]
	s_cbranch_execnz .LBB42_130
; %bb.131:
	s_or_b64 exec, exec, s[40:41]
	global_load_dwordx2 v[10:11], v[20:21], off offset:8
	v_mul_f64 v[4:5], v[4:5], v[6:7]
	s_mov_b64 s[40:41], 0
	v_fma_f64 v[2:3], v[8:9], v[2:3], v[4:5]
.LBB42_132:                             ; =>This Inner Loop Header: Depth=1
	s_waitcnt vmcnt(0)
	v_add_f64 v[8:9], v[10:11], v[2:3]
	global_atomic_cmpswap_x2 v[4:5], v[20:21], v[8:11], off offset:8 glc
	s_waitcnt vmcnt(0)
	v_cmp_eq_u64_e32 vcc, v[4:5], v[10:11]
	v_mov_b32_e32 v11, v5
	s_or_b64 s[40:41], vcc, s[40:41]
	v_mov_b32_e32 v10, v4
	s_andn2_b64 exec, exec, s[40:41]
	s_cbranch_execnz .LBB42_132
; %bb.133:
	s_or_b64 exec, exec, s[40:41]
                                        ; implicit-def: $vgpr2_vgpr3
.LBB42_134:
	s_andn2_saveexec_b64 s[2:3], s[2:3]
	s_cbranch_execz .LBB42_140
; %bb.135:
	v_mov_b32_e32 v4, s23
	v_add_co_u32_e32 v2, vcc, s22, v2
	v_addc_co_u32_e32 v3, vcc, v4, v3, vcc
	global_load_dwordx4 v[2:5], v[2:3], off
	ds_read_b128 v[6:9], v26 offset:8192
	v_subrev_u32_e32 v12, s8, v14
	v_mov_b32_e32 v13, 0x4000
	v_lshl_add_u32 v20, v12, 4, v13
	ds_read_b64 v[12:13], v20
	s_mov_b64 s[2:3], 0
	s_waitcnt vmcnt(0) lgkmcnt(1)
	v_mul_f64 v[10:11], v[4:5], -v[8:9]
	v_fma_f64 v[10:11], v[6:7], v[2:3], v[10:11]
.LBB42_136:                             ; =>This Inner Loop Header: Depth=1
	s_waitcnt lgkmcnt(0)
	v_add_f64 v[21:22], v[12:13], v[10:11]
	ds_cmpst_rtn_b64 v[21:22], v20, v[12:13], v[21:22]
	s_waitcnt lgkmcnt(0)
	v_cmp_eq_u64_e32 vcc, v[21:22], v[12:13]
	v_mov_b32_e32 v12, v21
	s_or_b64 s[2:3], vcc, s[2:3]
	v_mov_b32_e32 v13, v22
	s_andn2_b64 exec, exec, s[2:3]
	s_cbranch_execnz .LBB42_136
; %bb.137:
	s_or_b64 exec, exec, s[2:3]
	v_mul_f64 v[4:5], v[4:5], v[6:7]
	s_mov_b64 s[2:3], 0
	v_fma_f64 v[2:3], v[8:9], v[2:3], v[4:5]
	ds_read_b64 v[4:5], v20 offset:8
.LBB42_138:                             ; =>This Inner Loop Header: Depth=1
	s_waitcnt lgkmcnt(0)
	v_add_f64 v[6:7], v[4:5], v[2:3]
	ds_cmpst_rtn_b64 v[6:7], v20, v[4:5], v[6:7] offset:8
	s_waitcnt lgkmcnt(0)
	v_cmp_eq_u64_e32 vcc, v[6:7], v[4:5]
	v_mov_b32_e32 v4, v6
	s_or_b64 s[2:3], vcc, s[2:3]
	v_mov_b32_e32 v5, v7
	s_andn2_b64 exec, exec, s[2:3]
	s_cbranch_execnz .LBB42_138
; %bb.139:
	s_or_b64 exec, exec, s[2:3]
.LBB42_140:
	s_or_b64 exec, exec, s[38:39]
	v_lshlrev_b64 v[2:3], 4, v[14:15]
	v_mov_b32_e32 v4, s23
	v_add_co_u32_e32 v2, vcc, s22, v2
	v_addc_co_u32_e32 v3, vcc, v4, v3, vcc
	global_load_dwordx4 v[2:5], v[2:3], off
	ds_read_b128 v[6:9], v26 offset:8192
	s_and_b64 vcc, exec, s[0:1]
	s_waitcnt vmcnt(0) lgkmcnt(0)
	v_mul_f64 v[10:11], v[4:5], -v[8:9]
	v_mul_f64 v[12:13], v[4:5], v[6:7]
	v_fma_f64 v[4:5], v[6:7], v[2:3], v[10:11]
	v_fma_f64 v[6:7], v[8:9], v[2:3], v[12:13]
	v_mov_b32_e32 v2, s24
	v_mov_b32_e32 v3, s25
	ds_write_b128 v26, v[4:7] offset:8192
	v_mov_b32_e32 v4, s20
	v_mov_b32_e32 v5, s21
	s_cbranch_vccnz .LBB42_144
; %bb.141:
	v_mov_b32_e32 v2, s24
	v_mov_b32_e32 v4, s20
	s_mov_b64 s[2:3], 0
	v_mov_b32_e32 v3, s25
	v_mov_b32_e32 v5, s21
	;; [unrolled: 1-line block ×3, first 2 shown]
.LBB42_142:                             ; =>This Inner Loop Header: Depth=1
	v_add_co_u32_e32 v7, vcc, v4, v2
	v_addc_co_u32_e32 v8, vcc, v5, v3, vcc
	v_lshrrev_b32_e32 v9, 31, v8
	v_add_co_u32_e32 v7, vcc, v7, v9
	v_addc_co_u32_e32 v8, vcc, 0, v8, vcc
	v_ashrrev_i64 v[7:8], 1, v[7:8]
	v_lshlrev_b64 v[9:10], 3, v[7:8]
	v_add_co_u32_e32 v9, vcc, s16, v9
	v_addc_co_u32_e32 v10, vcc, v6, v10, vcc
	global_load_dwordx2 v[9:10], v[9:10], off
	s_waitcnt vmcnt(0)
	v_subrev_co_u32_e32 v9, vcc, s34, v9
	v_subbrev_co_u32_e32 v10, vcc, 0, v10, vcc
	v_cmp_lt_i64_e32 vcc, v[16:17], v[9:10]
	v_cndmask_b32_e32 v4, v4, v7, vcc
	v_cndmask_b32_e32 v5, v5, v8, vcc
	;; [unrolled: 1-line block ×3, first 2 shown]
	v_add_co_u32_e64 v7, s[0:1], -1, v4
	v_cndmask_b32_e32 v3, v8, v3, vcc
	v_addc_co_u32_e64 v8, s[0:1], -1, v5, s[0:1]
	v_cmp_ge_i64_e32 vcc, v[2:3], v[4:5]
	v_cmp_eq_u64_e64 s[0:1], v[2:3], v[7:8]
	s_or_b64 s[0:1], vcc, s[0:1]
	s_and_b64 s[0:1], exec, s[0:1]
	s_or_b64 s[2:3], s[0:1], s[2:3]
	s_andn2_b64 exec, exec, s[2:3]
	s_cbranch_execnz .LBB42_142
; %bb.143:
	s_or_b64 exec, exec, s[2:3]
.LBB42_144:
	v_lshlrev_b64 v[6:7], 3, v[4:5]
	v_mov_b32_e32 v8, s17
	v_add_co_u32_e32 v6, vcc, s16, v6
	v_addc_co_u32_e32 v7, vcc, v8, v7, vcc
	global_load_dwordx2 v[6:7], v[6:7], off
	v_add_co_u32_e32 v8, vcc, 0x1000, v18
	v_addc_co_u32_e32 v9, vcc, 0, v19, vcc
	global_load_dwordx2 v[8:9], v[8:9], off offset:2048
	s_waitcnt vmcnt(1)
	v_subrev_co_u32_e32 v6, vcc, s34, v6
	v_subbrev_co_u32_e32 v7, vcc, 0, v7, vcc
	v_cmp_lt_i64_e32 vcc, v[16:17], v[6:7]
	v_cndmask_b32_e32 v3, v5, v3, vcc
	v_cndmask_b32_e32 v2, v4, v2, vcc
	s_waitcnt vmcnt(0)
	v_subrev_co_u32_e32 v14, vcc, s34, v8
	v_subbrev_co_u32_e32 v15, vcc, 0, v9, vcc
	v_cmp_ne_u64_e32 vcc, v[14:15], v[2:3]
	s_and_saveexec_b64 s[2:3], vcc
	s_cbranch_execz .LBB42_158
; %bb.145:
	s_load_dwordx2 s[0:1], s[18:19], 0x0
	s_waitcnt lgkmcnt(0)
	s_sub_u32 s0, s0, s34
	s_subb_u32 s1, s1, 0
	v_cmp_gt_i64_e32 vcc, s[0:1], v[16:17]
	s_and_b64 exec, exec, vcc
	s_cbranch_execz .LBB42_158
; %bb.146:
	v_cmp_gt_i64_e32 vcc, s[8:9], v[14:15]
	v_cmp_le_i64_e64 s[0:1], s[26:27], v[14:15]
	v_lshlrev_b64 v[2:3], 4, v[2:3]
	s_or_b64 s[0:1], vcc, s[0:1]
	s_and_saveexec_b64 s[18:19], s[0:1]
	s_xor_b64 s[0:1], exec, s[18:19]
	s_cbranch_execz .LBB42_152
; %bb.147:
	v_mov_b32_e32 v4, s23
	v_add_co_u32_e32 v2, vcc, s22, v2
	v_addc_co_u32_e32 v3, vcc, v4, v3, vcc
	global_load_dwordx4 v[2:5], v[2:3], off
	v_lshlrev_b64 v[6:7], 4, v[14:15]
	v_mov_b32_e32 v8, s29
	v_add_co_u32_e32 v16, vcc, s28, v6
	v_addc_co_u32_e32 v17, vcc, v8, v7, vcc
	global_load_dwordx2 v[12:13], v[16:17], off
	ds_read_b128 v[6:9], v26 offset:12288
	s_mov_b64 s[18:19], 0
	s_waitcnt vmcnt(1) lgkmcnt(0)
	v_mul_f64 v[10:11], v[4:5], -v[8:9]
	v_fma_f64 v[18:19], v[6:7], v[2:3], v[10:11]
.LBB42_148:                             ; =>This Inner Loop Header: Depth=1
	s_waitcnt vmcnt(0)
	v_add_f64 v[10:11], v[12:13], v[18:19]
	global_atomic_cmpswap_x2 v[10:11], v[16:17], v[10:13], off glc
	s_waitcnt vmcnt(0)
	v_cmp_eq_u64_e32 vcc, v[10:11], v[12:13]
	v_mov_b32_e32 v13, v11
	s_or_b64 s[18:19], vcc, s[18:19]
	v_mov_b32_e32 v12, v10
	s_andn2_b64 exec, exec, s[18:19]
	s_cbranch_execnz .LBB42_148
; %bb.149:
	s_or_b64 exec, exec, s[18:19]
	global_load_dwordx2 v[10:11], v[16:17], off offset:8
	v_mul_f64 v[4:5], v[4:5], v[6:7]
	s_mov_b64 s[18:19], 0
	v_fma_f64 v[2:3], v[8:9], v[2:3], v[4:5]
.LBB42_150:                             ; =>This Inner Loop Header: Depth=1
	s_waitcnt vmcnt(0)
	v_add_f64 v[8:9], v[10:11], v[2:3]
	global_atomic_cmpswap_x2 v[4:5], v[16:17], v[8:11], off offset:8 glc
	s_waitcnt vmcnt(0)
	v_cmp_eq_u64_e32 vcc, v[4:5], v[10:11]
	v_mov_b32_e32 v11, v5
	s_or_b64 s[18:19], vcc, s[18:19]
	v_mov_b32_e32 v10, v4
	s_andn2_b64 exec, exec, s[18:19]
	s_cbranch_execnz .LBB42_150
; %bb.151:
	s_or_b64 exec, exec, s[18:19]
                                        ; implicit-def: $vgpr2_vgpr3
.LBB42_152:
	s_andn2_saveexec_b64 s[0:1], s[0:1]
	s_cbranch_execz .LBB42_158
; %bb.153:
	v_mov_b32_e32 v4, s23
	v_add_co_u32_e32 v2, vcc, s22, v2
	v_addc_co_u32_e32 v3, vcc, v4, v3, vcc
	global_load_dwordx4 v[2:5], v[2:3], off
	ds_read_b128 v[6:9], v26 offset:12288
	v_subrev_u32_e32 v12, s8, v14
	v_mov_b32_e32 v13, 0x4000
	v_lshl_add_u32 v16, v12, 4, v13
	ds_read_b64 v[12:13], v16
	s_mov_b64 s[0:1], 0
	s_waitcnt vmcnt(0) lgkmcnt(1)
	v_mul_f64 v[10:11], v[4:5], -v[8:9]
	v_fma_f64 v[10:11], v[6:7], v[2:3], v[10:11]
.LBB42_154:                             ; =>This Inner Loop Header: Depth=1
	s_waitcnt lgkmcnt(0)
	v_add_f64 v[17:18], v[12:13], v[10:11]
	ds_cmpst_rtn_b64 v[17:18], v16, v[12:13], v[17:18]
	s_waitcnt lgkmcnt(0)
	v_cmp_eq_u64_e32 vcc, v[17:18], v[12:13]
	v_mov_b32_e32 v12, v17
	s_or_b64 s[0:1], vcc, s[0:1]
	v_mov_b32_e32 v13, v18
	s_andn2_b64 exec, exec, s[0:1]
	s_cbranch_execnz .LBB42_154
; %bb.155:
	s_or_b64 exec, exec, s[0:1]
	v_mul_f64 v[4:5], v[4:5], v[6:7]
	s_mov_b64 s[0:1], 0
	v_fma_f64 v[2:3], v[8:9], v[2:3], v[4:5]
	ds_read_b64 v[4:5], v16 offset:8
.LBB42_156:                             ; =>This Inner Loop Header: Depth=1
	s_waitcnt lgkmcnt(0)
	v_add_f64 v[6:7], v[4:5], v[2:3]
	ds_cmpst_rtn_b64 v[6:7], v16, v[4:5], v[6:7] offset:8
	s_waitcnt lgkmcnt(0)
	v_cmp_eq_u64_e32 vcc, v[6:7], v[4:5]
	v_mov_b32_e32 v4, v6
	s_or_b64 s[0:1], vcc, s[0:1]
	v_mov_b32_e32 v5, v7
	s_andn2_b64 exec, exec, s[0:1]
	s_cbranch_execnz .LBB42_156
; %bb.157:
	s_or_b64 exec, exec, s[0:1]
.LBB42_158:
	s_or_b64 exec, exec, s[2:3]
	v_lshlrev_b64 v[2:3], 4, v[14:15]
	v_mov_b32_e32 v4, s23
	v_add_co_u32_e32 v2, vcc, s22, v2
	v_addc_co_u32_e32 v3, vcc, v4, v3, vcc
	global_load_dwordx4 v[2:5], v[2:3], off
	ds_read_b128 v[6:9], v26 offset:12288
	s_waitcnt vmcnt(0) lgkmcnt(0)
	v_mul_f64 v[10:11], v[4:5], -v[8:9]
	v_mul_f64 v[12:13], v[4:5], v[6:7]
	v_fma_f64 v[4:5], v[6:7], v[2:3], v[10:11]
	v_fma_f64 v[6:7], v[8:9], v[2:3], v[12:13]
	ds_write_b128 v26, v[4:7] offset:12288
.LBB42_159:
	s_or_b64 exec, exec, s[4:5]
	v_mov_b32_e32 v2, s10
	v_mov_b32_e32 v3, s11
	v_cmp_lt_i64_e32 vcc, s[26:27], v[2:3]
	s_waitcnt lgkmcnt(0)
	s_and_b64 s[0:1], vcc, exec
	s_cselect_b32 s10, s26, s10
	s_cselect_b32 s0, s27, s11
	s_sub_u32 s2, s10, s30
	s_subb_u32 s3, s0, s31
	v_cmp_gt_i64_e32 vcc, s[2:3], v[0:1]
	s_barrier
	s_and_saveexec_b64 s[0:1], vcc
	s_cbranch_execz .LBB42_166
; %bb.160:
	s_lshl_b64 s[4:5], s[8:9], 4
	s_add_u32 s11, s28, s4
	s_addc_u32 s8, s29, s5
	v_mov_b32_e32 v11, v1
	s_mov_b64 s[4:5], 0
	v_mov_b32_e32 v14, s8
	v_mov_b32_e32 v15, 0x4000
	;; [unrolled: 1-line block ×3, first 2 shown]
.LBB42_161:                             ; =>This Loop Header: Depth=1
                                        ;     Child Loop BB42_162 Depth 2
                                        ;     Child Loop BB42_164 Depth 2
	v_lshlrev_b64 v[2:3], 4, v[10:11]
	s_mov_b64 s[8:9], 0
	v_add_co_u32_e32 v12, vcc, s11, v2
	v_addc_co_u32_e32 v13, vcc, v14, v3, vcc
	global_load_dwordx2 v[8:9], v[12:13], off
	v_lshl_add_u32 v2, v10, 4, v15
	ds_read2_b64 v[2:5], v2 offset1:1
.LBB42_162:                             ;   Parent Loop BB42_161 Depth=1
                                        ; =>  This Inner Loop Header: Depth=2
	s_waitcnt vmcnt(0) lgkmcnt(0)
	v_add_f64 v[6:7], v[8:9], v[2:3]
	global_atomic_cmpswap_x2 v[6:7], v[12:13], v[6:9], off glc
	s_waitcnt vmcnt(0)
	v_cmp_eq_u64_e32 vcc, v[6:7], v[8:9]
	v_mov_b32_e32 v9, v7
	s_or_b64 s[8:9], vcc, s[8:9]
	v_mov_b32_e32 v8, v6
	s_andn2_b64 exec, exec, s[8:9]
	s_cbranch_execnz .LBB42_162
; %bb.163:                              ;   in Loop: Header=BB42_161 Depth=1
	s_or_b64 exec, exec, s[8:9]
	global_load_dwordx2 v[8:9], v[12:13], off offset:8
	s_mov_b64 s[8:9], 0
.LBB42_164:                             ;   Parent Loop BB42_161 Depth=1
                                        ; =>  This Inner Loop Header: Depth=2
	s_waitcnt vmcnt(0)
	v_add_f64 v[6:7], v[8:9], v[4:5]
	global_atomic_cmpswap_x2 v[2:3], v[12:13], v[6:9], off offset:8 glc
	s_waitcnt vmcnt(0)
	v_cmp_eq_u64_e32 vcc, v[2:3], v[8:9]
	v_mov_b32_e32 v9, v3
	s_or_b64 s[8:9], vcc, s[8:9]
	v_mov_b32_e32 v8, v2
	s_andn2_b64 exec, exec, s[8:9]
	s_cbranch_execnz .LBB42_164
; %bb.165:                              ;   in Loop: Header=BB42_161 Depth=1
	s_or_b64 exec, exec, s[8:9]
	v_add_co_u32_e32 v10, vcc, 0x100, v10
	v_addc_co_u32_e32 v11, vcc, 0, v11, vcc
	v_cmp_le_i64_e32 vcc, s[2:3], v[10:11]
	s_or_b64 s[4:5], vcc, s[4:5]
	s_andn2_b64 exec, exec, s[4:5]
	s_cbranch_execnz .LBB42_161
.LBB42_166:
	s_or_b64 exec, exec, s[0:1]
	s_add_i32 s0, s36, -1
	s_ashr_i32 s1, s0, 1
	s_or_b32 s0, s1, s0
	s_ashr_i32 s1, s0, 2
	s_or_b32 s0, s1, s0
	;; [unrolled: 2-line block ×5, first 2 shown]
	s_add_i32 s0, s0, 1
	s_ashr_i32 s3, s0, 1
	v_mov_b32_e32 v2, s25
	v_add_co_u32_e32 v10, vcc, s24, v0
	v_addc_co_u32_e32 v11, vcc, 0, v2, vcc
	s_cmp_gt_i32 s3, 1
	s_mov_b64 s[0:1], -1
	s_barrier
	s_cbranch_scc1 .LBB42_179
; %bb.167:
	v_cmp_gt_i64_e32 vcc, s[26:27], v[10:11]
	s_and_saveexec_b64 s[0:1], vcc
	s_cbranch_execz .LBB42_178
; %bb.168:
	s_sub_i32 s4, s10, s26
	s_lshl_b32 s4, s4, 4
	s_add_i32 s13, s4, 0x4000
	s_lshl_b32 s4, s6, 4
	v_mov_b32_e32 v13, v11
	s_sub_i32 s18, 0, s4
	s_mov_b64 s[4:5], 0
	v_mov_b32_e32 v18, s17
	v_mov_b32_e32 v19, s29
	;; [unrolled: 1-line block ×3, first 2 shown]
.LBB42_169:                             ; =>This Loop Header: Depth=1
                                        ;     Child Loop BB42_171 Depth 2
                                        ;     Child Loop BB42_174 Depth 2
	;; [unrolled: 1-line block ×3, first 2 shown]
	v_lshlrev_b64 v[2:3], 3, v[12:13]
	v_mov_b32_e32 v14, 0
	v_add_co_u32_e32 v2, vcc, s16, v2
	v_addc_co_u32_e32 v3, vcc, v18, v3, vcc
	global_load_dwordx4 v[2:5], v[2:3], off
	v_mov_b32_e32 v6, 0
	v_mov_b32_e32 v15, 0
	;; [unrolled: 1-line block ×3, first 2 shown]
	s_waitcnt vmcnt(0)
	v_cmp_lt_i64_e32 vcc, v[2:3], v[4:5]
	s_and_saveexec_b64 s[8:9], vcc
	s_cbranch_execz .LBB42_173
; %bb.170:                              ;   in Loop: Header=BB42_169 Depth=1
	v_mov_b32_e32 v6, s7
	v_subrev_co_u32_e32 v4, vcc, s6, v4
	v_subb_co_u32_e32 v5, vcc, v5, v6, vcc
	v_subrev_co_u32_e32 v8, vcc, s6, v2
	v_subb_co_u32_e32 v9, vcc, v3, v6, vcc
	v_mov_b32_e32 v14, 0
	v_mov_b32_e32 v6, 0
	v_lshl_add_u32 v2, v2, 4, s18
	v_mov_b32_e32 v15, 0
	v_mov_b32_e32 v7, 0
	s_mov_b64 s[10:11], 0
.LBB42_171:                             ;   Parent Loop BB42_169 Depth=1
                                        ; =>  This Inner Loop Header: Depth=2
	ds_read_b128 v[20:23], v2
	v_add_co_u32_e32 v8, vcc, 1, v8
	v_addc_co_u32_e32 v9, vcc, 0, v9, vcc
	s_waitcnt lgkmcnt(0)
	v_add_f64 v[6:7], v[6:7], v[20:21]
	v_add_f64 v[14:15], v[14:15], v[22:23]
	v_cmp_ge_i64_e32 vcc, v[8:9], v[4:5]
	v_add_u32_e32 v2, 16, v2
	s_or_b64 s[10:11], vcc, s[10:11]
	s_andn2_b64 exec, exec, s[10:11]
	s_cbranch_execnz .LBB42_171
; %bb.172:                              ;   in Loop: Header=BB42_169 Depth=1
	s_or_b64 exec, exec, s[10:11]
.LBB42_173:                             ;   in Loop: Header=BB42_169 Depth=1
	s_or_b64 exec, exec, s[8:9]
	v_lshlrev_b64 v[2:3], 4, v[12:13]
	s_mov_b64 s[8:9], 0
	v_add_co_u32_e32 v16, vcc, s28, v2
	v_addc_co_u32_e32 v17, vcc, v19, v3, vcc
	global_load_dwordx2 v[8:9], v[16:17], off
	v_lshl_add_u32 v2, v12, 4, s13
	ds_read2_b64 v[2:5], v2 offset1:1
	s_waitcnt lgkmcnt(0)
	v_add_f64 v[2:3], v[6:7], v[2:3]
.LBB42_174:                             ;   Parent Loop BB42_169 Depth=1
                                        ; =>  This Inner Loop Header: Depth=2
	s_waitcnt vmcnt(0)
	v_add_f64 v[6:7], v[8:9], v[2:3]
	global_atomic_cmpswap_x2 v[6:7], v[16:17], v[6:9], off glc
	s_waitcnt vmcnt(0)
	v_cmp_eq_u64_e32 vcc, v[6:7], v[8:9]
	v_mov_b32_e32 v9, v7
	s_or_b64 s[8:9], vcc, s[8:9]
	v_mov_b32_e32 v8, v6
	s_andn2_b64 exec, exec, s[8:9]
	s_cbranch_execnz .LBB42_174
; %bb.175:                              ;   in Loop: Header=BB42_169 Depth=1
	s_or_b64 exec, exec, s[8:9]
	global_load_dwordx2 v[6:7], v[16:17], off offset:8
	v_add_f64 v[2:3], v[14:15], v[4:5]
	s_mov_b64 s[8:9], 0
.LBB42_176:                             ;   Parent Loop BB42_169 Depth=1
                                        ; =>  This Inner Loop Header: Depth=2
	s_waitcnt vmcnt(0)
	v_add_f64 v[4:5], v[6:7], v[2:3]
	global_atomic_cmpswap_x2 v[4:5], v[16:17], v[4:7], off offset:8 glc
	s_waitcnt vmcnt(0)
	v_cmp_eq_u64_e32 vcc, v[4:5], v[6:7]
	v_mov_b32_e32 v7, v5
	s_or_b64 s[8:9], vcc, s[8:9]
	v_mov_b32_e32 v6, v4
	s_andn2_b64 exec, exec, s[8:9]
	s_cbranch_execnz .LBB42_176
; %bb.177:                              ;   in Loop: Header=BB42_169 Depth=1
	s_or_b64 exec, exec, s[8:9]
	v_add_co_u32_e32 v12, vcc, s12, v12
	v_addc_co_u32_e32 v13, vcc, 0, v13, vcc
	v_cmp_le_i64_e32 vcc, s[26:27], v[12:13]
	s_or_b64 s[4:5], vcc, s[4:5]
	s_andn2_b64 exec, exec, s[4:5]
	s_cbranch_execnz .LBB42_169
.LBB42_178:
	s_or_b64 exec, exec, s[0:1]
	s_mov_b64 s[0:1], 0
.LBB42_179:
	s_andn2_b64 vcc, exec, s[0:1]
	s_cbranch_vccnz .LBB42_199
; %bb.180:
	v_cvt_f32_u32_e32 v2, s3
	s_sub_i32 s8, 0, s3
	v_mov_b32_e32 v6, s15
	v_rcp_iflag_f32_e32 v2, v2
	v_mul_f32_e32 v2, 0x4f7ffffe, v2
	v_cvt_u32_f32_e32 v2, v2
	v_mul_lo_u32 v3, s8, v2
	v_mul_hi_u32 v3, v2, v3
	v_add_u32_e32 v2, v2, v3
	v_mul_hi_u32 v2, v0, v2
	v_mov_b32_e32 v3, 0
	v_mul_lo_u32 v4, v2, s3
	v_add_u32_e32 v5, 1, v2
	v_sub_u32_e32 v4, v0, v4
	v_cmp_le_u32_e32 vcc, s3, v4
	v_cndmask_b32_e32 v2, v2, v5, vcc
	v_subrev_u32_e32 v5, s3, v4
	v_cndmask_b32_e32 v4, v4, v5, vcc
	v_add_u32_e32 v5, 1, v2
	v_cmp_le_u32_e32 vcc, s3, v4
	v_cndmask_b32_e32 v2, v2, v5, vcc
	v_lshlrev_b64 v[4:5], 3, v[2:3]
	v_add_co_u32_e32 v4, vcc, s14, v4
	v_addc_co_u32_e32 v5, vcc, v6, v5, vcc
	global_load_dwordx4 v[6:9], v[4:5], off
	v_mov_b32_e32 v4, s7
	v_mov_b32_e32 v5, s7
	s_waitcnt vmcnt(0)
	v_subrev_co_u32_e32 v6, vcc, s6, v6
	v_subb_co_u32_e32 v7, vcc, v7, v4, vcc
	v_subrev_co_u32_e32 v15, vcc, s6, v8
	v_subb_co_u32_e32 v16, vcc, v9, v5, vcc
	v_sub_co_u32_e32 v12, vcc, v15, v6
	v_subb_co_u32_e32 v5, vcc, v16, v7, vcc
	v_mov_b32_e32 v4, v3
	v_cmp_ne_u64_e32 vcc, 0, v[4:5]
                                        ; implicit-def: $vgpr8_vgpr9
	s_and_saveexec_b64 s[0:1], vcc
	s_xor_b64 s[4:5], exec, s[0:1]
	s_cbranch_execz .LBB42_182
; %bb.181:
	s_add_u32 s0, s3, 0
	s_addc_u32 s1, 0, 0
	s_xor_b64 s[6:7], s[0:1], 0
	v_cvt_f32_u32_e32 v4, s6
	v_cvt_f32_u32_e32 v8, s7
	s_sub_u32 s9, 0, s6
	s_subb_u32 s10, 0, s7
	v_ashrrev_i32_e32 v13, 31, v5
	v_madmk_f32 v4, v8, 0x4f800000, v4
	v_rcp_f32_e32 v4, v4
	v_mul_f32_e32 v4, 0x5f7ffffc, v4
	v_mul_f32_e32 v8, 0x2f800000, v4
	v_trunc_f32_e32 v8, v8
	v_madmk_f32 v4, v8, 0xcf800000, v4
	v_cvt_u32_f32_e32 v8, v8
	v_cvt_u32_f32_e32 v4, v4
	v_readfirstlane_b32 s11, v8
	v_readfirstlane_b32 s0, v4
	s_mul_i32 s1, s9, s11
	s_mul_hi_u32 s13, s9, s0
	s_mul_i32 s12, s10, s0
	s_add_i32 s1, s13, s1
	s_mul_i32 s14, s9, s0
	s_add_i32 s1, s1, s12
	s_mul_i32 s13, s0, s1
	s_mul_hi_u32 s15, s0, s14
	s_mul_hi_u32 s12, s0, s1
	s_add_u32 s13, s15, s13
	s_addc_u32 s12, 0, s12
	s_mul_hi_u32 s16, s11, s14
	s_mul_i32 s14, s11, s14
	s_add_u32 s13, s13, s14
	s_mul_hi_u32 s15, s11, s1
	s_addc_u32 s12, s12, s16
	s_addc_u32 s13, s15, 0
	s_mul_i32 s1, s11, s1
	s_add_u32 s1, s12, s1
	s_addc_u32 s12, 0, s13
	s_add_u32 s13, s0, s1
	s_cselect_b64 s[0:1], -1, 0
	s_cmp_lg_u64 s[0:1], 0
	s_addc_u32 s11, s11, s12
	s_mul_i32 s0, s9, s11
	s_mul_hi_u32 s1, s9, s13
	s_add_i32 s0, s1, s0
	s_mul_i32 s10, s10, s13
	s_add_i32 s0, s0, s10
	s_mul_i32 s9, s9, s13
	s_mul_hi_u32 s10, s11, s9
	s_mul_i32 s12, s11, s9
	s_mul_i32 s15, s13, s0
	s_mul_hi_u32 s9, s13, s9
	s_mul_hi_u32 s14, s13, s0
	s_add_u32 s9, s9, s15
	s_addc_u32 s14, 0, s14
	s_add_u32 s9, s9, s12
	s_mul_hi_u32 s1, s11, s0
	s_addc_u32 s9, s14, s10
	s_addc_u32 s1, s1, 0
	s_mul_i32 s0, s11, s0
	s_add_u32 s0, s9, s0
	s_addc_u32 s9, 0, s1
	s_add_u32 s10, s13, s0
	s_cselect_b64 s[0:1], -1, 0
	s_cmp_lg_u64 s[0:1], 0
	v_add_co_u32_e32 v4, vcc, v12, v13
	s_addc_u32 s9, s11, s9
	v_xor_b32_e32 v12, v4, v13
	v_addc_co_u32_e32 v8, vcc, v5, v13, vcc
	v_mad_u64_u32 v[4:5], s[0:1], v12, s9, 0
	v_mul_hi_u32 v9, v12, s10
	v_xor_b32_e32 v14, v8, v13
	v_add_co_u32_e32 v17, vcc, v9, v4
	v_addc_co_u32_e32 v18, vcc, 0, v5, vcc
	v_mad_u64_u32 v[4:5], s[0:1], v14, s10, 0
	v_mad_u64_u32 v[8:9], s[0:1], v14, s9, 0
	v_add_co_u32_e32 v4, vcc, v17, v4
	v_addc_co_u32_e32 v4, vcc, v18, v5, vcc
	v_addc_co_u32_e32 v5, vcc, 0, v9, vcc
	v_add_co_u32_e32 v8, vcc, v4, v8
	v_addc_co_u32_e32 v9, vcc, 0, v5, vcc
	v_mul_lo_u32 v17, s7, v8
	v_mul_lo_u32 v18, s6, v9
	v_mad_u64_u32 v[4:5], s[0:1], s6, v8, 0
	v_add3_u32 v5, v5, v18, v17
	v_sub_u32_e32 v17, v14, v5
	v_mov_b32_e32 v18, s7
	v_sub_co_u32_e32 v4, vcc, v12, v4
	v_subb_co_u32_e64 v12, s[0:1], v17, v18, vcc
	v_subrev_co_u32_e64 v17, s[0:1], s6, v4
	v_subbrev_co_u32_e64 v12, s[0:1], 0, v12, s[0:1]
	v_cmp_le_u32_e64 s[0:1], s7, v12
	v_cndmask_b32_e64 v18, 0, -1, s[0:1]
	v_cmp_le_u32_e64 s[0:1], s6, v17
	v_cndmask_b32_e64 v17, 0, -1, s[0:1]
	v_cmp_eq_u32_e64 s[0:1], s7, v12
	v_cndmask_b32_e64 v12, v18, v17, s[0:1]
	v_add_co_u32_e64 v17, s[0:1], 2, v8
	v_subb_co_u32_e32 v5, vcc, v14, v5, vcc
	v_addc_co_u32_e64 v18, s[0:1], 0, v9, s[0:1]
	v_cmp_le_u32_e32 vcc, s7, v5
	v_add_co_u32_e64 v19, s[0:1], 1, v8
	v_cndmask_b32_e64 v14, 0, -1, vcc
	v_cmp_le_u32_e32 vcc, s6, v4
	v_addc_co_u32_e64 v20, s[0:1], 0, v9, s[0:1]
	v_cndmask_b32_e64 v4, 0, -1, vcc
	v_cmp_eq_u32_e32 vcc, s7, v5
	v_cmp_ne_u32_e64 s[0:1], 0, v12
	v_cndmask_b32_e32 v4, v14, v4, vcc
	v_cmp_ne_u32_e32 vcc, 0, v4
	v_cndmask_b32_e64 v5, v19, v17, s[0:1]
	v_cndmask_b32_e64 v12, v20, v18, s[0:1]
	v_cndmask_b32_e32 v5, v8, v5, vcc
	v_cndmask_b32_e32 v4, v9, v12, vcc
	v_xor_b32_e32 v5, v5, v13
	v_xor_b32_e32 v4, v4, v13
	v_sub_co_u32_e32 v8, vcc, v5, v13
	v_subb_co_u32_e32 v9, vcc, v4, v13, vcc
                                        ; implicit-def: $vgpr12
.LBB42_182:
	s_andn2_saveexec_b64 s[0:1], s[4:5]
	s_cbranch_execz .LBB42_184
; %bb.183:
	v_cvt_f32_u32_e32 v4, s3
	v_rcp_iflag_f32_e32 v4, v4
	v_mul_f32_e32 v4, 0x4f7ffffe, v4
	v_cvt_u32_f32_e32 v4, v4
	v_mul_lo_u32 v5, s8, v4
	v_mul_hi_u32 v5, v4, v5
	v_add_u32_e32 v4, v4, v5
	v_mul_hi_u32 v4, v12, v4
	v_mul_lo_u32 v5, v4, s3
	v_add_u32_e32 v8, 1, v4
	v_sub_u32_e32 v5, v12, v5
	v_subrev_u32_e32 v9, s3, v5
	v_cmp_le_u32_e32 vcc, s3, v5
	v_cndmask_b32_e32 v5, v5, v9, vcc
	v_cndmask_b32_e32 v4, v4, v8, vcc
	v_add_u32_e32 v8, 1, v4
	v_cmp_le_u32_e32 vcc, s3, v5
	v_cndmask_b32_e32 v8, v4, v8, vcc
	v_mov_b32_e32 v9, 0
.LBB42_184:
	s_or_b64 exec, exec, s[0:1]
	v_cmp_gt_i64_e32 vcc, s[30:31], v[2:3]
	v_mov_b32_e32 v4, 0
	v_mov_b32_e32 v2, 0
	;; [unrolled: 1-line block ×4, first 2 shown]
	s_and_saveexec_b64 s[0:1], vcc
	s_cbranch_execz .LBB42_192
; %bb.185:
	s_add_i32 s4, s3, -1
	v_and_b32_e32 v12, s4, v0
	v_cmp_lt_i64_e32 vcc, 0, v[8:9]
	v_mov_b32_e32 v4, 0
	v_mov_b32_e32 v2, 0
	s_mov_b64 s[4:5], 0
	v_mov_b32_e32 v5, 0
	v_mov_b32_e32 v3, 0
	v_lshlrev_b32_e32 v17, 4, v12
	s_and_saveexec_b64 s[6:7], vcc
	s_cbranch_execz .LBB42_189
; %bb.186:
	v_mov_b32_e32 v4, 0
	v_mov_b32_e32 v5, 0
	;; [unrolled: 1-line block ×4, first 2 shown]
	v_lshl_add_u32 v18, v6, 4, v17
	s_lshl_b32 s8, s3, 4
	v_mov_b32_e32 v13, v8
	v_mov_b32_e32 v3, v5
.LBB42_187:                             ; =>This Inner Loop Header: Depth=1
	ds_read_b128 v[19:22], v18
	v_add_co_u32_e32 v13, vcc, -1, v13
	v_addc_co_u32_e32 v14, vcc, -1, v14, vcc
	s_waitcnt lgkmcnt(0)
	v_add_f64 v[2:3], v[2:3], v[19:20]
	v_add_f64 v[4:5], v[4:5], v[21:22]
	v_cmp_eq_u64_e32 vcc, 0, v[13:14]
	v_add_u32_e32 v18, s8, v18
	s_or_b64 s[4:5], vcc, s[4:5]
	s_andn2_b64 exec, exec, s[4:5]
	s_cbranch_execnz .LBB42_187
; %bb.188:
	s_or_b64 exec, exec, s[4:5]
.LBB42_189:
	s_or_b64 exec, exec, s[6:7]
	v_mad_u64_u32 v[6:7], s[4:5], v8, s3, v[6:7]
	v_mov_b32_e32 v13, 0
	v_mad_u64_u32 v[7:8], s[4:5], v9, s3, v[7:8]
	v_sub_co_u32_e32 v8, vcc, v15, v6
	v_subb_co_u32_e32 v9, vcc, v16, v7, vcc
	v_cmp_gt_i64_e32 vcc, v[8:9], v[12:13]
	s_and_saveexec_b64 s[4:5], vcc
	s_cbranch_execz .LBB42_191
; %bb.190:
	v_lshl_add_u32 v6, v6, 4, v17
	ds_read_b128 v[6:9], v6
	s_waitcnt lgkmcnt(0)
	v_add_f64 v[2:3], v[2:3], v[6:7]
	v_add_f64 v[4:5], v[4:5], v[8:9]
.LBB42_191:
	s_or_b64 exec, exec, s[4:5]
.LBB42_192:
	s_or_b64 exec, exec, s[0:1]
	v_cmp_gt_i64_e32 vcc, s[30:31], v[0:1]
	s_barrier
	ds_write_b128 v26, v[2:5]
	s_waitcnt lgkmcnt(0)
	s_barrier
	s_and_b64 exec, exec, vcc
	s_cbranch_execz .LBB42_199
; %bb.193:
	v_mul_lo_u32 v1, s3, v0
	v_mov_b32_e32 v8, 0
	v_mov_b32_e32 v4, 0
	;; [unrolled: 1-line block ×4, first 2 shown]
	v_lshlrev_b32_e32 v1, 4, v1
.LBB42_194:                             ; =>This Inner Loop Header: Depth=1
	ds_read_b128 v[12:15], v1
	s_add_i32 s3, s3, -1
	s_cmp_eq_u32 s3, 0
	v_add_u32_e32 v1, 16, v1
	s_waitcnt lgkmcnt(0)
	v_add_f64 v[4:5], v[4:5], v[12:13]
	v_add_f64 v[8:9], v[8:9], v[14:15]
	s_cbranch_scc0 .LBB42_194
; %bb.195:
	v_lshlrev_b64 v[1:2], 4, v[10:11]
	v_mov_b32_e32 v3, s29
	v_add_co_u32_e32 v10, vcc, s28, v1
	v_addc_co_u32_e32 v11, vcc, v3, v2, vcc
	global_load_dwordx2 v[6:7], v[10:11], off
	s_lshl_b32 s0, s2, 4
	s_addk_i32 s0, 0x4000
	v_lshl_add_u32 v0, v0, 4, s0
	ds_read2_b64 v[0:3], v0 offset1:1
	s_mov_b64 s[0:1], 0
	s_waitcnt lgkmcnt(0)
	v_add_f64 v[0:1], v[4:5], v[0:1]
.LBB42_196:                             ; =>This Inner Loop Header: Depth=1
	s_waitcnt vmcnt(0)
	v_add_f64 v[4:5], v[6:7], v[0:1]
	global_atomic_cmpswap_x2 v[4:5], v[10:11], v[4:7], off glc
	s_waitcnt vmcnt(0)
	v_cmp_eq_u64_e32 vcc, v[4:5], v[6:7]
	v_mov_b32_e32 v7, v5
	s_or_b64 s[0:1], vcc, s[0:1]
	v_mov_b32_e32 v6, v4
	s_andn2_b64 exec, exec, s[0:1]
	s_cbranch_execnz .LBB42_196
; %bb.197:
	s_or_b64 exec, exec, s[0:1]
	global_load_dwordx2 v[4:5], v[10:11], off offset:8
	v_add_f64 v[0:1], v[8:9], v[2:3]
	s_mov_b64 s[0:1], 0
.LBB42_198:                             ; =>This Inner Loop Header: Depth=1
	s_waitcnt vmcnt(0)
	v_add_f64 v[2:3], v[4:5], v[0:1]
	global_atomic_cmpswap_x2 v[2:3], v[10:11], v[2:5], off offset:8 glc
	s_waitcnt vmcnt(0)
	v_cmp_eq_u64_e32 vcc, v[2:3], v[4:5]
	v_mov_b32_e32 v5, v3
	s_or_b64 s[0:1], vcc, s[0:1]
	v_mov_b32_e32 v4, v2
	s_andn2_b64 exec, exec, s[0:1]
	s_cbranch_execnz .LBB42_198
.LBB42_199:
	s_endpgm
	.section	.rodata,"a",@progbits
	.p2align	6, 0x0
	.amdhsa_kernel _ZN9rocsparseL27csrmvn_symm_adaptive_kernelIll21rocsparse_complex_numIdES2_S2_S2_EEvbT_S3_PKS3_NS_24const_host_device_scalarIT4_EES5_PKT0_PKT1_PKT2_S8_PT3_21rocsparse_index_base_b
		.amdhsa_group_segment_fixed_size 16384
		.amdhsa_private_segment_fixed_size 0
		.amdhsa_kernarg_size 368
		.amdhsa_user_sgpr_count 6
		.amdhsa_user_sgpr_private_segment_buffer 1
		.amdhsa_user_sgpr_dispatch_ptr 0
		.amdhsa_user_sgpr_queue_ptr 0
		.amdhsa_user_sgpr_kernarg_segment_ptr 1
		.amdhsa_user_sgpr_dispatch_id 0
		.amdhsa_user_sgpr_flat_scratch_init 0
		.amdhsa_user_sgpr_private_segment_size 0
		.amdhsa_uses_dynamic_stack 0
		.amdhsa_system_sgpr_private_segment_wavefront_offset 0
		.amdhsa_system_sgpr_workgroup_id_x 1
		.amdhsa_system_sgpr_workgroup_id_y 0
		.amdhsa_system_sgpr_workgroup_id_z 0
		.amdhsa_system_sgpr_workgroup_info 0
		.amdhsa_system_vgpr_workitem_id 0
		.amdhsa_next_free_vgpr 49
		.amdhsa_next_free_sgpr 98
		.amdhsa_reserve_vcc 1
		.amdhsa_reserve_flat_scratch 0
		.amdhsa_float_round_mode_32 0
		.amdhsa_float_round_mode_16_64 0
		.amdhsa_float_denorm_mode_32 3
		.amdhsa_float_denorm_mode_16_64 3
		.amdhsa_dx10_clamp 1
		.amdhsa_ieee_mode 1
		.amdhsa_fp16_overflow 0
		.amdhsa_exception_fp_ieee_invalid_op 0
		.amdhsa_exception_fp_denorm_src 0
		.amdhsa_exception_fp_ieee_div_zero 0
		.amdhsa_exception_fp_ieee_overflow 0
		.amdhsa_exception_fp_ieee_underflow 0
		.amdhsa_exception_fp_ieee_inexact 0
		.amdhsa_exception_int_div_zero 0
	.end_amdhsa_kernel
	.section	.text._ZN9rocsparseL27csrmvn_symm_adaptive_kernelIll21rocsparse_complex_numIdES2_S2_S2_EEvbT_S3_PKS3_NS_24const_host_device_scalarIT4_EES5_PKT0_PKT1_PKT2_S8_PT3_21rocsparse_index_base_b,"axG",@progbits,_ZN9rocsparseL27csrmvn_symm_adaptive_kernelIll21rocsparse_complex_numIdES2_S2_S2_EEvbT_S3_PKS3_NS_24const_host_device_scalarIT4_EES5_PKT0_PKT1_PKT2_S8_PT3_21rocsparse_index_base_b,comdat
.Lfunc_end42:
	.size	_ZN9rocsparseL27csrmvn_symm_adaptive_kernelIll21rocsparse_complex_numIdES2_S2_S2_EEvbT_S3_PKS3_NS_24const_host_device_scalarIT4_EES5_PKT0_PKT1_PKT2_S8_PT3_21rocsparse_index_base_b, .Lfunc_end42-_ZN9rocsparseL27csrmvn_symm_adaptive_kernelIll21rocsparse_complex_numIdES2_S2_S2_EEvbT_S3_PKS3_NS_24const_host_device_scalarIT4_EES5_PKT0_PKT1_PKT2_S8_PT3_21rocsparse_index_base_b
                                        ; -- End function
	.set _ZN9rocsparseL27csrmvn_symm_adaptive_kernelIll21rocsparse_complex_numIdES2_S2_S2_EEvbT_S3_PKS3_NS_24const_host_device_scalarIT4_EES5_PKT0_PKT1_PKT2_S8_PT3_21rocsparse_index_base_b.num_vgpr, 37
	.set _ZN9rocsparseL27csrmvn_symm_adaptive_kernelIll21rocsparse_complex_numIdES2_S2_S2_EEvbT_S3_PKS3_NS_24const_host_device_scalarIT4_EES5_PKT0_PKT1_PKT2_S8_PT3_21rocsparse_index_base_b.num_agpr, 0
	.set _ZN9rocsparseL27csrmvn_symm_adaptive_kernelIll21rocsparse_complex_numIdES2_S2_S2_EEvbT_S3_PKS3_NS_24const_host_device_scalarIT4_EES5_PKT0_PKT1_PKT2_S8_PT3_21rocsparse_index_base_b.numbered_sgpr, 52
	.set _ZN9rocsparseL27csrmvn_symm_adaptive_kernelIll21rocsparse_complex_numIdES2_S2_S2_EEvbT_S3_PKS3_NS_24const_host_device_scalarIT4_EES5_PKT0_PKT1_PKT2_S8_PT3_21rocsparse_index_base_b.num_named_barrier, 0
	.set _ZN9rocsparseL27csrmvn_symm_adaptive_kernelIll21rocsparse_complex_numIdES2_S2_S2_EEvbT_S3_PKS3_NS_24const_host_device_scalarIT4_EES5_PKT0_PKT1_PKT2_S8_PT3_21rocsparse_index_base_b.private_seg_size, 0
	.set _ZN9rocsparseL27csrmvn_symm_adaptive_kernelIll21rocsparse_complex_numIdES2_S2_S2_EEvbT_S3_PKS3_NS_24const_host_device_scalarIT4_EES5_PKT0_PKT1_PKT2_S8_PT3_21rocsparse_index_base_b.uses_vcc, 1
	.set _ZN9rocsparseL27csrmvn_symm_adaptive_kernelIll21rocsparse_complex_numIdES2_S2_S2_EEvbT_S3_PKS3_NS_24const_host_device_scalarIT4_EES5_PKT0_PKT1_PKT2_S8_PT3_21rocsparse_index_base_b.uses_flat_scratch, 0
	.set _ZN9rocsparseL27csrmvn_symm_adaptive_kernelIll21rocsparse_complex_numIdES2_S2_S2_EEvbT_S3_PKS3_NS_24const_host_device_scalarIT4_EES5_PKT0_PKT1_PKT2_S8_PT3_21rocsparse_index_base_b.has_dyn_sized_stack, 0
	.set _ZN9rocsparseL27csrmvn_symm_adaptive_kernelIll21rocsparse_complex_numIdES2_S2_S2_EEvbT_S3_PKS3_NS_24const_host_device_scalarIT4_EES5_PKT0_PKT1_PKT2_S8_PT3_21rocsparse_index_base_b.has_recursion, 0
	.set _ZN9rocsparseL27csrmvn_symm_adaptive_kernelIll21rocsparse_complex_numIdES2_S2_S2_EEvbT_S3_PKS3_NS_24const_host_device_scalarIT4_EES5_PKT0_PKT1_PKT2_S8_PT3_21rocsparse_index_base_b.has_indirect_call, 0
	.section	.AMDGPU.csdata,"",@progbits
; Kernel info:
; codeLenInByte = 10412
; TotalNumSgprs: 56
; NumVgprs: 37
; ScratchSize: 0
; MemoryBound: 0
; FloatMode: 240
; IeeeMode: 1
; LDSByteSize: 16384 bytes/workgroup (compile time only)
; SGPRBlocks: 12
; VGPRBlocks: 12
; NumSGPRsForWavesPerEU: 102
; NumVGPRsForWavesPerEU: 49
; Occupancy: 4
; WaveLimiterHint : 1
; COMPUTE_PGM_RSRC2:SCRATCH_EN: 0
; COMPUTE_PGM_RSRC2:USER_SGPR: 6
; COMPUTE_PGM_RSRC2:TRAP_HANDLER: 0
; COMPUTE_PGM_RSRC2:TGID_X_EN: 1
; COMPUTE_PGM_RSRC2:TGID_Y_EN: 0
; COMPUTE_PGM_RSRC2:TGID_Z_EN: 0
; COMPUTE_PGM_RSRC2:TIDIG_COMP_CNT: 0
	.section	.text._ZL33csrmvn_symm_large_adaptive_kernelIll21rocsparse_complex_numIdES1_S1_S1_EvbT_PKS2_N9rocsparse24const_host_device_scalarIT4_EES4_PKT0_PKT1_PKT2_S8_PT3_21rocsparse_index_base_b,"axG",@progbits,_ZL33csrmvn_symm_large_adaptive_kernelIll21rocsparse_complex_numIdES1_S1_S1_EvbT_PKS2_N9rocsparse24const_host_device_scalarIT4_EES4_PKT0_PKT1_PKT2_S8_PT3_21rocsparse_index_base_b,comdat
	.globl	_ZL33csrmvn_symm_large_adaptive_kernelIll21rocsparse_complex_numIdES1_S1_S1_EvbT_PKS2_N9rocsparse24const_host_device_scalarIT4_EES4_PKT0_PKT1_PKT2_S8_PT3_21rocsparse_index_base_b ; -- Begin function _ZL33csrmvn_symm_large_adaptive_kernelIll21rocsparse_complex_numIdES1_S1_S1_EvbT_PKS2_N9rocsparse24const_host_device_scalarIT4_EES4_PKT0_PKT1_PKT2_S8_PT3_21rocsparse_index_base_b
	.p2align	8
	.type	_ZL33csrmvn_symm_large_adaptive_kernelIll21rocsparse_complex_numIdES1_S1_S1_EvbT_PKS2_N9rocsparse24const_host_device_scalarIT4_EES4_PKT0_PKT1_PKT2_S8_PT3_21rocsparse_index_base_b,@function
_ZL33csrmvn_symm_large_adaptive_kernelIll21rocsparse_complex_numIdES1_S1_S1_EvbT_PKS2_N9rocsparse24const_host_device_scalarIT4_EES4_PKT0_PKT1_PKT2_S8_PT3_21rocsparse_index_base_b: ; @_ZL33csrmvn_symm_large_adaptive_kernelIll21rocsparse_complex_numIdES1_S1_S1_EvbT_PKS2_N9rocsparse24const_host_device_scalarIT4_EES4_PKT0_PKT1_PKT2_S8_PT3_21rocsparse_index_base_b
; %bb.0:
	s_load_dwordx2 s[14:15], s[4:5], 0x60
	s_load_dwordx2 s[0:1], s[4:5], 0x18
	s_add_u32 s7, s4, 24
	s_addc_u32 s10, s5, 0
	s_waitcnt lgkmcnt(0)
	s_bitcmp1_b32 s15, 0
	s_cselect_b64 s[8:9], -1, 0
	s_and_b64 s[2:3], s[8:9], exec
	s_cselect_b32 s1, s10, s1
	s_cselect_b32 s0, s7, s0
	v_mov_b32_e32 v1, s0
	v_mov_b32_e32 v2, s1
	flat_load_dwordx4 v[1:4], v[1:2]
	s_waitcnt vmcnt(0) lgkmcnt(0)
	v_cmp_eq_f64_e32 vcc, 0, v[1:2]
	v_cmp_eq_f64_e64 s[0:1], 0, v[3:4]
	s_and_b64 s[10:11], vcc, s[0:1]
	s_mov_b64 s[0:1], -1
	s_and_saveexec_b64 s[2:3], s[10:11]
	s_cbranch_execz .LBB43_2
; %bb.1:
	s_load_dwordx2 s[0:1], s[4:5], 0x48
	s_add_u32 s7, s4, 0x48
	s_addc_u32 s10, s5, 0
	s_and_b64 s[8:9], s[8:9], exec
	s_waitcnt lgkmcnt(0)
	s_cselect_b32 s1, s10, s1
	s_cselect_b32 s0, s7, s0
	v_mov_b32_e32 v5, s0
	v_mov_b32_e32 v6, s1
	flat_load_dwordx4 v[5:8], v[5:6]
	s_waitcnt vmcnt(0) lgkmcnt(0)
	v_cmp_neq_f64_e32 vcc, 1.0, v[5:6]
	v_cmp_neq_f64_e64 s[0:1], 0, v[7:8]
	s_or_b64 s[0:1], vcc, s[0:1]
	s_orn2_b64 s[0:1], s[0:1], exec
.LBB43_2:
	s_or_b64 exec, exec, s[2:3]
	s_and_saveexec_b64 s[2:3], s[0:1]
	s_cbranch_execz .LBB43_45
; %bb.3:
	s_load_dword s0, s[4:5], 0x0
	s_load_dwordx2 s[2:3], s[4:5], 0x10
	s_mov_b32 s8, 0
	s_mov_b32 s9, s8
	;; [unrolled: 1-line block ×3, first 2 shown]
	s_waitcnt lgkmcnt(0)
	s_bitcmp1_b32 s0, 0
	s_cselect_b64 s[0:1], -1, 0
	s_ashr_i32 s7, s6, 31
	s_lshl_b64 s[6:7], s[6:7], 3
	s_mov_b32 s11, s8
	v_mov_b32_e32 v5, s8
	s_add_u32 s2, s2, s6
	v_lshlrev_b32_e32 v17, 4, v0
	v_mov_b32_e32 v6, s9
	v_mov_b32_e32 v7, s10
	;; [unrolled: 1-line block ×3, first 2 shown]
	s_addc_u32 s3, s3, s7
	ds_write_b128 v17, v[5:8]
	ds_write_b128 v17, v[5:8] offset:4096
	ds_write_b128 v17, v[5:8] offset:8192
	;; [unrolled: 1-line block ×3, first 2 shown]
	s_waitcnt lgkmcnt(0)
	s_barrier
	s_load_dwordx4 s[24:27], s[2:3], 0x0
	s_load_dwordx2 s[28:29], s[4:5], 0x58
	s_load_dwordx8 s[16:23], s[4:5], 0x28
	v_subrev_co_u32_e64 v18, s[2:3], s14, v0
	s_waitcnt lgkmcnt(0)
	v_mov_b32_e32 v5, s26
	v_mov_b32_e32 v6, s27
	v_cmp_ge_i64_e32 vcc, s[24:25], v[5:6]
	v_mov_b32_e32 v20, 0
	v_subb_co_u32_e64 v19, s[2:3], 0, 0, s[2:3]
	s_cbranch_vccnz .LBB43_33
; %bb.4:
	s_movk_i32 s15, 0x100
	s_add_u32 s33, s20, 8
	v_mov_b32_e32 v13, s26
	v_cmp_gt_u32_e64 s[2:3], s15, v0
	v_cmp_gt_u32_e64 s[4:5], 64, v0
	;; [unrolled: 1-line block ×4, first 2 shown]
	v_cmp_eq_u32_e64 s[10:11], 0, v0
	s_addc_u32 s40, s21, 0
	v_mov_b32_e32 v14, s27
	s_mov_b64 s[30:31], s[24:25]
	s_branch .LBB43_6
.LBB43_5:                               ;   in Loop: Header=BB43_6 Depth=1
	s_or_b64 exec, exec, s[12:13]
	s_add_u32 s30, s30, 1
	s_addc_u32 s31, s31, 0
	v_cmp_ge_i64_e32 vcc, s[30:31], v[13:14]
	s_cbranch_vccnz .LBB43_33
.LBB43_6:                               ; =>This Loop Header: Depth=1
                                        ;     Child Loop BB43_8 Depth 2
                                        ;     Child Loop BB43_22 Depth 2
	;; [unrolled: 1-line block ×5, first 2 shown]
	s_lshl_b64 s[12:13], s[30:31], 3
	s_add_u32 s12, s16, s12
	s_addc_u32 s13, s17, s13
	s_load_dwordx4 s[36:39], s[12:13], 0x0
	v_mov_b32_e32 v7, 0
	v_mov_b32_e32 v5, 0
	;; [unrolled: 1-line block ×4, first 2 shown]
	s_waitcnt lgkmcnt(0)
	s_sub_u32 s34, s38, s14
	v_mov_b32_e32 v0, s37
	v_add_co_u32_e32 v9, vcc, s36, v18
	s_subb_u32 s35, s39, 0
	v_addc_co_u32_e32 v10, vcc, v0, v19, vcc
	v_cmp_gt_i64_e32 vcc, s[34:35], v[9:10]
	s_and_saveexec_b64 s[36:37], vcc
	s_cbranch_execz .LBB43_10
; %bb.7:                                ;   in Loop: Header=BB43_6 Depth=1
	v_lshlrev_b64 v[5:6], 3, v[9:10]
	v_mov_b32_e32 v0, s19
	v_add_co_u32_e32 v11, vcc, s18, v5
	v_addc_co_u32_e32 v12, vcc, v0, v6, vcc
	v_lshlrev_b64 v[5:6], 4, v[9:10]
	v_mov_b32_e32 v0, s40
	v_add_co_u32_e32 v15, vcc, s33, v5
	v_mov_b32_e32 v7, 0
	v_addc_co_u32_e32 v16, vcc, v0, v6, vcc
	v_mov_b32_e32 v8, 0
	v_mov_b32_e32 v5, v7
	s_mov_b64 s[38:39], 0
	v_mov_b32_e32 v6, v8
.LBB43_8:                               ;   Parent Loop BB43_6 Depth=1
                                        ; =>  This Inner Loop Header: Depth=2
	global_load_dwordx2 v[25:26], v[11:12], off
	global_load_dwordx4 v[21:24], v[15:16], off offset:-8
	v_mov_b32_e32 v0, s23
	s_waitcnt vmcnt(1)
	v_subrev_co_u32_e32 v25, vcc, s14, v25
	v_subbrev_co_u32_e32 v26, vcc, 0, v26, vcc
	v_lshlrev_b64 v[25:26], 4, v[25:26]
	v_add_co_u32_e32 v25, vcc, s22, v25
	v_addc_co_u32_e32 v26, vcc, v0, v26, vcc
	global_load_dwordx4 v[25:28], v[25:26], off
	s_waitcnt vmcnt(1)
	v_xor_b32_e32 v0, 0x80000000, v24
	v_cndmask_b32_e64 v24, v24, v0, s[0:1]
	v_add_co_u32_e32 v9, vcc, s15, v9
	v_addc_co_u32_e32 v10, vcc, 0, v10, vcc
	v_add_co_u32_e32 v11, vcc, 0x800, v11
	v_addc_co_u32_e32 v12, vcc, 0, v12, vcc
	v_cmp_le_i64_e64 s[12:13], s[34:35], v[9:10]
	v_add_co_u32_e32 v15, vcc, 0x1000, v15
	s_or_b64 s[38:39], s[12:13], s[38:39]
	v_addc_co_u32_e32 v16, vcc, 0, v16, vcc
	s_waitcnt vmcnt(0)
	v_fma_f64 v[5:6], v[21:22], v[25:26], v[5:6]
	v_fma_f64 v[7:8], v[23:24], v[25:26], v[7:8]
	v_fma_f64 v[5:6], -v[23:24], v[27:28], v[5:6]
	v_fma_f64 v[7:8], v[21:22], v[27:28], v[7:8]
	s_andn2_b64 exec, exec, s[38:39]
	s_cbranch_execnz .LBB43_8
; %bb.9:                                ;   in Loop: Header=BB43_6 Depth=1
	s_or_b64 exec, exec, s[38:39]
.LBB43_10:                              ;   in Loop: Header=BB43_6 Depth=1
	s_or_b64 exec, exec, s[36:37]
	ds_write_b128 v17, v[5:8]
	s_waitcnt lgkmcnt(0)
	s_barrier
	s_and_saveexec_b64 s[12:13], s[2:3]
	s_cbranch_execz .LBB43_12
; %bb.11:                               ;   in Loop: Header=BB43_6 Depth=1
	ds_read_b128 v[5:8], v17 offset:4096
	ds_read_b128 v[9:12], v17 offset:8192
	ds_read_b128 v[21:24], v17 offset:12288
	ds_read_b128 v[25:28], v17
	s_waitcnt lgkmcnt(2)
	v_add_f64 v[5:6], v[9:10], v[5:6]
	v_add_f64 v[7:8], v[11:12], v[7:8]
	s_waitcnt lgkmcnt(1)
	v_add_f64 v[5:6], v[5:6], v[21:22]
	v_add_f64 v[7:8], v[7:8], v[23:24]
	s_waitcnt lgkmcnt(0)
	v_add_f64 v[5:6], v[5:6], v[25:26]
	v_add_f64 v[7:8], v[7:8], v[27:28]
	ds_write_b128 v17, v[5:8]
.LBB43_12:                              ;   in Loop: Header=BB43_6 Depth=1
	s_or_b64 exec, exec, s[12:13]
	s_waitcnt lgkmcnt(0)
	s_barrier
	s_and_saveexec_b64 s[12:13], s[4:5]
	s_cbranch_execz .LBB43_14
; %bb.13:                               ;   in Loop: Header=BB43_6 Depth=1
	ds_read_b128 v[5:8], v17 offset:1024
	ds_read_b128 v[9:12], v17 offset:2048
	ds_read_b128 v[21:24], v17 offset:3072
	ds_read_b128 v[25:28], v17
	s_waitcnt lgkmcnt(2)
	v_add_f64 v[5:6], v[9:10], v[5:6]
	v_add_f64 v[7:8], v[11:12], v[7:8]
	s_waitcnt lgkmcnt(1)
	v_add_f64 v[5:6], v[5:6], v[21:22]
	v_add_f64 v[7:8], v[7:8], v[23:24]
	s_waitcnt lgkmcnt(0)
	v_add_f64 v[5:6], v[5:6], v[25:26]
	v_add_f64 v[7:8], v[7:8], v[27:28]
	ds_write_b128 v17, v[5:8]
.LBB43_14:                              ;   in Loop: Header=BB43_6 Depth=1
	s_or_b64 exec, exec, s[12:13]
	;; [unrolled: 21-line block ×5, first 2 shown]
	s_waitcnt lgkmcnt(0)
	s_barrier
	s_and_saveexec_b64 s[12:13], s[10:11]
	s_cbranch_execz .LBB43_5
; %bb.21:                               ;   in Loop: Header=BB43_6 Depth=1
	ds_read_b128 v[5:8], v20
	v_mov_b32_e32 v15, 0
	s_mov_b64 s[34:35], exec
	v_bfrev_b32_e32 v16, 1
	s_waitcnt lgkmcnt(0)
	v_mul_f64 v[9:10], v[7:8], -v[3:4]
	v_fma_f64 v[9:10], v[1:2], v[5:6], v[9:10]
.LBB43_22:                              ;   Parent Loop BB43_6 Depth=1
                                        ; =>  This Inner Loop Header: Depth=2
	s_ff1_i32_b64 s38, s[34:35]
	v_readlane_b32 s37, v10, s38
	v_readlane_b32 s36, v9, s38
	v_add_f64 v[15:16], v[15:16], s[36:37]
	s_lshl_b64 s[36:37], 1, s38
	s_andn2_b64 s[34:35], s[34:35], s[36:37]
	s_cmp_lg_u64 s[34:35], 0
	s_cbranch_scc1 .LBB43_22
; %bb.23:                               ;   in Loop: Header=BB43_6 Depth=1
	s_lshl_b64 s[34:35], s[30:31], 4
	v_mbcnt_lo_u32_b32 v0, exec_lo, 0
	s_add_u32 s34, s28, s34
	v_mbcnt_hi_u32_b32 v0, exec_hi, v0
	s_addc_u32 s35, s29, s35
	v_cmp_eq_u32_e32 vcc, 0, v0
	s_and_saveexec_b64 s[36:37], vcc
	s_xor_b64 s[36:37], exec, s[36:37]
	s_cbranch_execz .LBB43_27
; %bb.24:                               ;   in Loop: Header=BB43_6 Depth=1
	global_load_dwordx2 v[11:12], v20, s[34:35]
	s_mov_b64 s[38:39], 0
.LBB43_25:                              ;   Parent Loop BB43_6 Depth=1
                                        ; =>  This Inner Loop Header: Depth=2
	s_waitcnt vmcnt(0)
	v_add_f64 v[9:10], v[11:12], v[15:16]
	global_atomic_cmpswap_x2 v[9:10], v20, v[9:12], s[34:35] glc
	s_waitcnt vmcnt(0)
	v_cmp_eq_u64_e32 vcc, v[9:10], v[11:12]
	v_mov_b32_e32 v12, v10
	s_or_b64 s[38:39], vcc, s[38:39]
	v_mov_b32_e32 v11, v9
	s_andn2_b64 exec, exec, s[38:39]
	s_cbranch_execnz .LBB43_25
; %bb.26:                               ;   in Loop: Header=BB43_6 Depth=1
	s_or_b64 exec, exec, s[38:39]
.LBB43_27:                              ;   in Loop: Header=BB43_6 Depth=1
	s_or_b64 exec, exec, s[36:37]
	v_mul_f64 v[7:8], v[1:2], v[7:8]
	v_mov_b32_e32 v9, 0
	s_mov_b64 s[36:37], exec
	v_bfrev_b32_e32 v10, 1
	v_fma_f64 v[5:6], v[3:4], v[5:6], v[7:8]
.LBB43_28:                              ;   Parent Loop BB43_6 Depth=1
                                        ; =>  This Inner Loop Header: Depth=2
	s_ff1_i32_b64 s41, s[36:37]
	v_readlane_b32 s39, v6, s41
	v_readlane_b32 s38, v5, s41
	v_add_f64 v[9:10], v[9:10], s[38:39]
	s_lshl_b64 s[38:39], 1, s41
	s_andn2_b64 s[36:37], s[36:37], s[38:39]
	s_cmp_lg_u64 s[36:37], 0
	s_cbranch_scc1 .LBB43_28
; %bb.29:                               ;   in Loop: Header=BB43_6 Depth=1
	v_mbcnt_lo_u32_b32 v0, exec_lo, 0
	v_mbcnt_hi_u32_b32 v0, exec_hi, v0
	v_cmp_eq_u32_e32 vcc, 0, v0
	s_and_saveexec_b64 s[36:37], vcc
	s_xor_b64 s[36:37], exec, s[36:37]
	s_cbranch_execz .LBB43_5
; %bb.30:                               ;   in Loop: Header=BB43_6 Depth=1
	global_load_dwordx2 v[7:8], v20, s[34:35] offset:8
	s_mov_b64 s[36:37], 0
.LBB43_31:                              ;   Parent Loop BB43_6 Depth=1
                                        ; =>  This Inner Loop Header: Depth=2
	s_waitcnt vmcnt(0)
	v_add_f64 v[5:6], v[7:8], v[9:10]
	global_atomic_cmpswap_x2 v[5:6], v20, v[5:8], s[34:35] offset:8 glc
	s_waitcnt vmcnt(0)
	v_cmp_eq_u64_e32 vcc, v[5:6], v[7:8]
	v_mov_b32_e32 v8, v6
	s_or_b64 s[36:37], vcc, s[36:37]
	v_mov_b32_e32 v7, v5
	s_andn2_b64 exec, exec, s[36:37]
	s_cbranch_execnz .LBB43_31
; %bb.32:                               ;   in Loop: Header=BB43_6 Depth=1
	s_or_b64 exec, exec, s[36:37]
	s_branch .LBB43_5
.LBB43_33:
	s_lshl_b64 s[2:3], s[24:25], 3
	s_add_u32 s2, s16, s2
	s_addc_u32 s3, s17, s3
	s_lshl_b64 s[4:5], s[26:27], 3
	s_add_u32 s4, s16, s4
	s_addc_u32 s5, s17, s5
	s_load_dwordx2 s[8:9], s[2:3], 0x0
	s_load_dwordx2 s[6:7], s[4:5], 0x0
	s_waitcnt lgkmcnt(0)
	v_mov_b32_e32 v0, s9
	s_sub_u32 s6, s6, s14
	v_add_co_u32_e32 v13, vcc, s8, v18
	s_subb_u32 s7, s7, 0
	v_addc_co_u32_e32 v14, vcc, v0, v19, vcc
	v_cmp_gt_i64_e32 vcc, s[6:7], v[13:14]
	s_and_b64 exec, exec, vcc
	s_cbranch_execz .LBB43_45
; %bb.34:
	s_add_u32 s8, s26, -1
	s_addc_u32 s9, s27, -1
	v_mov_b32_e32 v5, s8
	s_add_u32 s2, s26, -2
	v_mov_b32_e32 v6, s9
	s_addc_u32 s3, s27, -1
	v_cmp_lt_i64_e32 vcc, s[24:25], v[5:6]
	s_cmp_lg_u64 s[24:25], s[2:3]
	s_cselect_b64 s[2:3], -1, 0
	s_and_b64 s[2:3], vcc, s[2:3]
	v_cndmask_b32_e64 v0, 0, 1, s[2:3]
	s_mov_b64 s[10:11], 0
	v_cmp_ne_u32_e64 s[2:3], 1, v0
	v_mov_b32_e32 v0, s17
	v_mov_b32_e32 v23, s19
	s_branch .LBB43_36
.LBB43_35:                              ;   in Loop: Header=BB43_36 Depth=1
	s_or_b64 exec, exec, s[4:5]
	v_add_co_u32_e32 v13, vcc, 0x100, v13
	v_addc_co_u32_e32 v14, vcc, 0, v14, vcc
	v_cmp_le_i64_e32 vcc, s[6:7], v[13:14]
	s_or_b64 s[10:11], vcc, s[10:11]
	s_andn2_b64 exec, exec, s[10:11]
	s_cbranch_execz .LBB43_45
.LBB43_36:                              ; =>This Loop Header: Depth=1
                                        ;     Child Loop BB43_38 Depth 2
                                        ;     Child Loop BB43_42 Depth 2
	;; [unrolled: 1-line block ×3, first 2 shown]
	v_mov_b32_e32 v5, s24
	v_mov_b32_e32 v7, s8
	s_and_b64 vcc, exec, s[2:3]
	v_mov_b32_e32 v6, s25
	v_mov_b32_e32 v8, s9
	s_cbranch_vccnz .LBB43_40
; %bb.37:                               ;   in Loop: Header=BB43_36 Depth=1
	v_mov_b32_e32 v5, s24
	v_mov_b32_e32 v7, s8
	s_mov_b64 s[12:13], 0
	v_mov_b32_e32 v6, s25
	v_mov_b32_e32 v8, s9
.LBB43_38:                              ;   Parent Loop BB43_36 Depth=1
                                        ; =>  This Inner Loop Header: Depth=2
	v_add_co_u32_e32 v9, vcc, v7, v5
	v_addc_co_u32_e32 v10, vcc, v8, v6, vcc
	v_lshrrev_b32_e32 v11, 31, v10
	v_add_co_u32_e32 v9, vcc, v9, v11
	v_addc_co_u32_e32 v10, vcc, 0, v10, vcc
	v_ashrrev_i64 v[9:10], 1, v[9:10]
	v_mov_b32_e32 v15, s17
	v_lshlrev_b64 v[11:12], 3, v[9:10]
	v_add_co_u32_e32 v11, vcc, s16, v11
	v_addc_co_u32_e32 v12, vcc, v15, v12, vcc
	global_load_dwordx2 v[11:12], v[11:12], off
	s_waitcnt vmcnt(0)
	v_subrev_co_u32_e32 v11, vcc, s14, v11
	v_subbrev_co_u32_e32 v12, vcc, 0, v12, vcc
	v_cmp_lt_i64_e32 vcc, v[13:14], v[11:12]
	v_cndmask_b32_e32 v7, v7, v9, vcc
	v_cndmask_b32_e32 v8, v8, v10, vcc
	;; [unrolled: 1-line block ×3, first 2 shown]
	v_add_co_u32_e64 v9, s[4:5], -1, v7
	v_cndmask_b32_e32 v6, v10, v6, vcc
	v_addc_co_u32_e64 v10, s[4:5], -1, v8, s[4:5]
	v_cmp_ge_i64_e32 vcc, v[5:6], v[7:8]
	v_cmp_eq_u64_e64 s[4:5], v[5:6], v[9:10]
	s_or_b64 s[4:5], vcc, s[4:5]
	s_and_b64 s[4:5], exec, s[4:5]
	s_or_b64 s[12:13], s[4:5], s[12:13]
	s_andn2_b64 exec, exec, s[12:13]
	s_cbranch_execnz .LBB43_38
; %bb.39:                               ;   in Loop: Header=BB43_36 Depth=1
	s_or_b64 exec, exec, s[12:13]
.LBB43_40:                              ;   in Loop: Header=BB43_36 Depth=1
	v_lshlrev_b64 v[9:10], 3, v[7:8]
	v_lshlrev_b64 v[11:12], 3, v[13:14]
	v_add_co_u32_e32 v9, vcc, s16, v9
	v_addc_co_u32_e32 v10, vcc, v0, v10, vcc
	global_load_dwordx2 v[9:10], v[9:10], off
	v_add_co_u32_e32 v11, vcc, s18, v11
	v_addc_co_u32_e32 v12, vcc, v23, v12, vcc
	global_load_dwordx2 v[11:12], v[11:12], off
	s_waitcnt vmcnt(1)
	v_subrev_co_u32_e32 v9, vcc, s14, v9
	v_subbrev_co_u32_e32 v10, vcc, 0, v10, vcc
	v_cmp_lt_i64_e32 vcc, v[13:14], v[9:10]
	v_cndmask_b32_e32 v6, v8, v6, vcc
	v_cndmask_b32_e32 v5, v7, v5, vcc
	s_waitcnt vmcnt(0)
	v_subrev_co_u32_e32 v9, vcc, s14, v11
	v_subbrev_co_u32_e32 v10, vcc, 0, v12, vcc
	v_cmp_ne_u64_e32 vcc, v[9:10], v[5:6]
	s_and_saveexec_b64 s[4:5], vcc
	s_cbranch_execz .LBB43_35
; %bb.41:                               ;   in Loop: Header=BB43_36 Depth=1
	v_lshlrev_b64 v[7:8], 4, v[13:14]
	v_mov_b32_e32 v11, s21
	v_add_co_u32_e32 v7, vcc, s20, v7
	v_addc_co_u32_e32 v8, vcc, v11, v8, vcc
	global_load_dwordx4 v[19:22], v[7:8], off
	v_lshlrev_b64 v[5:6], 4, v[5:6]
	v_mov_b32_e32 v7, s23
	v_add_co_u32_e32 v5, vcc, s22, v5
	v_addc_co_u32_e32 v6, vcc, v7, v6, vcc
	global_load_dwordx4 v[5:8], v[5:6], off
	v_lshlrev_b64 v[9:10], 4, v[9:10]
	v_mov_b32_e32 v11, s29
	v_add_co_u32_e32 v15, vcc, s28, v9
	v_addc_co_u32_e32 v16, vcc, v11, v10, vcc
	global_load_dwordx2 v[11:12], v[15:16], off
	s_mov_b64 s[12:13], 0
	s_waitcnt vmcnt(2)
	v_xor_b32_e32 v9, 0x80000000, v22
	v_cndmask_b32_e64 v22, v22, v9, s[0:1]
	v_mul_f64 v[9:10], v[1:2], v[21:22]
	v_mul_f64 v[21:22], v[21:22], -v[3:4]
	v_fma_f64 v[17:18], v[3:4], v[19:20], v[9:10]
	v_fma_f64 v[19:20], v[1:2], v[19:20], v[21:22]
	s_waitcnt vmcnt(1)
	v_mul_f64 v[9:10], v[7:8], -v[17:18]
	v_fma_f64 v[21:22], v[19:20], v[5:6], v[9:10]
.LBB43_42:                              ;   Parent Loop BB43_36 Depth=1
                                        ; =>  This Inner Loop Header: Depth=2
	s_waitcnt vmcnt(0)
	v_add_f64 v[9:10], v[11:12], v[21:22]
	global_atomic_cmpswap_x2 v[9:10], v[15:16], v[9:12], off glc
	s_waitcnt vmcnt(0)
	v_cmp_eq_u64_e32 vcc, v[9:10], v[11:12]
	v_mov_b32_e32 v12, v10
	s_or_b64 s[12:13], vcc, s[12:13]
	v_mov_b32_e32 v11, v9
	s_andn2_b64 exec, exec, s[12:13]
	s_cbranch_execnz .LBB43_42
; %bb.43:                               ;   in Loop: Header=BB43_36 Depth=1
	s_or_b64 exec, exec, s[12:13]
	global_load_dwordx2 v[9:10], v[15:16], off offset:8
	v_mul_f64 v[7:8], v[7:8], v[19:20]
	s_mov_b64 s[12:13], 0
	v_fma_f64 v[5:6], v[17:18], v[5:6], v[7:8]
.LBB43_44:                              ;   Parent Loop BB43_36 Depth=1
                                        ; =>  This Inner Loop Header: Depth=2
	s_waitcnt vmcnt(0)
	v_add_f64 v[7:8], v[9:10], v[5:6]
	global_atomic_cmpswap_x2 v[7:8], v[15:16], v[7:10], off offset:8 glc
	s_waitcnt vmcnt(0)
	v_cmp_eq_u64_e32 vcc, v[7:8], v[9:10]
	v_mov_b32_e32 v10, v8
	s_or_b64 s[12:13], vcc, s[12:13]
	v_mov_b32_e32 v9, v7
	s_andn2_b64 exec, exec, s[12:13]
	s_cbranch_execnz .LBB43_44
	s_branch .LBB43_35
.LBB43_45:
	s_endpgm
	.section	.rodata,"a",@progbits
	.p2align	6, 0x0
	.amdhsa_kernel _ZL33csrmvn_symm_large_adaptive_kernelIll21rocsparse_complex_numIdES1_S1_S1_EvbT_PKS2_N9rocsparse24const_host_device_scalarIT4_EES4_PKT0_PKT1_PKT2_S8_PT3_21rocsparse_index_base_b
		.amdhsa_group_segment_fixed_size 16384
		.amdhsa_private_segment_fixed_size 0
		.amdhsa_kernarg_size 104
		.amdhsa_user_sgpr_count 6
		.amdhsa_user_sgpr_private_segment_buffer 1
		.amdhsa_user_sgpr_dispatch_ptr 0
		.amdhsa_user_sgpr_queue_ptr 0
		.amdhsa_user_sgpr_kernarg_segment_ptr 1
		.amdhsa_user_sgpr_dispatch_id 0
		.amdhsa_user_sgpr_flat_scratch_init 0
		.amdhsa_user_sgpr_private_segment_size 0
		.amdhsa_uses_dynamic_stack 0
		.amdhsa_system_sgpr_private_segment_wavefront_offset 0
		.amdhsa_system_sgpr_workgroup_id_x 1
		.amdhsa_system_sgpr_workgroup_id_y 0
		.amdhsa_system_sgpr_workgroup_id_z 0
		.amdhsa_system_sgpr_workgroup_info 0
		.amdhsa_system_vgpr_workitem_id 0
		.amdhsa_next_free_vgpr 49
		.amdhsa_next_free_sgpr 98
		.amdhsa_reserve_vcc 1
		.amdhsa_reserve_flat_scratch 0
		.amdhsa_float_round_mode_32 0
		.amdhsa_float_round_mode_16_64 0
		.amdhsa_float_denorm_mode_32 3
		.amdhsa_float_denorm_mode_16_64 3
		.amdhsa_dx10_clamp 1
		.amdhsa_ieee_mode 1
		.amdhsa_fp16_overflow 0
		.amdhsa_exception_fp_ieee_invalid_op 0
		.amdhsa_exception_fp_denorm_src 0
		.amdhsa_exception_fp_ieee_div_zero 0
		.amdhsa_exception_fp_ieee_overflow 0
		.amdhsa_exception_fp_ieee_underflow 0
		.amdhsa_exception_fp_ieee_inexact 0
		.amdhsa_exception_int_div_zero 0
	.end_amdhsa_kernel
	.section	.text._ZL33csrmvn_symm_large_adaptive_kernelIll21rocsparse_complex_numIdES1_S1_S1_EvbT_PKS2_N9rocsparse24const_host_device_scalarIT4_EES4_PKT0_PKT1_PKT2_S8_PT3_21rocsparse_index_base_b,"axG",@progbits,_ZL33csrmvn_symm_large_adaptive_kernelIll21rocsparse_complex_numIdES1_S1_S1_EvbT_PKS2_N9rocsparse24const_host_device_scalarIT4_EES4_PKT0_PKT1_PKT2_S8_PT3_21rocsparse_index_base_b,comdat
.Lfunc_end43:
	.size	_ZL33csrmvn_symm_large_adaptive_kernelIll21rocsparse_complex_numIdES1_S1_S1_EvbT_PKS2_N9rocsparse24const_host_device_scalarIT4_EES4_PKT0_PKT1_PKT2_S8_PT3_21rocsparse_index_base_b, .Lfunc_end43-_ZL33csrmvn_symm_large_adaptive_kernelIll21rocsparse_complex_numIdES1_S1_S1_EvbT_PKS2_N9rocsparse24const_host_device_scalarIT4_EES4_PKT0_PKT1_PKT2_S8_PT3_21rocsparse_index_base_b
                                        ; -- End function
	.set _ZL33csrmvn_symm_large_adaptive_kernelIll21rocsparse_complex_numIdES1_S1_S1_EvbT_PKS2_N9rocsparse24const_host_device_scalarIT4_EES4_PKT0_PKT1_PKT2_S8_PT3_21rocsparse_index_base_b.num_vgpr, 29
	.set _ZL33csrmvn_symm_large_adaptive_kernelIll21rocsparse_complex_numIdES1_S1_S1_EvbT_PKS2_N9rocsparse24const_host_device_scalarIT4_EES4_PKT0_PKT1_PKT2_S8_PT3_21rocsparse_index_base_b.num_agpr, 0
	.set _ZL33csrmvn_symm_large_adaptive_kernelIll21rocsparse_complex_numIdES1_S1_S1_EvbT_PKS2_N9rocsparse24const_host_device_scalarIT4_EES4_PKT0_PKT1_PKT2_S8_PT3_21rocsparse_index_base_b.numbered_sgpr, 42
	.set _ZL33csrmvn_symm_large_adaptive_kernelIll21rocsparse_complex_numIdES1_S1_S1_EvbT_PKS2_N9rocsparse24const_host_device_scalarIT4_EES4_PKT0_PKT1_PKT2_S8_PT3_21rocsparse_index_base_b.num_named_barrier, 0
	.set _ZL33csrmvn_symm_large_adaptive_kernelIll21rocsparse_complex_numIdES1_S1_S1_EvbT_PKS2_N9rocsparse24const_host_device_scalarIT4_EES4_PKT0_PKT1_PKT2_S8_PT3_21rocsparse_index_base_b.private_seg_size, 0
	.set _ZL33csrmvn_symm_large_adaptive_kernelIll21rocsparse_complex_numIdES1_S1_S1_EvbT_PKS2_N9rocsparse24const_host_device_scalarIT4_EES4_PKT0_PKT1_PKT2_S8_PT3_21rocsparse_index_base_b.uses_vcc, 1
	.set _ZL33csrmvn_symm_large_adaptive_kernelIll21rocsparse_complex_numIdES1_S1_S1_EvbT_PKS2_N9rocsparse24const_host_device_scalarIT4_EES4_PKT0_PKT1_PKT2_S8_PT3_21rocsparse_index_base_b.uses_flat_scratch, 0
	.set _ZL33csrmvn_symm_large_adaptive_kernelIll21rocsparse_complex_numIdES1_S1_S1_EvbT_PKS2_N9rocsparse24const_host_device_scalarIT4_EES4_PKT0_PKT1_PKT2_S8_PT3_21rocsparse_index_base_b.has_dyn_sized_stack, 0
	.set _ZL33csrmvn_symm_large_adaptive_kernelIll21rocsparse_complex_numIdES1_S1_S1_EvbT_PKS2_N9rocsparse24const_host_device_scalarIT4_EES4_PKT0_PKT1_PKT2_S8_PT3_21rocsparse_index_base_b.has_recursion, 0
	.set _ZL33csrmvn_symm_large_adaptive_kernelIll21rocsparse_complex_numIdES1_S1_S1_EvbT_PKS2_N9rocsparse24const_host_device_scalarIT4_EES4_PKT0_PKT1_PKT2_S8_PT3_21rocsparse_index_base_b.has_indirect_call, 0
	.section	.AMDGPU.csdata,"",@progbits
; Kernel info:
; codeLenInByte = 2508
; TotalNumSgprs: 46
; NumVgprs: 29
; ScratchSize: 0
; MemoryBound: 0
; FloatMode: 240
; IeeeMode: 1
; LDSByteSize: 16384 bytes/workgroup (compile time only)
; SGPRBlocks: 12
; VGPRBlocks: 12
; NumSGPRsForWavesPerEU: 102
; NumVGPRsForWavesPerEU: 49
; Occupancy: 4
; WaveLimiterHint : 1
; COMPUTE_PGM_RSRC2:SCRATCH_EN: 0
; COMPUTE_PGM_RSRC2:USER_SGPR: 6
; COMPUTE_PGM_RSRC2:TRAP_HANDLER: 0
; COMPUTE_PGM_RSRC2:TGID_X_EN: 1
; COMPUTE_PGM_RSRC2:TGID_Y_EN: 0
; COMPUTE_PGM_RSRC2:TGID_Z_EN: 0
; COMPUTE_PGM_RSRC2:TIDIG_COMP_CNT: 0
	.section	.text._ZN9rocsparseL22csrmvn_adaptive_kernelIiiaaiiEEvbT_PKS1_PjPKT0_NS_24const_host_device_scalarIT4_EES3_S7_PKT1_PKT2_SA_PT3_21rocsparse_index_base_b,"axG",@progbits,_ZN9rocsparseL22csrmvn_adaptive_kernelIiiaaiiEEvbT_PKS1_PjPKT0_NS_24const_host_device_scalarIT4_EES3_S7_PKT1_PKT2_SA_PT3_21rocsparse_index_base_b,comdat
	.globl	_ZN9rocsparseL22csrmvn_adaptive_kernelIiiaaiiEEvbT_PKS1_PjPKT0_NS_24const_host_device_scalarIT4_EES3_S7_PKT1_PKT2_SA_PT3_21rocsparse_index_base_b ; -- Begin function _ZN9rocsparseL22csrmvn_adaptive_kernelIiiaaiiEEvbT_PKS1_PjPKT0_NS_24const_host_device_scalarIT4_EES3_S7_PKT1_PKT2_SA_PT3_21rocsparse_index_base_b
	.p2align	8
	.type	_ZN9rocsparseL22csrmvn_adaptive_kernelIiiaaiiEEvbT_PKS1_PjPKT0_NS_24const_host_device_scalarIT4_EES3_S7_PKT1_PKT2_SA_PT3_21rocsparse_index_base_b,@function
_ZN9rocsparseL22csrmvn_adaptive_kernelIiiaaiiEEvbT_PKS1_PjPKT0_NS_24const_host_device_scalarIT4_EES3_S7_PKT1_PKT2_SA_PT3_21rocsparse_index_base_b: ; @_ZN9rocsparseL22csrmvn_adaptive_kernelIiiaaiiEEvbT_PKS1_PjPKT0_NS_24const_host_device_scalarIT4_EES3_S7_PKT1_PKT2_SA_PT3_21rocsparse_index_base_b
; %bb.0:
	s_load_dwordx2 s[40:41], s[4:5], 0x58
	s_load_dwordx2 s[8:9], s[4:5], 0x20
	s_mov_b64 s[10:11], -1
                                        ; implicit-def: $sgpr55
	s_waitcnt lgkmcnt(0)
	s_bitcmp1_b32 s41, 0
	s_cselect_b64 s[0:1], -1, 0
	s_xor_b64 s[2:3], s[0:1], -1
	s_and_b64 vcc, exec, s[2:3]
	s_cbranch_vccnz .LBB44_4
; %bb.1:
	s_load_dwordx2 s[0:1], s[4:5], 0x48
	s_andn2_b64 vcc, exec, s[10:11]
	s_cbranch_vccz .LBB44_5
.LBB44_2:
	s_and_b64 vcc, exec, s[2:3]
	s_cbranch_vccz .LBB44_6
.LBB44_3:
	s_waitcnt lgkmcnt(0)
	s_load_dword s33, s[0:1], 0x0
	s_cbranch_execz .LBB44_7
	s_branch .LBB44_8
.LBB44_4:
	s_load_dword s55, s[8:9], 0x0
	s_load_dwordx2 s[0:1], s[4:5], 0x48
	s_cbranch_execnz .LBB44_2
.LBB44_5:
	s_waitcnt lgkmcnt(0)
	s_mov_b32 s55, s8
	s_and_b64 vcc, exec, s[2:3]
	s_cbranch_vccnz .LBB44_3
.LBB44_6:
                                        ; implicit-def: $sgpr33
.LBB44_7:
	s_waitcnt lgkmcnt(0)
	s_mov_b32 s33, s0
.LBB44_8:
	s_waitcnt lgkmcnt(0)
	s_cmp_lg_u32 s55, 0
	s_cselect_b64 s[0:1], -1, 0
	s_cmp_lg_u32 s33, 1
	s_cselect_b64 s[2:3], -1, 0
	s_or_b64 s[0:1], s[0:1], s[2:3]
	s_andn2_b64 vcc, exec, s[0:1]
	s_cbranch_vccnz .LBB44_118
; %bb.9:
	s_load_dwordx2 s[0:1], s[4:5], 0x8
	s_load_dwordx2 s[8:9], s[4:5], 0x18
	s_ashr_i32 s7, s6, 31
	s_lshl_b64 s[44:45], s[6:7], 2
	s_waitcnt lgkmcnt(0)
	s_add_u32 s0, s0, s44
	s_addc_u32 s1, s1, s45
	s_load_dwordx2 s[36:37], s[0:1], 0x0
	s_load_dwordx2 s[34:35], s[4:5], 0x50
	s_load_dwordx8 s[24:31], s[4:5], 0x28
	s_waitcnt lgkmcnt(0)
	s_sub_i32 s2, s37, s36
	s_add_u32 s8, s8, s44
	s_mov_b32 s0, s36
	s_addc_u32 s9, s9, s45
	s_ashr_i32 s1, s36, 31
	s_lshl_b64 s[42:43], s[0:1], 2
	s_add_u32 s38, s24, s42
	s_addc_u32 s39, s25, s43
	s_load_dword s41, s[8:9], 0x0
	s_load_dword s54, s[38:39], 0x0
	s_cmp_lt_i32 s2, 2
	s_mov_b64 s[0:1], -1
	s_cbranch_scc0 .LBB44_74
; %bb.10:
	s_cmp_lg_u32 s2, 1
	s_cselect_b64 s[0:1], -1, 0
	s_waitcnt lgkmcnt(0)
	s_cmp_lg_u32 s41, 0
	s_cselect_b64 s[2:3], -1, 0
	s_or_b64 s[0:1], s[0:1], s[2:3]
	s_mov_b64 s[18:19], -1
	s_and_b64 vcc, exec, s[0:1]
	v_cmp_gt_u32_e64 s[0:1], 64, v0
	v_cmp_gt_u32_e64 s[2:3], 32, v0
	;; [unrolled: 1-line block ×6, first 2 shown]
	v_cmp_eq_u32_e64 s[16:17], 0, v0
	s_cbranch_vccnz .LBB44_38
; %bb.11:
	s_cmp_lg_u32 s33, 0
	s_cselect_b64 s[20:21], -1, 0
	s_movk_i32 s7, 0x80
	v_cndmask_b32_e64 v1, 0, 1, s[20:21]
	v_subrev_u32_e32 v8, s40, v0
	v_lshlrev_b32_e32 v9, 2, v0
	v_cmp_gt_u32_e64 s[18:19], s7, v0
	v_mov_b32_e32 v10, 0
	v_cmp_ne_u32_e64 s[20:21], 1, v1
	s_mov_b32 s46, s36
	s_branch .LBB44_14
.LBB44_12:                              ;   in Loop: Header=BB44_14 Depth=1
	s_add_u32 s48, s34, s48
	s_addc_u32 s49, s35, s49
	s_waitcnt lgkmcnt(0)
	global_store_dword v10, v1, s[48:49]
.LBB44_13:                              ;   in Loop: Header=BB44_14 Depth=1
	s_or_b64 exec, exec, s[22:23]
	s_add_i32 s46, s46, 1
	s_cmp_ge_i32 s46, s37
	s_cbranch_scc1 .LBB44_37
.LBB44_14:                              ; =>This Loop Header: Depth=1
                                        ;     Child Loop BB44_16 Depth 2
	s_ashr_i32 s47, s46, 31
	s_lshl_b64 s[48:49], s[46:47], 2
	s_add_u32 s22, s24, s48
	s_addc_u32 s23, s25, s49
	s_load_dwordx2 s[50:51], s[22:23], 0x0
	v_mov_b32_e32 v2, 0
	s_waitcnt lgkmcnt(0)
	s_sub_i32 s7, s51, s40
	v_add_u32_e32 v1, s50, v8
	v_cmp_gt_i32_e32 vcc, s7, v1
	s_and_saveexec_b64 s[50:51], vcc
	s_cbranch_execz .LBB44_18
; %bb.15:                               ;   in Loop: Header=BB44_14 Depth=1
	v_ashrrev_i32_e32 v2, 31, v1
	v_mov_b32_e32 v3, s29
	v_add_co_u32_e32 v4, vcc, s28, v1
	v_addc_co_u32_e32 v5, vcc, v3, v2, vcc
	v_lshlrev_b64 v[2:3], 2, v[1:2]
	v_mov_b32_e32 v7, s27
	v_add_co_u32_e32 v6, vcc, s26, v2
	v_addc_co_u32_e32 v7, vcc, v7, v3, vcc
	v_mov_b32_e32 v2, 0
	s_mov_b64 s[52:53], 0
.LBB44_16:                              ;   Parent Loop BB44_14 Depth=1
                                        ; =>  This Inner Loop Header: Depth=2
	global_load_dword v3, v[6:7], off
	global_load_sbyte v13, v[4:5], off
	v_mov_b32_e32 v12, s31
	v_add_u32_e32 v1, 0x100, v1
	v_cmp_le_i32_e64 s[22:23], s7, v1
	s_or_b64 s[52:53], s[22:23], s[52:53]
	s_waitcnt vmcnt(1)
	v_subrev_u32_e32 v3, s40, v3
	v_ashrrev_i32_e32 v14, 31, v3
	v_add_co_u32_e32 v11, vcc, s30, v3
	v_addc_co_u32_e32 v12, vcc, v12, v14, vcc
	global_load_sbyte v3, v[11:12], off
	s_waitcnt vmcnt(1)
	v_mul_lo_u32 v11, s55, v13
	v_add_co_u32_e32 v4, vcc, 0x100, v4
	v_addc_co_u32_e32 v5, vcc, 0, v5, vcc
	v_add_co_u32_e32 v6, vcc, 0x400, v6
	v_addc_co_u32_e32 v7, vcc, 0, v7, vcc
	s_waitcnt vmcnt(0)
	v_mad_u64_u32 v[2:3], s[22:23], v11, v3, v[2:3]
	s_andn2_b64 exec, exec, s[52:53]
	s_cbranch_execnz .LBB44_16
; %bb.17:                               ;   in Loop: Header=BB44_14 Depth=1
	s_or_b64 exec, exec, s[52:53]
.LBB44_18:                              ;   in Loop: Header=BB44_14 Depth=1
	s_or_b64 exec, exec, s[50:51]
	ds_write_b32 v9, v2
	s_waitcnt vmcnt(0) lgkmcnt(0)
	s_barrier
	s_and_saveexec_b64 s[22:23], s[18:19]
	s_cbranch_execz .LBB44_20
; %bb.19:                               ;   in Loop: Header=BB44_14 Depth=1
	ds_read2st64_b32 v[1:2], v9 offset1:2
	s_waitcnt lgkmcnt(0)
	v_add_u32_e32 v1, v2, v1
	ds_write_b32 v9, v1
.LBB44_20:                              ;   in Loop: Header=BB44_14 Depth=1
	s_or_b64 exec, exec, s[22:23]
	s_waitcnt lgkmcnt(0)
	s_barrier
	s_and_saveexec_b64 s[22:23], s[0:1]
	s_cbranch_execz .LBB44_22
; %bb.21:                               ;   in Loop: Header=BB44_14 Depth=1
	ds_read2st64_b32 v[1:2], v9 offset1:1
	s_waitcnt lgkmcnt(0)
	v_add_u32_e32 v1, v2, v1
	ds_write_b32 v9, v1
.LBB44_22:                              ;   in Loop: Header=BB44_14 Depth=1
	s_or_b64 exec, exec, s[22:23]
	s_waitcnt lgkmcnt(0)
	s_barrier
	s_and_saveexec_b64 s[22:23], s[2:3]
	s_cbranch_execz .LBB44_24
; %bb.23:                               ;   in Loop: Header=BB44_14 Depth=1
	ds_read2_b32 v[1:2], v9 offset1:32
	s_waitcnt lgkmcnt(0)
	v_add_u32_e32 v1, v2, v1
	ds_write_b32 v9, v1
.LBB44_24:                              ;   in Loop: Header=BB44_14 Depth=1
	s_or_b64 exec, exec, s[22:23]
	s_waitcnt lgkmcnt(0)
	s_barrier
	s_and_saveexec_b64 s[22:23], s[8:9]
	s_cbranch_execz .LBB44_26
; %bb.25:                               ;   in Loop: Header=BB44_14 Depth=1
	ds_read2_b32 v[1:2], v9 offset1:16
	s_waitcnt lgkmcnt(0)
	v_add_u32_e32 v1, v2, v1
	ds_write_b32 v9, v1
.LBB44_26:                              ;   in Loop: Header=BB44_14 Depth=1
	s_or_b64 exec, exec, s[22:23]
	s_waitcnt lgkmcnt(0)
	s_barrier
	s_and_saveexec_b64 s[22:23], s[10:11]
	s_cbranch_execz .LBB44_28
; %bb.27:                               ;   in Loop: Header=BB44_14 Depth=1
	ds_read2_b32 v[1:2], v9 offset1:8
	s_waitcnt lgkmcnt(0)
	v_add_u32_e32 v1, v2, v1
	ds_write_b32 v9, v1
.LBB44_28:                              ;   in Loop: Header=BB44_14 Depth=1
	s_or_b64 exec, exec, s[22:23]
	s_waitcnt lgkmcnt(0)
	s_barrier
	s_and_saveexec_b64 s[22:23], s[12:13]
	s_cbranch_execz .LBB44_30
; %bb.29:                               ;   in Loop: Header=BB44_14 Depth=1
	ds_read2_b32 v[1:2], v9 offset1:4
	s_waitcnt lgkmcnt(0)
	v_add_u32_e32 v1, v2, v1
	ds_write_b32 v9, v1
.LBB44_30:                              ;   in Loop: Header=BB44_14 Depth=1
	s_or_b64 exec, exec, s[22:23]
	s_waitcnt lgkmcnt(0)
	s_barrier
	s_and_saveexec_b64 s[22:23], s[14:15]
	s_cbranch_execz .LBB44_32
; %bb.31:                               ;   in Loop: Header=BB44_14 Depth=1
	ds_read2_b32 v[1:2], v9 offset1:2
	s_waitcnt lgkmcnt(0)
	v_add_u32_e32 v1, v2, v1
	ds_write_b32 v9, v1
.LBB44_32:                              ;   in Loop: Header=BB44_14 Depth=1
	s_or_b64 exec, exec, s[22:23]
	s_waitcnt lgkmcnt(0)
	s_barrier
	s_and_saveexec_b64 s[22:23], s[16:17]
	s_cbranch_execz .LBB44_34
; %bb.33:                               ;   in Loop: Header=BB44_14 Depth=1
	ds_read_b64 v[1:2], v10
	s_waitcnt lgkmcnt(0)
	v_add_u32_e32 v1, v2, v1
	ds_write_b32 v10, v1
.LBB44_34:                              ;   in Loop: Header=BB44_14 Depth=1
	s_or_b64 exec, exec, s[22:23]
	s_waitcnt lgkmcnt(0)
	s_barrier
	s_and_saveexec_b64 s[22:23], s[16:17]
	s_cbranch_execz .LBB44_13
; %bb.35:                               ;   in Loop: Header=BB44_14 Depth=1
	ds_read_b32 v1, v10
	s_and_b64 vcc, exec, s[20:21]
	s_cbranch_vccnz .LBB44_12
; %bb.36:                               ;   in Loop: Header=BB44_14 Depth=1
	s_add_u32 s50, s34, s48
	s_addc_u32 s51, s35, s49
	global_load_dword v2, v10, s[50:51]
	s_waitcnt vmcnt(0)
	v_mul_lo_u32 v2, v2, s33
	s_waitcnt lgkmcnt(0)
	v_add_u32_e32 v1, v2, v1
	s_branch .LBB44_12
.LBB44_37:
	s_mov_b64 s[18:19], 0
.LBB44_38:
	s_and_b64 vcc, exec, s[18:19]
	s_cbranch_vccz .LBB44_73
; %bb.39:
	s_load_dwordx2 s[8:9], s[4:5], 0x10
	s_sub_i32 s6, s6, s41
	v_mov_b32_e32 v1, 0
	v_or_b32_e32 v2, s41, v0
	v_cmp_eq_u32_e32 vcc, 0, v2
	s_waitcnt lgkmcnt(0)
	s_add_u32 s2, s8, s44
	s_addc_u32 s3, s9, s45
	global_load_dword v9, v1, s[2:3]
	s_and_saveexec_b64 s[0:1], vcc
	s_cbranch_execz .LBB44_43
; %bb.40:
	s_add_u32 s12, s34, s42
	s_addc_u32 s13, s35, s43
	v_mov_b32_e32 v2, 0
	global_load_dword v1, v2, s[12:13]
	s_mov_b64 s[10:11], exec
	v_mbcnt_lo_u32_b32 v3, s10, 0
	v_mbcnt_hi_u32_b32 v3, s11, v3
	s_add_i32 s14, s33, -1
	v_cmp_eq_u32_e32 vcc, 0, v3
	s_waitcnt vmcnt(0) expcnt(0) lgkmcnt(0)
	s_and_saveexec_b64 s[12:13], vcc
	s_cbranch_execz .LBB44_42
; %bb.41:
	s_ashr_i32 s7, s6, 31
	s_lshl_b64 s[16:17], s[6:7], 2
	s_add_u32 s16, s8, s16
	s_addc_u32 s17, s9, s17
	s_bcnt1_i32_b64 s7, s[10:11]
	s_and_b32 s7, s7, 1
	v_mov_b32_e32 v3, s7
	global_atomic_xor v2, v3, s[16:17]
.LBB44_42:
	s_or_b64 exec, exec, s[12:13]
	v_mul_lo_u32 v1, v1, s14
.LBB44_43:
	s_or_b64 exec, exec, s[0:1]
	s_load_dword s1, s[38:39], 0x4
	s_mul_i32 s0, s41, 0xc00
	s_sub_i32 s7, s54, s40
	s_add_i32 s0, s7, s0
	v_add_u32_e32 v3, s0, v0
	s_waitcnt lgkmcnt(0)
	s_sub_i32 s1, s1, s40
	v_cmp_gt_i32_e32 vcc, s1, v3
	s_and_saveexec_b64 s[10:11], vcc
	s_cbranch_execz .LBB44_47
; %bb.44:
	v_ashrrev_i32_e32 v4, 31, v3
	v_mov_b32_e32 v2, s29
	v_add_co_u32_e32 v5, vcc, s28, v3
	v_lshlrev_b64 v[7:8], 2, v[3:4]
	v_addc_co_u32_e32 v6, vcc, v2, v4, vcc
	s_addk_i32 s0, 0xc00
	v_mov_b32_e32 v2, s27
	v_add_co_u32_e32 v7, vcc, s26, v7
	s_min_i32 s7, s0, s1
	v_addc_co_u32_e32 v8, vcc, v2, v8, vcc
	s_mov_b64 s[12:13], 0
	v_mov_b32_e32 v4, s31
.LBB44_45:                              ; =>This Inner Loop Header: Depth=1
	global_load_dword v2, v[7:8], off
	global_load_sbyte v12, v[5:6], off
	v_add_u32_e32 v3, 0x100, v3
	v_cmp_le_i32_e64 s[0:1], s7, v3
	s_or_b64 s[12:13], s[0:1], s[12:13]
	s_waitcnt vmcnt(1)
	v_subrev_u32_e32 v2, s40, v2
	v_ashrrev_i32_e32 v11, 31, v2
	v_add_co_u32_e32 v10, vcc, s30, v2
	v_addc_co_u32_e32 v11, vcc, v4, v11, vcc
	global_load_sbyte v2, v[10:11], off
	s_waitcnt vmcnt(1)
	v_mul_lo_u32 v10, s55, v12
	v_add_co_u32_e32 v5, vcc, 0x100, v5
	v_addc_co_u32_e32 v6, vcc, 0, v6, vcc
	v_add_co_u32_e32 v7, vcc, 0x400, v7
	v_addc_co_u32_e32 v8, vcc, 0, v8, vcc
	s_waitcnt vmcnt(0)
	v_mad_u64_u32 v[1:2], s[0:1], v10, v2, v[1:2]
	s_andn2_b64 exec, exec, s[12:13]
	s_cbranch_execnz .LBB44_45
; %bb.46:
	s_or_b64 exec, exec, s[12:13]
.LBB44_47:
	s_or_b64 exec, exec, s[10:11]
	s_movk_i32 s0, 0x80
	v_lshlrev_b32_e32 v2, 2, v0
	v_cmp_gt_u32_e32 vcc, s0, v0
	ds_write_b32 v2, v1
	s_waitcnt vmcnt(0) lgkmcnt(0)
	s_barrier
	s_and_saveexec_b64 s[0:1], vcc
	s_cbranch_execz .LBB44_49
; %bb.48:
	ds_read2st64_b32 v[3:4], v2 offset1:2
	s_waitcnt lgkmcnt(0)
	v_add_u32_e32 v1, v4, v3
	ds_write_b32 v2, v1
.LBB44_49:
	s_or_b64 exec, exec, s[0:1]
	v_cmp_gt_u32_e32 vcc, 64, v0
	s_waitcnt lgkmcnt(0)
	s_barrier
	s_and_saveexec_b64 s[0:1], vcc
	s_cbranch_execz .LBB44_51
; %bb.50:
	ds_read2st64_b32 v[3:4], v2 offset1:1
	s_waitcnt lgkmcnt(0)
	v_add_u32_e32 v1, v4, v3
	ds_write_b32 v2, v1
.LBB44_51:
	s_or_b64 exec, exec, s[0:1]
	v_cmp_gt_u32_e32 vcc, 32, v0
	s_waitcnt lgkmcnt(0)
	s_barrier
	s_and_saveexec_b64 s[0:1], vcc
	s_cbranch_execz .LBB44_53
; %bb.52:
	ds_read2_b32 v[3:4], v2 offset1:32
	s_waitcnt lgkmcnt(0)
	v_add_u32_e32 v1, v4, v3
	ds_write_b32 v2, v1
.LBB44_53:
	s_or_b64 exec, exec, s[0:1]
	v_cmp_gt_u32_e32 vcc, 16, v0
	s_waitcnt lgkmcnt(0)
	s_barrier
	s_and_saveexec_b64 s[0:1], vcc
	s_cbranch_execz .LBB44_55
; %bb.54:
	ds_read2_b32 v[3:4], v2 offset1:16
	s_waitcnt lgkmcnt(0)
	v_add_u32_e32 v1, v4, v3
	ds_write_b32 v2, v1
.LBB44_55:
	;; [unrolled: 12-line block ×5, first 2 shown]
	s_or_b64 exec, exec, s[0:1]
	v_cmp_eq_u32_e32 vcc, 0, v0
	s_waitcnt lgkmcnt(0)
	s_barrier
	s_and_saveexec_b64 s[0:1], vcc
	s_cbranch_execz .LBB44_63
; %bb.62:
	v_mov_b32_e32 v3, 0
	ds_read_b64 v[1:2], v3
	s_waitcnt lgkmcnt(0)
	v_add_u32_e32 v1, v2, v1
	ds_write_b32 v3, v1
.LBB44_63:
	s_or_b64 exec, exec, s[0:1]
	s_waitcnt lgkmcnt(0)
	s_barrier
	s_and_saveexec_b64 s[0:1], vcc
	s_cbranch_execz .LBB44_72
; %bb.64:
	s_cmp_eq_u32 s41, 0
	s_cbranch_scc1 .LBB44_70
; %bb.65:
	s_ashr_i32 s7, s6, 31
	s_lshl_b64 s[6:7], s[6:7], 2
	s_add_u32 s6, s8, s6
	s_addc_u32 s7, s9, s7
	v_mov_b32_e32 v1, 0
	s_branch .LBB44_67
.LBB44_66:                              ;   in Loop: Header=BB44_67 Depth=1
	s_or_b64 exec, exec, s[8:9]
	s_waitcnt vmcnt(0)
	v_readfirstlane_b32 s8, v2
	v_cmp_eq_u32_e32 vcc, s8, v9
	s_cbranch_vccz .LBB44_69
.LBB44_67:                              ; =>This Inner Loop Header: Depth=1
	v_mbcnt_lo_u32_b32 v2, exec_lo, 0
	v_mbcnt_hi_u32_b32 v2, exec_hi, v2
	v_cmp_eq_u32_e32 vcc, 0, v2
                                        ; implicit-def: $vgpr2
	s_and_saveexec_b64 s[8:9], vcc
	s_cbranch_execz .LBB44_66
; %bb.68:                               ;   in Loop: Header=BB44_67 Depth=1
	global_load_dword v2, v1, s[6:7] glc
	s_branch .LBB44_66
.LBB44_69:
	v_mov_b32_e32 v1, 0
	global_load_ushort v2, v1, s[2:3]
	s_waitcnt vmcnt(0)
	v_xor_b32_e32 v2, 1, v2
	global_store_short v1, v2, s[2:3]
.LBB44_70:
	s_mov_b64 s[2:3], exec
	v_mbcnt_lo_u32_b32 v1, s2, 0
	v_mbcnt_hi_u32_b32 v1, s3, v1
	v_cmp_eq_u32_e32 vcc, 0, v1
	s_and_b64 s[6:7], exec, vcc
	s_mov_b64 exec, s[6:7]
	s_cbranch_execz .LBB44_72
; %bb.71:
	v_mov_b32_e32 v1, 0
	ds_read_b32 v2, v1
	s_add_u32 s6, s34, s42
	s_addc_u32 s7, s35, s43
	s_bcnt1_i32_b64 s2, s[2:3]
	s_waitcnt lgkmcnt(0)
	v_mul_lo_u32 v2, v2, s2
	global_atomic_add v1, v2, s[6:7]
.LBB44_72:
	s_or_b64 exec, exec, s[0:1]
.LBB44_73:
	s_mov_b64 s[0:1], 0
.LBB44_74:
	s_andn2_b64 vcc, exec, s[0:1]
	s_cbranch_vccnz .LBB44_118
; %bb.75:
	s_load_dword s0, s[4:5], 0x4
	v_subrev_u32_e32 v1, s40, v0
	s_waitcnt lgkmcnt(0)
	v_add_u32_e32 v1, s54, v1
	v_add_u32_e32 v2, 0x300, v1
	v_cmp_le_i32_e32 vcc, s0, v2
	s_and_saveexec_b64 s[0:1], vcc
	s_xor_b64 s[0:1], exec, s[0:1]
	s_cbranch_execz .LBB44_80
; %bb.76:
	s_ashr_i32 s3, s37, 31
	s_mov_b32 s2, s37
	s_lshl_b64 s[2:3], s[2:3], 2
	s_add_u32 s2, s24, s2
	s_addc_u32 s3, s25, s3
	s_load_dword s2, s[2:3], 0x0
	s_waitcnt lgkmcnt(0)
	s_sub_i32 s6, s2, s40
	v_cmp_gt_i32_e32 vcc, s6, v1
	s_and_saveexec_b64 s[2:3], vcc
	s_cbranch_execz .LBB44_79
; %bb.77:
	v_lshlrev_b32_e32 v3, 2, v0
	s_mov_b64 s[4:5], 0
	v_mov_b32_e32 v4, s29
	v_mov_b32_e32 v5, s27
	v_mov_b32_e32 v6, s31
.LBB44_78:                              ; =>This Inner Loop Header: Depth=1
	v_ashrrev_i32_e32 v2, 31, v1
	v_lshlrev_b64 v[7:8], 2, v[1:2]
	v_add_co_u32_e32 v7, vcc, s26, v7
	v_addc_co_u32_e32 v8, vcc, v5, v8, vcc
	global_load_dword v9, v[7:8], off
	v_add_co_u32_e32 v7, vcc, s28, v1
	v_addc_co_u32_e32 v8, vcc, v4, v2, vcc
	global_load_sbyte v2, v[7:8], off
	v_add_u32_e32 v1, 0x100, v1
	s_waitcnt vmcnt(1)
	v_subrev_u32_e32 v7, s40, v9
	v_ashrrev_i32_e32 v8, 31, v7
	v_add_co_u32_e32 v7, vcc, s30, v7
	v_addc_co_u32_e32 v8, vcc, v6, v8, vcc
	global_load_sbyte v7, v[7:8], off
	s_waitcnt vmcnt(1)
	v_mul_lo_u32 v2, s55, v2
	v_cmp_le_i32_e32 vcc, s6, v1
	s_or_b64 s[4:5], vcc, s[4:5]
	s_waitcnt vmcnt(0)
	v_mul_lo_u32 v2, v2, v7
	ds_write_b32 v3, v2
	v_add_u32_e32 v3, 0x400, v3
	s_andn2_b64 exec, exec, s[4:5]
	s_cbranch_execnz .LBB44_78
.LBB44_79:
	s_or_b64 exec, exec, s[2:3]
                                        ; implicit-def: $vgpr1
.LBB44_80:
	s_or_saveexec_b64 s[0:1], s[0:1]
	v_lshlrev_b32_e32 v7, 2, v0
	s_xor_b64 exec, exec, s[0:1]
	s_cbranch_execz .LBB44_82
; %bb.81:
	v_ashrrev_i32_e32 v2, 31, v1
	v_lshlrev_b64 v[3:4], 2, v[1:2]
	v_mov_b32_e32 v5, s27
	v_add_co_u32_e32 v3, vcc, s26, v3
	v_addc_co_u32_e32 v4, vcc, v5, v4, vcc
	global_load_dword v5, v[3:4], off
	global_load_dword v6, v[3:4], off offset:1024
	global_load_dword v8, v[3:4], off offset:2048
	;; [unrolled: 1-line block ×3, first 2 shown]
	v_mov_b32_e32 v3, s29
	v_add_co_u32_e32 v1, vcc, s28, v1
	v_addc_co_u32_e32 v2, vcc, v3, v2, vcc
	global_load_sbyte v13, v[1:2], off
	global_load_sbyte v14, v[1:2], off offset:256
	global_load_sbyte v15, v[1:2], off offset:512
	;; [unrolled: 1-line block ×3, first 2 shown]
	v_mov_b32_e32 v4, s31
	v_mov_b32_e32 v10, s31
	;; [unrolled: 1-line block ×4, first 2 shown]
	s_waitcnt vmcnt(7)
	v_subrev_u32_e32 v1, s40, v5
	v_ashrrev_i32_e32 v2, 31, v1
	v_add_co_u32_e32 v1, vcc, s30, v1
	s_waitcnt vmcnt(6)
	v_subrev_u32_e32 v3, s40, v6
	v_addc_co_u32_e32 v2, vcc, v4, v2, vcc
	v_ashrrev_i32_e32 v6, 31, v3
	v_add_co_u32_e32 v3, vcc, s30, v3
	s_waitcnt vmcnt(5)
	v_subrev_u32_e32 v5, s40, v8
	v_addc_co_u32_e32 v4, vcc, v10, v6, vcc
	s_waitcnt vmcnt(4)
	v_subrev_u32_e32 v8, s40, v9
	v_ashrrev_i32_e32 v9, 31, v5
	v_add_co_u32_e32 v5, vcc, s30, v5
	v_addc_co_u32_e32 v6, vcc, v11, v9, vcc
	v_ashrrev_i32_e32 v17, 31, v8
	v_add_co_u32_e32 v8, vcc, s30, v8
	v_addc_co_u32_e32 v9, vcc, v12, v17, vcc
	global_load_sbyte v10, v[1:2], off
	global_load_sbyte v11, v[3:4], off
	;; [unrolled: 1-line block ×4, first 2 shown]
	s_waitcnt vmcnt(7)
	v_mul_lo_u32 v1, s55, v13
	s_waitcnt vmcnt(6)
	v_mul_lo_u32 v2, s55, v14
	;; [unrolled: 2-line block ×8, first 2 shown]
	ds_write2st64_b32 v7, v1, v2 offset1:4
	ds_write2st64_b32 v7, v3, v4 offset0:8 offset1:12
.LBB44_82:
	s_or_b64 exec, exec, s[0:1]
	s_cmp_lt_i32 s41, 2
	s_mov_b64 s[0:1], -1
	s_waitcnt vmcnt(0) lgkmcnt(0)
	s_barrier
	s_cbranch_scc0 .LBB44_93
; %bb.83:
	v_add_u32_e32 v1, s36, v0
	v_cmp_gt_i32_e32 vcc, s37, v1
	s_and_saveexec_b64 s[0:1], vcc
	s_cbranch_execz .LBB44_92
; %bb.84:
	s_cmp_lg_u32 s33, 0
	s_cselect_b64 s[2:3], -1, 0
	s_lshl_b32 s4, s54, 2
	s_sub_i32 s10, 0, s4
	s_mov_b64 s[4:5], 0
	v_mov_b32_e32 v8, s25
	v_mov_b32_e32 v9, s35
	s_branch .LBB44_86
.LBB44_85:                              ;   in Loop: Header=BB44_86 Depth=1
	v_add_co_u32_e32 v2, vcc, s34, v2
	v_addc_co_u32_e32 v3, vcc, v9, v3, vcc
	v_add_u32_e32 v1, 0x100, v1
	v_cmp_le_i32_e32 vcc, s37, v1
	s_or_b64 s[4:5], vcc, s[4:5]
	global_store_dword v[2:3], v4, off
	s_andn2_b64 exec, exec, s[4:5]
	s_cbranch_execz .LBB44_92
.LBB44_86:                              ; =>This Loop Header: Depth=1
                                        ;     Child Loop BB44_88 Depth 2
	v_ashrrev_i32_e32 v2, 31, v1
	v_lshlrev_b64 v[2:3], 2, v[1:2]
	v_add_co_u32_e32 v4, vcc, s24, v2
	v_addc_co_u32_e32 v5, vcc, v8, v3, vcc
	global_load_dwordx2 v[5:6], v[4:5], off
	v_mov_b32_e32 v4, 0
	s_waitcnt vmcnt(0)
	v_cmp_lt_i32_e32 vcc, v5, v6
	s_and_saveexec_b64 s[6:7], vcc
	s_cbranch_execz .LBB44_90
; %bb.87:                               ;   in Loop: Header=BB44_86 Depth=1
	v_subrev_u32_e32 v6, s54, v6
	v_subrev_u32_e32 v10, s54, v5
	v_lshl_add_u32 v5, v5, 2, s10
	v_mov_b32_e32 v4, 0
	s_mov_b64 s[8:9], 0
.LBB44_88:                              ;   Parent Loop BB44_86 Depth=1
                                        ; =>  This Inner Loop Header: Depth=2
	ds_read_b32 v11, v5
	v_add_u32_e32 v10, 1, v10
	v_cmp_ge_i32_e32 vcc, v10, v6
	v_add_u32_e32 v5, 4, v5
	s_or_b64 s[8:9], vcc, s[8:9]
	s_waitcnt lgkmcnt(0)
	v_add_u32_e32 v4, v11, v4
	s_andn2_b64 exec, exec, s[8:9]
	s_cbranch_execnz .LBB44_88
; %bb.89:                               ;   in Loop: Header=BB44_86 Depth=1
	s_or_b64 exec, exec, s[8:9]
.LBB44_90:                              ;   in Loop: Header=BB44_86 Depth=1
	s_or_b64 exec, exec, s[6:7]
	s_and_b64 vcc, exec, s[2:3]
	s_cbranch_vccz .LBB44_85
; %bb.91:                               ;   in Loop: Header=BB44_86 Depth=1
	v_mov_b32_e32 v6, s35
	v_add_co_u32_e32 v5, vcc, s34, v2
	v_addc_co_u32_e32 v6, vcc, v6, v3, vcc
	global_load_dword v5, v[5:6], off
	s_waitcnt vmcnt(0)
	v_mad_u64_u32 v[4:5], s[6:7], v5, s33, v[4:5]
	s_branch .LBB44_85
.LBB44_92:
	s_or_b64 exec, exec, s[0:1]
	s_mov_b64 s[0:1], 0
.LBB44_93:
	s_andn2_b64 vcc, exec, s[0:1]
	s_cbranch_vccnz .LBB44_118
; %bb.94:
	s_flbit_i32_b32 s0, s41
	s_xor_b32 s0, s0, 31
	v_lshrrev_b32_e32 v3, s0, v0
	v_add_u32_e32 v1, s36, v3
	s_add_i32 s0, s41, -1
	v_and_b32_e32 v2, s0, v0
	v_cmp_le_i32_e32 vcc, s37, v1
	v_cmp_gt_i32_e64 s[0:1], s37, v1
	v_mov_b32_e32 v0, 0
	s_and_saveexec_b64 s[2:3], s[0:1]
	s_cbranch_execz .LBB44_100
; %bb.95:
	v_lshlrev_b32_e32 v0, 2, v3
	global_load_dwordx2 v[4:5], v0, s[38:39]
	v_subrev_u32_e32 v0, s54, v2
	s_waitcnt vmcnt(0)
	v_subrev_u32_e32 v3, s54, v5
	v_add_u32_e32 v4, v4, v0
	v_cmp_lt_i32_e64 s[0:1], v4, v3
	v_mov_b32_e32 v0, 0
	s_and_saveexec_b64 s[4:5], s[0:1]
	s_cbranch_execz .LBB44_99
; %bb.96:
	v_lshlrev_b32_e32 v5, 2, v4
	s_lshl_b32 s8, s41, 2
	v_mov_b32_e32 v0, 0
	s_mov_b64 s[6:7], 0
.LBB44_97:                              ; =>This Inner Loop Header: Depth=1
	ds_read_b32 v6, v5
	v_add_u32_e32 v4, s41, v4
	v_cmp_ge_i32_e64 s[0:1], v4, v3
	v_add_u32_e32 v5, s8, v5
	s_or_b64 s[6:7], s[0:1], s[6:7]
	s_waitcnt lgkmcnt(0)
	v_add_u32_e32 v0, v6, v0
	s_andn2_b64 exec, exec, s[6:7]
	s_cbranch_execnz .LBB44_97
; %bb.98:
	s_or_b64 exec, exec, s[6:7]
.LBB44_99:
	s_or_b64 exec, exec, s[4:5]
.LBB44_100:
	s_or_b64 exec, exec, s[2:3]
	s_cmpk_lt_u32 s41, 0x81
	s_waitcnt vmcnt(0)
	s_barrier
	ds_write_b32 v7, v0
	s_waitcnt lgkmcnt(0)
	s_barrier
	s_cbranch_scc1 .LBB44_102
; %bb.101:
	ds_read_b32 v3, v7 offset:512
	s_waitcnt lgkmcnt(0)
	s_barrier
	v_add_u32_e32 v0, v3, v0
	ds_write_b32 v7, v0
.LBB44_102:
	s_cmpk_lt_u32 s41, 0x41
	s_waitcnt lgkmcnt(0)
	s_barrier
	s_cbranch_scc1 .LBB44_104
; %bb.103:
	ds_read_b32 v3, v7 offset:256
	s_waitcnt lgkmcnt(0)
	s_barrier
	v_add_u32_e32 v0, v3, v0
	ds_write_b32 v7, v0
.LBB44_104:
	s_cmp_lt_u32 s41, 33
	s_waitcnt lgkmcnt(0)
	s_barrier
	s_cbranch_scc1 .LBB44_106
; %bb.105:
	ds_read_b32 v3, v7 offset:128
	s_waitcnt lgkmcnt(0)
	s_barrier
	v_add_u32_e32 v0, v3, v0
	ds_write_b32 v7, v0
.LBB44_106:
	s_cmp_lt_u32 s41, 17
	;; [unrolled: 11-line block ×4, first 2 shown]
	s_waitcnt lgkmcnt(0)
	s_barrier
	s_cbranch_scc1 .LBB44_112
; %bb.111:
	ds_read_b32 v3, v7 offset:16
	s_waitcnt lgkmcnt(0)
	s_barrier
	v_add_u32_e32 v0, v3, v0
	ds_write_b32 v7, v0
.LBB44_112:
	s_cmp_eq_u32 s41, 2
	s_waitcnt lgkmcnt(0)
	s_barrier
	s_cbranch_scc1 .LBB44_114
; %bb.113:
	ds_read_b32 v3, v7 offset:8
	s_waitcnt lgkmcnt(0)
	s_barrier
	v_add_u32_e32 v0, v3, v0
	ds_write_b32 v7, v0
.LBB44_114:
	s_waitcnt lgkmcnt(0)
	s_barrier
	ds_read_b32 v3, v7 offset:4
	v_cmp_eq_u32_e64 s[0:1], 0, v2
	s_xor_b64 s[2:3], vcc, -1
	s_and_b64 s[0:1], s[0:1], s[2:3]
	s_waitcnt lgkmcnt(0)
	v_add_u32_e32 v0, v3, v0
	s_barrier
	ds_write_b32 v7, v0
	s_and_saveexec_b64 s[2:3], s[0:1]
	s_cbranch_execz .LBB44_118
; %bb.115:
	v_ashrrev_i32_e32 v2, 31, v1
	v_lshlrev_b64 v[2:3], 2, v[1:2]
	s_cmp_eq_u32 s33, 0
	s_cbranch_scc1 .LBB44_117
; %bb.116:
	v_mov_b32_e32 v1, s35
	v_add_co_u32_e32 v4, vcc, s34, v2
	v_addc_co_u32_e32 v5, vcc, v1, v3, vcc
	global_load_dword v1, v[4:5], off
	s_waitcnt vmcnt(0)
	v_mad_u64_u32 v[0:1], s[0:1], v1, s33, v[0:1]
.LBB44_117:
	v_mov_b32_e32 v4, s35
	v_add_co_u32_e32 v1, vcc, s34, v2
	v_addc_co_u32_e32 v2, vcc, v4, v3, vcc
	global_store_dword v[1:2], v0, off
.LBB44_118:
	s_endpgm
	.section	.rodata,"a",@progbits
	.p2align	6, 0x0
	.amdhsa_kernel _ZN9rocsparseL22csrmvn_adaptive_kernelIiiaaiiEEvbT_PKS1_PjPKT0_NS_24const_host_device_scalarIT4_EES3_S7_PKT1_PKT2_SA_PT3_21rocsparse_index_base_b
		.amdhsa_group_segment_fixed_size 4096
		.amdhsa_private_segment_fixed_size 0
		.amdhsa_kernarg_size 96
		.amdhsa_user_sgpr_count 6
		.amdhsa_user_sgpr_private_segment_buffer 1
		.amdhsa_user_sgpr_dispatch_ptr 0
		.amdhsa_user_sgpr_queue_ptr 0
		.amdhsa_user_sgpr_kernarg_segment_ptr 1
		.amdhsa_user_sgpr_dispatch_id 0
		.amdhsa_user_sgpr_flat_scratch_init 0
		.amdhsa_user_sgpr_private_segment_size 0
		.amdhsa_uses_dynamic_stack 0
		.amdhsa_system_sgpr_private_segment_wavefront_offset 0
		.amdhsa_system_sgpr_workgroup_id_x 1
		.amdhsa_system_sgpr_workgroup_id_y 0
		.amdhsa_system_sgpr_workgroup_id_z 0
		.amdhsa_system_sgpr_workgroup_info 0
		.amdhsa_system_vgpr_workitem_id 0
		.amdhsa_next_free_vgpr 18
		.amdhsa_next_free_sgpr 56
		.amdhsa_reserve_vcc 1
		.amdhsa_reserve_flat_scratch 0
		.amdhsa_float_round_mode_32 0
		.amdhsa_float_round_mode_16_64 0
		.amdhsa_float_denorm_mode_32 3
		.amdhsa_float_denorm_mode_16_64 3
		.amdhsa_dx10_clamp 1
		.amdhsa_ieee_mode 1
		.amdhsa_fp16_overflow 0
		.amdhsa_exception_fp_ieee_invalid_op 0
		.amdhsa_exception_fp_denorm_src 0
		.amdhsa_exception_fp_ieee_div_zero 0
		.amdhsa_exception_fp_ieee_overflow 0
		.amdhsa_exception_fp_ieee_underflow 0
		.amdhsa_exception_fp_ieee_inexact 0
		.amdhsa_exception_int_div_zero 0
	.end_amdhsa_kernel
	.section	.text._ZN9rocsparseL22csrmvn_adaptive_kernelIiiaaiiEEvbT_PKS1_PjPKT0_NS_24const_host_device_scalarIT4_EES3_S7_PKT1_PKT2_SA_PT3_21rocsparse_index_base_b,"axG",@progbits,_ZN9rocsparseL22csrmvn_adaptive_kernelIiiaaiiEEvbT_PKS1_PjPKT0_NS_24const_host_device_scalarIT4_EES3_S7_PKT1_PKT2_SA_PT3_21rocsparse_index_base_b,comdat
.Lfunc_end44:
	.size	_ZN9rocsparseL22csrmvn_adaptive_kernelIiiaaiiEEvbT_PKS1_PjPKT0_NS_24const_host_device_scalarIT4_EES3_S7_PKT1_PKT2_SA_PT3_21rocsparse_index_base_b, .Lfunc_end44-_ZN9rocsparseL22csrmvn_adaptive_kernelIiiaaiiEEvbT_PKS1_PjPKT0_NS_24const_host_device_scalarIT4_EES3_S7_PKT1_PKT2_SA_PT3_21rocsparse_index_base_b
                                        ; -- End function
	.set _ZN9rocsparseL22csrmvn_adaptive_kernelIiiaaiiEEvbT_PKS1_PjPKT0_NS_24const_host_device_scalarIT4_EES3_S7_PKT1_PKT2_SA_PT3_21rocsparse_index_base_b.num_vgpr, 18
	.set _ZN9rocsparseL22csrmvn_adaptive_kernelIiiaaiiEEvbT_PKS1_PjPKT0_NS_24const_host_device_scalarIT4_EES3_S7_PKT1_PKT2_SA_PT3_21rocsparse_index_base_b.num_agpr, 0
	.set _ZN9rocsparseL22csrmvn_adaptive_kernelIiiaaiiEEvbT_PKS1_PjPKT0_NS_24const_host_device_scalarIT4_EES3_S7_PKT1_PKT2_SA_PT3_21rocsparse_index_base_b.numbered_sgpr, 56
	.set _ZN9rocsparseL22csrmvn_adaptive_kernelIiiaaiiEEvbT_PKS1_PjPKT0_NS_24const_host_device_scalarIT4_EES3_S7_PKT1_PKT2_SA_PT3_21rocsparse_index_base_b.num_named_barrier, 0
	.set _ZN9rocsparseL22csrmvn_adaptive_kernelIiiaaiiEEvbT_PKS1_PjPKT0_NS_24const_host_device_scalarIT4_EES3_S7_PKT1_PKT2_SA_PT3_21rocsparse_index_base_b.private_seg_size, 0
	.set _ZN9rocsparseL22csrmvn_adaptive_kernelIiiaaiiEEvbT_PKS1_PjPKT0_NS_24const_host_device_scalarIT4_EES3_S7_PKT1_PKT2_SA_PT3_21rocsparse_index_base_b.uses_vcc, 1
	.set _ZN9rocsparseL22csrmvn_adaptive_kernelIiiaaiiEEvbT_PKS1_PjPKT0_NS_24const_host_device_scalarIT4_EES3_S7_PKT1_PKT2_SA_PT3_21rocsparse_index_base_b.uses_flat_scratch, 0
	.set _ZN9rocsparseL22csrmvn_adaptive_kernelIiiaaiiEEvbT_PKS1_PjPKT0_NS_24const_host_device_scalarIT4_EES3_S7_PKT1_PKT2_SA_PT3_21rocsparse_index_base_b.has_dyn_sized_stack, 0
	.set _ZN9rocsparseL22csrmvn_adaptive_kernelIiiaaiiEEvbT_PKS1_PjPKT0_NS_24const_host_device_scalarIT4_EES3_S7_PKT1_PKT2_SA_PT3_21rocsparse_index_base_b.has_recursion, 0
	.set _ZN9rocsparseL22csrmvn_adaptive_kernelIiiaaiiEEvbT_PKS1_PjPKT0_NS_24const_host_device_scalarIT4_EES3_S7_PKT1_PKT2_SA_PT3_21rocsparse_index_base_b.has_indirect_call, 0
	.section	.AMDGPU.csdata,"",@progbits
; Kernel info:
; codeLenInByte = 3700
; TotalNumSgprs: 60
; NumVgprs: 18
; ScratchSize: 0
; MemoryBound: 0
; FloatMode: 240
; IeeeMode: 1
; LDSByteSize: 4096 bytes/workgroup (compile time only)
; SGPRBlocks: 7
; VGPRBlocks: 4
; NumSGPRsForWavesPerEU: 60
; NumVGPRsForWavesPerEU: 18
; Occupancy: 10
; WaveLimiterHint : 1
; COMPUTE_PGM_RSRC2:SCRATCH_EN: 0
; COMPUTE_PGM_RSRC2:USER_SGPR: 6
; COMPUTE_PGM_RSRC2:TRAP_HANDLER: 0
; COMPUTE_PGM_RSRC2:TGID_X_EN: 1
; COMPUTE_PGM_RSRC2:TGID_Y_EN: 0
; COMPUTE_PGM_RSRC2:TGID_Z_EN: 0
; COMPUTE_PGM_RSRC2:TIDIG_COMP_CNT: 0
	.section	.text._ZN9rocsparseL22partial_scale_y_kernelIiiiEEvT_S1_S1_NS_24const_host_device_scalarIT1_EEPT0_b,"axG",@progbits,_ZN9rocsparseL22partial_scale_y_kernelIiiiEEvT_S1_S1_NS_24const_host_device_scalarIT1_EEPT0_b,comdat
	.globl	_ZN9rocsparseL22partial_scale_y_kernelIiiiEEvT_S1_S1_NS_24const_host_device_scalarIT1_EEPT0_b ; -- Begin function _ZN9rocsparseL22partial_scale_y_kernelIiiiEEvT_S1_S1_NS_24const_host_device_scalarIT1_EEPT0_b
	.p2align	8
	.type	_ZN9rocsparseL22partial_scale_y_kernelIiiiEEvT_S1_S1_NS_24const_host_device_scalarIT1_EEPT0_b,@function
_ZN9rocsparseL22partial_scale_y_kernelIiiiEEvT_S1_S1_NS_24const_host_device_scalarIT1_EEPT0_b: ; @_ZN9rocsparseL22partial_scale_y_kernelIiiiEEvT_S1_S1_NS_24const_host_device_scalarIT1_EEPT0_b
; %bb.0:
	s_load_dword s2, s[4:5], 0x20
	s_load_dwordx2 s[0:1], s[4:5], 0x10
	s_waitcnt lgkmcnt(0)
	s_bitcmp0_b32 s2, 0
	s_cbranch_scc0 .LBB45_2
; %bb.1:
	s_load_dword s10, s[0:1], 0x0
	s_cbranch_execz .LBB45_3
	s_branch .LBB45_4
.LBB45_2:
                                        ; implicit-def: $sgpr10
.LBB45_3:
	s_waitcnt lgkmcnt(0)
	s_mov_b32 s10, s0
.LBB45_4:
	s_waitcnt lgkmcnt(0)
	s_cmp_eq_u32 s10, 1
	s_cbranch_scc1 .LBB45_14
; %bb.5:
	s_load_dwordx4 s[0:3], s[4:5], 0x0
	v_lshl_or_b32 v0, s6, 8, v0
	s_waitcnt lgkmcnt(0)
	s_add_i32 s0, s1, s0
	s_sub_i32 s0, s0, s2
	v_cmp_gt_i32_e32 vcc, s0, v0
	s_and_saveexec_b64 s[6:7], vcc
	s_cbranch_execz .LBB45_14
; %bb.6:
	s_load_dwordx2 s[6:7], s[4:5], 0x18
	s_cmp_lg_u32 s10, 0
	v_cmp_le_i32_e32 vcc, s1, v0
	s_cselect_b64 s[4:5], -1, 0
	s_and_saveexec_b64 s[8:9], vcc
	s_xor_b64 s[8:9], exec, s[8:9]
	s_cbranch_execz .LBB45_10
; %bb.7:
	v_subrev_u32_e32 v0, s1, v0
	v_add_u32_e32 v0, s2, v0
	v_ashrrev_i32_e32 v1, 31, v0
	v_lshlrev_b64 v[1:2], 2, v[0:1]
	s_waitcnt lgkmcnt(0)
	v_mov_b32_e32 v0, s7
	v_add_co_u32_e32 v1, vcc, s6, v1
	v_addc_co_u32_e32 v2, vcc, v0, v2, vcc
	s_and_b64 vcc, exec, s[4:5]
	s_cbranch_vccz .LBB45_15
; %bb.8:
	global_load_dword v0, v[1:2], off
	s_waitcnt vmcnt(0)
	v_mul_lo_u32 v0, v0, s10
	global_store_dword v[1:2], v0, off
                                        ; implicit-def: $vgpr0
	s_cbranch_execnz .LBB45_10
.LBB45_9:
	v_mov_b32_e32 v0, 0
	global_store_dword v[1:2], v0, off
                                        ; implicit-def: $vgpr0
.LBB45_10:
	s_andn2_saveexec_b64 s[0:1], s[8:9]
	s_cbranch_execz .LBB45_14
; %bb.11:
	v_ashrrev_i32_e32 v1, 31, v0
	v_lshlrev_b64 v[0:1], 2, v[0:1]
	s_waitcnt lgkmcnt(0)
	v_mov_b32_e32 v2, s7
	v_add_co_u32_e32 v0, vcc, s6, v0
	v_addc_co_u32_e32 v1, vcc, v2, v1, vcc
	s_and_b64 vcc, exec, s[4:5]
	s_cbranch_vccz .LBB45_16
; %bb.12:
	global_load_dword v2, v[0:1], off
	s_waitcnt vmcnt(0)
	v_mul_lo_u32 v2, v2, s10
	global_store_dword v[0:1], v2, off
	s_cbranch_execnz .LBB45_14
.LBB45_13:
	v_mov_b32_e32 v2, 0
	global_store_dword v[0:1], v2, off
.LBB45_14:
	s_endpgm
.LBB45_15:
                                        ; implicit-def: $vgpr0
	s_branch .LBB45_9
.LBB45_16:
	s_branch .LBB45_13
	.section	.rodata,"a",@progbits
	.p2align	6, 0x0
	.amdhsa_kernel _ZN9rocsparseL22partial_scale_y_kernelIiiiEEvT_S1_S1_NS_24const_host_device_scalarIT1_EEPT0_b
		.amdhsa_group_segment_fixed_size 0
		.amdhsa_private_segment_fixed_size 0
		.amdhsa_kernarg_size 36
		.amdhsa_user_sgpr_count 6
		.amdhsa_user_sgpr_private_segment_buffer 1
		.amdhsa_user_sgpr_dispatch_ptr 0
		.amdhsa_user_sgpr_queue_ptr 0
		.amdhsa_user_sgpr_kernarg_segment_ptr 1
		.amdhsa_user_sgpr_dispatch_id 0
		.amdhsa_user_sgpr_flat_scratch_init 0
		.amdhsa_user_sgpr_private_segment_size 0
		.amdhsa_uses_dynamic_stack 0
		.amdhsa_system_sgpr_private_segment_wavefront_offset 0
		.amdhsa_system_sgpr_workgroup_id_x 1
		.amdhsa_system_sgpr_workgroup_id_y 0
		.amdhsa_system_sgpr_workgroup_id_z 0
		.amdhsa_system_sgpr_workgroup_info 0
		.amdhsa_system_vgpr_workitem_id 0
		.amdhsa_next_free_vgpr 3
		.amdhsa_next_free_sgpr 11
		.amdhsa_reserve_vcc 1
		.amdhsa_reserve_flat_scratch 0
		.amdhsa_float_round_mode_32 0
		.amdhsa_float_round_mode_16_64 0
		.amdhsa_float_denorm_mode_32 3
		.amdhsa_float_denorm_mode_16_64 3
		.amdhsa_dx10_clamp 1
		.amdhsa_ieee_mode 1
		.amdhsa_fp16_overflow 0
		.amdhsa_exception_fp_ieee_invalid_op 0
		.amdhsa_exception_fp_denorm_src 0
		.amdhsa_exception_fp_ieee_div_zero 0
		.amdhsa_exception_fp_ieee_overflow 0
		.amdhsa_exception_fp_ieee_underflow 0
		.amdhsa_exception_fp_ieee_inexact 0
		.amdhsa_exception_int_div_zero 0
	.end_amdhsa_kernel
	.section	.text._ZN9rocsparseL22partial_scale_y_kernelIiiiEEvT_S1_S1_NS_24const_host_device_scalarIT1_EEPT0_b,"axG",@progbits,_ZN9rocsparseL22partial_scale_y_kernelIiiiEEvT_S1_S1_NS_24const_host_device_scalarIT1_EEPT0_b,comdat
.Lfunc_end45:
	.size	_ZN9rocsparseL22partial_scale_y_kernelIiiiEEvT_S1_S1_NS_24const_host_device_scalarIT1_EEPT0_b, .Lfunc_end45-_ZN9rocsparseL22partial_scale_y_kernelIiiiEEvT_S1_S1_NS_24const_host_device_scalarIT1_EEPT0_b
                                        ; -- End function
	.set _ZN9rocsparseL22partial_scale_y_kernelIiiiEEvT_S1_S1_NS_24const_host_device_scalarIT1_EEPT0_b.num_vgpr, 3
	.set _ZN9rocsparseL22partial_scale_y_kernelIiiiEEvT_S1_S1_NS_24const_host_device_scalarIT1_EEPT0_b.num_agpr, 0
	.set _ZN9rocsparseL22partial_scale_y_kernelIiiiEEvT_S1_S1_NS_24const_host_device_scalarIT1_EEPT0_b.numbered_sgpr, 11
	.set _ZN9rocsparseL22partial_scale_y_kernelIiiiEEvT_S1_S1_NS_24const_host_device_scalarIT1_EEPT0_b.num_named_barrier, 0
	.set _ZN9rocsparseL22partial_scale_y_kernelIiiiEEvT_S1_S1_NS_24const_host_device_scalarIT1_EEPT0_b.private_seg_size, 0
	.set _ZN9rocsparseL22partial_scale_y_kernelIiiiEEvT_S1_S1_NS_24const_host_device_scalarIT1_EEPT0_b.uses_vcc, 1
	.set _ZN9rocsparseL22partial_scale_y_kernelIiiiEEvT_S1_S1_NS_24const_host_device_scalarIT1_EEPT0_b.uses_flat_scratch, 0
	.set _ZN9rocsparseL22partial_scale_y_kernelIiiiEEvT_S1_S1_NS_24const_host_device_scalarIT1_EEPT0_b.has_dyn_sized_stack, 0
	.set _ZN9rocsparseL22partial_scale_y_kernelIiiiEEvT_S1_S1_NS_24const_host_device_scalarIT1_EEPT0_b.has_recursion, 0
	.set _ZN9rocsparseL22partial_scale_y_kernelIiiiEEvT_S1_S1_NS_24const_host_device_scalarIT1_EEPT0_b.has_indirect_call, 0
	.section	.AMDGPU.csdata,"",@progbits
; Kernel info:
; codeLenInByte = 324
; TotalNumSgprs: 15
; NumVgprs: 3
; ScratchSize: 0
; MemoryBound: 0
; FloatMode: 240
; IeeeMode: 1
; LDSByteSize: 0 bytes/workgroup (compile time only)
; SGPRBlocks: 1
; VGPRBlocks: 0
; NumSGPRsForWavesPerEU: 15
; NumVGPRsForWavesPerEU: 3
; Occupancy: 10
; WaveLimiterHint : 0
; COMPUTE_PGM_RSRC2:SCRATCH_EN: 0
; COMPUTE_PGM_RSRC2:USER_SGPR: 6
; COMPUTE_PGM_RSRC2:TRAP_HANDLER: 0
; COMPUTE_PGM_RSRC2:TGID_X_EN: 1
; COMPUTE_PGM_RSRC2:TGID_Y_EN: 0
; COMPUTE_PGM_RSRC2:TGID_Z_EN: 0
; COMPUTE_PGM_RSRC2:TIDIG_COMP_CNT: 0
	.section	.text._ZN9rocsparseL27csrmvn_symm_adaptive_kernelIiiaaiiEEvbT_S1_PKS1_NS_24const_host_device_scalarIT4_EES3_PKT0_PKT1_PKT2_S6_PT3_21rocsparse_index_base_b,"axG",@progbits,_ZN9rocsparseL27csrmvn_symm_adaptive_kernelIiiaaiiEEvbT_S1_PKS1_NS_24const_host_device_scalarIT4_EES3_PKT0_PKT1_PKT2_S6_PT3_21rocsparse_index_base_b,comdat
	.globl	_ZN9rocsparseL27csrmvn_symm_adaptive_kernelIiiaaiiEEvbT_S1_PKS1_NS_24const_host_device_scalarIT4_EES3_PKT0_PKT1_PKT2_S6_PT3_21rocsparse_index_base_b ; -- Begin function _ZN9rocsparseL27csrmvn_symm_adaptive_kernelIiiaaiiEEvbT_S1_PKS1_NS_24const_host_device_scalarIT4_EES3_PKT0_PKT1_PKT2_S6_PT3_21rocsparse_index_base_b
	.p2align	8
	.type	_ZN9rocsparseL27csrmvn_symm_adaptive_kernelIiiaaiiEEvbT_S1_PKS1_NS_24const_host_device_scalarIT4_EES3_PKT0_PKT1_PKT2_S6_PT3_21rocsparse_index_base_b,@function
_ZN9rocsparseL27csrmvn_symm_adaptive_kernelIiiaaiiEEvbT_S1_PKS1_NS_24const_host_device_scalarIT4_EES3_PKT0_PKT1_PKT2_S6_PT3_21rocsparse_index_base_b: ; @_ZN9rocsparseL27csrmvn_symm_adaptive_kernelIiiaaiiEEvbT_S1_PKS1_NS_24const_host_device_scalarIT4_EES3_PKT0_PKT1_PKT2_S6_PT3_21rocsparse_index_base_b
; %bb.0:
	s_load_dwordx2 s[24:25], s[4:5], 0x50
	s_load_dwordx2 s[8:9], s[4:5], 0x18
	s_mov_b64 s[10:11], -1
                                        ; implicit-def: $sgpr33
	s_waitcnt lgkmcnt(0)
	s_bitcmp1_b32 s25, 0
	s_cselect_b64 s[0:1], -1, 0
	s_xor_b64 s[2:3], s[0:1], -1
	s_and_b64 vcc, exec, s[2:3]
	s_cbranch_vccnz .LBB46_4
; %bb.1:
	s_load_dwordx2 s[0:1], s[4:5], 0x40
	s_andn2_b64 vcc, exec, s[10:11]
	s_cbranch_vccz .LBB46_5
.LBB46_2:
	s_and_b64 vcc, exec, s[2:3]
	s_cbranch_vccz .LBB46_6
.LBB46_3:
	s_waitcnt lgkmcnt(0)
	s_load_dword s1, s[0:1], 0x0
	s_cbranch_execz .LBB46_7
	s_branch .LBB46_8
.LBB46_4:
	s_load_dword s33, s[8:9], 0x0
	s_load_dwordx2 s[0:1], s[4:5], 0x40
	s_cbranch_execnz .LBB46_2
.LBB46_5:
	s_waitcnt lgkmcnt(0)
	s_mov_b32 s33, s8
	s_and_b64 vcc, exec, s[2:3]
	s_cbranch_vccnz .LBB46_3
.LBB46_6:
                                        ; implicit-def: $sgpr1
.LBB46_7:
	s_waitcnt lgkmcnt(0)
	s_mov_b32 s1, s0
.LBB46_8:
	s_waitcnt lgkmcnt(0)
	s_cmp_lg_u32 s33, 0
	s_cselect_b64 s[2:3], -1, 0
	s_cmp_lg_u32 s1, 1
	s_cselect_b64 s[0:1], -1, 0
	s_or_b64 s[0:1], s[2:3], s[0:1]
	s_andn2_b64 vcc, exec, s[0:1]
	s_cbranch_vccnz .LBB46_145
; %bb.9:
	s_load_dwordx2 s[0:1], s[4:5], 0x10
	s_ashr_i32 s7, s6, 31
	s_lshl_b64 s[2:3], s[6:7], 2
	v_lshlrev_b32_e32 v7, 2, v0
	v_mov_b32_e32 v1, 0
	s_waitcnt lgkmcnt(0)
	s_add_u32 s0, s0, s2
	s_addc_u32 s1, s1, s3
	ds_write2st64_b32 v7, v1, v1 offset1:4
	ds_write2st64_b32 v7, v1, v1 offset0:8 offset1:12
	s_waitcnt lgkmcnt(0)
	s_barrier
	s_load_dwordx2 s[22:23], s[0:1], 0x0
	s_load_dwordx8 s[12:19], s[4:5], 0x20
	s_load_dwordx2 s[20:21], s[4:5], 0x48
	s_mov_b64 s[0:1], -1
	v_subrev_u32_e32 v8, s24, v0
	s_waitcnt lgkmcnt(0)
	s_sub_i32 s25, s23, s22
	s_cmp_gt_i32 s25, 2
	s_cbranch_scc1 .LBB46_38
; %bb.10:
	s_cmp_le_i32 s23, s22
	s_cbranch_scc1 .LBB46_28
; %bb.11:
	v_cmp_gt_u32_e64 s[0:1], 64, v0
	v_cmp_gt_u32_e64 s[2:3], 16, v0
	;; [unrolled: 1-line block ×3, first 2 shown]
	v_cmp_eq_u32_e64 s[8:9], 0, v0
	v_mov_b32_e32 v9, 0
	s_mov_b32 s26, s22
	s_branch .LBB46_13
.LBB46_12:                              ;   in Loop: Header=BB46_13 Depth=1
	s_or_b64 exec, exec, s[10:11]
	s_add_i32 s26, s26, 1
	s_cmp_ge_i32 s26, s23
	s_cbranch_scc1 .LBB46_28
.LBB46_13:                              ; =>This Loop Header: Depth=1
                                        ;     Child Loop BB46_15 Depth 2
	s_ashr_i32 s27, s26, 31
	s_lshl_b64 s[28:29], s[26:27], 2
	s_add_u32 s10, s12, s28
	s_addc_u32 s11, s13, s29
	s_load_dwordx2 s[30:31], s[10:11], 0x0
	v_mov_b32_e32 v2, 0
	s_waitcnt lgkmcnt(0)
	s_sub_i32 s27, s31, s24
	v_add_u32_e32 v1, s30, v8
	v_cmp_gt_i32_e32 vcc, s27, v1
	s_and_saveexec_b64 s[30:31], vcc
	s_cbranch_execz .LBB46_17
; %bb.14:                               ;   in Loop: Header=BB46_13 Depth=1
	v_ashrrev_i32_e32 v2, 31, v1
	v_lshlrev_b64 v[3:4], 2, v[1:2]
	v_mov_b32_e32 v5, s15
	v_add_co_u32_e32 v3, vcc, s14, v3
	v_addc_co_u32_e32 v4, vcc, v5, v4, vcc
	v_mov_b32_e32 v6, s17
	v_add_co_u32_e32 v5, vcc, s16, v1
	v_addc_co_u32_e32 v6, vcc, v6, v2, vcc
	v_mov_b32_e32 v2, 0
	s_mov_b64 s[34:35], 0
.LBB46_15:                              ;   Parent Loop BB46_13 Depth=1
                                        ; =>  This Inner Loop Header: Depth=2
	global_load_dword v10, v[3:4], off
	global_load_sbyte v12, v[5:6], off
	v_mov_b32_e32 v11, s19
	v_add_u32_e32 v1, 0x100, v1
	v_cmp_le_i32_e64 s[10:11], s27, v1
	s_or_b64 s[34:35], s[10:11], s[34:35]
	s_waitcnt vmcnt(1)
	v_subrev_u32_e32 v10, s24, v10
	v_ashrrev_i32_e32 v13, 31, v10
	v_add_co_u32_e32 v10, vcc, s18, v10
	v_addc_co_u32_e32 v11, vcc, v11, v13, vcc
	global_load_sbyte v10, v[10:11], off
	v_add_co_u32_e32 v3, vcc, 0x400, v3
	v_addc_co_u32_e32 v4, vcc, 0, v4, vcc
	v_add_co_u32_e32 v5, vcc, 0x100, v5
	v_addc_co_u32_e32 v6, vcc, 0, v6, vcc
	s_waitcnt vmcnt(0)
	v_mad_i32_i24 v2, v10, v12, v2
	s_andn2_b64 exec, exec, s[34:35]
	s_cbranch_execnz .LBB46_15
; %bb.16:                               ;   in Loop: Header=BB46_13 Depth=1
	s_or_b64 exec, exec, s[34:35]
.LBB46_17:                              ;   in Loop: Header=BB46_13 Depth=1
	s_or_b64 exec, exec, s[30:31]
	ds_write_b32 v7, v2
	s_waitcnt vmcnt(0) lgkmcnt(0)
	s_barrier
	ds_read2st64_b32 v[1:2], v7 offset1:4
	ds_read2st64_b32 v[3:4], v7 offset0:8 offset1:12
	s_waitcnt lgkmcnt(0)
	v_add_u32_e32 v2, v3, v2
	v_add3_u32 v1, v2, v4, v1
	ds_write_b32 v7, v1
	s_waitcnt lgkmcnt(0)
	s_barrier
	s_and_saveexec_b64 s[10:11], s[0:1]
	s_cbranch_execz .LBB46_19
; %bb.18:                               ;   in Loop: Header=BB46_13 Depth=1
	ds_read2st64_b32 v[1:2], v7 offset1:1
	ds_read2st64_b32 v[3:4], v7 offset0:2 offset1:3
	s_waitcnt lgkmcnt(0)
	v_add_u32_e32 v2, v3, v2
	v_add3_u32 v1, v2, v4, v1
	ds_write_b32 v7, v1
.LBB46_19:                              ;   in Loop: Header=BB46_13 Depth=1
	s_or_b64 exec, exec, s[10:11]
	s_waitcnt lgkmcnt(0)
	s_barrier
	s_and_saveexec_b64 s[10:11], s[2:3]
	s_cbranch_execz .LBB46_21
; %bb.20:                               ;   in Loop: Header=BB46_13 Depth=1
	ds_read2_b32 v[1:2], v7 offset1:16
	ds_read2_b32 v[3:4], v7 offset0:32 offset1:48
	s_waitcnt lgkmcnt(0)
	v_add_u32_e32 v2, v3, v2
	v_add3_u32 v1, v2, v4, v1
	ds_write_b32 v7, v1
.LBB46_21:                              ;   in Loop: Header=BB46_13 Depth=1
	s_or_b64 exec, exec, s[10:11]
	s_waitcnt lgkmcnt(0)
	s_barrier
	s_and_saveexec_b64 s[10:11], s[6:7]
	s_cbranch_execz .LBB46_23
; %bb.22:                               ;   in Loop: Header=BB46_13 Depth=1
	ds_read2_b32 v[1:2], v7 offset1:4
	ds_read2_b32 v[3:4], v7 offset0:8 offset1:12
	s_waitcnt lgkmcnt(0)
	v_add_u32_e32 v2, v3, v2
	v_add3_u32 v1, v2, v4, v1
	ds_write_b32 v7, v1
.LBB46_23:                              ;   in Loop: Header=BB46_13 Depth=1
	s_or_b64 exec, exec, s[10:11]
	s_waitcnt lgkmcnt(0)
	s_barrier
	s_and_saveexec_b64 s[10:11], s[8:9]
	s_cbranch_execz .LBB46_25
; %bb.24:                               ;   in Loop: Header=BB46_13 Depth=1
	ds_read2_b32 v[1:2], v9 offset0:1 offset1:2
	ds_read_b32 v3, v9 offset:12
	ds_read_b32 v4, v7
	s_waitcnt lgkmcnt(2)
	v_add_u32_e32 v1, v2, v1
	s_waitcnt lgkmcnt(1)
	v_add_u32_e32 v1, v1, v3
	;; [unrolled: 2-line block ×3, first 2 shown]
	ds_write_b32 v7, v1
.LBB46_25:                              ;   in Loop: Header=BB46_13 Depth=1
	s_or_b64 exec, exec, s[10:11]
	s_waitcnt lgkmcnt(0)
	s_barrier
	s_and_saveexec_b64 s[10:11], s[8:9]
	s_cbranch_execz .LBB46_12
; %bb.26:                               ;   in Loop: Header=BB46_13 Depth=1
	s_mov_b64 s[30:31], exec
	v_mbcnt_lo_u32_b32 v1, s30, 0
	v_mbcnt_hi_u32_b32 v1, s31, v1
	v_cmp_eq_u32_e32 vcc, 0, v1
	s_and_b64 s[34:35], exec, vcc
	s_mov_b64 exec, s[34:35]
	s_cbranch_execz .LBB46_12
; %bb.27:                               ;   in Loop: Header=BB46_13 Depth=1
	ds_read_b32 v1, v9
	s_add_u32 s28, s20, s28
	s_addc_u32 s29, s21, s29
	s_bcnt1_i32_b64 s27, s[30:31]
	s_waitcnt lgkmcnt(0)
	v_mul_lo_u32 v1, v1, s33
	v_mul_lo_u32 v1, v1, s27
	global_atomic_add v9, v1, s[28:29]
	s_branch .LBB46_12
.LBB46_28:
	s_ashr_i32 s1, s22, 31
	s_mov_b32 s0, s22
	s_lshl_b64 s[0:1], s[0:1], 2
	s_add_u32 s0, s12, s0
	s_addc_u32 s1, s13, s1
	s_ashr_i32 s3, s23, 31
	s_mov_b32 s2, s23
	s_lshl_b64 s[2:3], s[2:3], 2
	s_add_u32 s2, s12, s2
	s_addc_u32 s3, s13, s3
	s_load_dword s6, s[2:3], 0x0
	s_load_dword s7, s[0:1], 0x0
	s_waitcnt lgkmcnt(0)
	s_sub_i32 s26, s6, s24
	v_add_u32_e32 v1, s7, v8
	v_cmp_gt_i32_e32 vcc, s26, v1
	s_and_saveexec_b64 s[6:7], vcc
	s_cbranch_execz .LBB46_37
; %bb.29:
	s_add_i32 s27, s23, -1
	s_cmp_lt_i32 s22, s27
	s_cselect_b64 s[0:1], -1, 0
	s_add_i32 s2, s23, -2
	s_cmp_lg_u32 s22, s2
	s_cselect_b64 s[2:3], -1, 0
	s_and_b64 s[0:1], s[0:1], s[2:3]
	v_cndmask_b32_e64 v2, 0, 1, s[0:1]
	s_mov_b64 s[8:9], 0
	v_cmp_ne_u32_e64 s[0:1], 1, v2
	v_mov_b32_e32 v5, s13
	v_mov_b32_e32 v6, s15
	s_branch .LBB46_31
.LBB46_30:                              ;   in Loop: Header=BB46_31 Depth=1
	s_or_b64 exec, exec, s[2:3]
	v_add_u32_e32 v1, 0x100, v1
	v_cmp_le_i32_e32 vcc, s26, v1
	s_or_b64 s[8:9], vcc, s[8:9]
	s_andn2_b64 exec, exec, s[8:9]
	s_cbranch_execz .LBB46_37
.LBB46_31:                              ; =>This Loop Header: Depth=1
                                        ;     Child Loop BB46_33 Depth 2
	s_and_b64 vcc, exec, s[0:1]
	v_mov_b32_e32 v9, s22
	v_mov_b32_e32 v3, s27
	s_cbranch_vccnz .LBB46_35
; %bb.32:                               ;   in Loop: Header=BB46_31 Depth=1
	s_mov_b64 s[10:11], 0
	v_mov_b32_e32 v9, s22
	v_mov_b32_e32 v3, s27
.LBB46_33:                              ;   Parent Loop BB46_31 Depth=1
                                        ; =>  This Inner Loop Header: Depth=2
	v_add_u32_e32 v2, v3, v9
	v_lshrrev_b32_e32 v10, 31, v2
	v_add_u32_e32 v2, v2, v10
	v_ashrrev_i32_e32 v10, 1, v2
	v_ashrrev_i32_e32 v11, 31, v10
	v_lshlrev_b64 v[11:12], 2, v[10:11]
	v_mov_b32_e32 v4, s13
	v_add_co_u32_e32 v11, vcc, s12, v11
	v_addc_co_u32_e32 v12, vcc, v4, v12, vcc
	global_load_dword v2, v[11:12], off
	s_waitcnt vmcnt(0)
	v_subrev_u32_e32 v2, s24, v2
	v_cmp_lt_i32_e32 vcc, v1, v2
	v_cndmask_b32_e32 v3, v3, v10, vcc
	v_cndmask_b32_e32 v9, v10, v9, vcc
	v_add_u32_e32 v2, -1, v3
	v_cmp_ge_i32_e32 vcc, v9, v3
	v_cmp_eq_u32_e64 s[2:3], v9, v2
	s_or_b64 s[2:3], vcc, s[2:3]
	s_and_b64 s[2:3], exec, s[2:3]
	s_or_b64 s[10:11], s[2:3], s[10:11]
	s_andn2_b64 exec, exec, s[10:11]
	s_cbranch_execnz .LBB46_33
; %bb.34:                               ;   in Loop: Header=BB46_31 Depth=1
	s_or_b64 exec, exec, s[10:11]
.LBB46_35:                              ;   in Loop: Header=BB46_31 Depth=1
	v_ashrrev_i32_e32 v4, 31, v3
	v_lshlrev_b64 v[10:11], 2, v[3:4]
	v_ashrrev_i32_e32 v2, 31, v1
	v_add_co_u32_e32 v10, vcc, s12, v10
	v_addc_co_u32_e32 v11, vcc, v5, v11, vcc
	global_load_dword v4, v[10:11], off
	v_lshlrev_b64 v[10:11], 2, v[1:2]
	v_add_co_u32_e32 v10, vcc, s14, v10
	v_addc_co_u32_e32 v11, vcc, v6, v11, vcc
	global_load_dword v10, v[10:11], off
	s_waitcnt vmcnt(1)
	v_subrev_u32_e32 v4, s24, v4
	v_cmp_lt_i32_e32 vcc, v1, v4
	v_cndmask_b32_e32 v4, v3, v9, vcc
	s_waitcnt vmcnt(0)
	v_subrev_u32_e32 v3, s24, v10
	v_cmp_ne_u32_e32 vcc, v3, v4
	s_and_saveexec_b64 s[2:3], vcc
	s_cbranch_execz .LBB46_30
; %bb.36:                               ;   in Loop: Header=BB46_31 Depth=1
	v_mov_b32_e32 v10, s17
	v_add_co_u32_e32 v9, vcc, s16, v1
	v_addc_co_u32_e32 v10, vcc, v10, v2, vcc
	global_load_sbyte v2, v[9:10], off
	v_ashrrev_i32_e32 v10, 31, v4
	v_mov_b32_e32 v11, s19
	v_add_co_u32_e32 v9, vcc, s18, v4
	v_addc_co_u32_e32 v10, vcc, v11, v10, vcc
	global_load_sbyte v9, v[9:10], off
	v_ashrrev_i32_e32 v4, 31, v3
	v_mov_b32_e32 v11, s21
	s_waitcnt vmcnt(1)
	v_mul_lo_u32 v10, s33, v2
	v_lshlrev_b64 v[2:3], 2, v[3:4]
	v_add_co_u32_e32 v2, vcc, s20, v2
	v_addc_co_u32_e32 v3, vcc, v11, v3, vcc
	s_waitcnt vmcnt(0)
	v_mul_lo_u32 v4, v10, v9
	global_atomic_add v[2:3], v4, off
	s_branch .LBB46_30
.LBB46_37:
	s_or_b64 exec, exec, s[6:7]
	s_mov_b64 s[0:1], 0
.LBB46_38:
	s_and_b64 vcc, exec, s[0:1]
	s_cbranch_vccz .LBB46_145
; %bb.39:
	v_cvt_f32_u32_e32 v1, s25
	s_ashr_i32 s1, s22, 31
	s_mov_b32 s0, s22
	s_sub_i32 s2, 0, s25
	v_rcp_iflag_f32_e32 v1, v1
	s_lshl_b64 s[0:1], s[0:1], 2
	s_add_u32 s6, s12, s0
	s_addc_u32 s7, s13, s1
	v_mul_f32_e32 v1, 0x4f7ffffe, v1
	v_cvt_u32_f32_e32 v1, v1
	s_load_dword s28, s[6:7], 0x0
	s_load_dwordx2 s[8:9], s[4:5], 0x4
	s_load_dword s26, s[4:5], 0x64
	v_readfirstlane_b32 s27, v1
	s_waitcnt lgkmcnt(0)
	v_add_u32_e32 v1, s28, v8
	s_mul_i32 s2, s2, s27
	v_add_u32_e32 v6, 0x300, v1
	s_mul_hi_u32 s30, s27, s2
	v_cmp_le_i32_e32 vcc, s8, v6
	s_and_saveexec_b64 s[0:1], vcc
	s_xor_b64 s[2:3], exec, s[0:1]
	s_cbranch_execz .LBB46_44
; %bb.40:
	s_ashr_i32 s1, s23, 31
	s_mov_b32 s0, s23
	s_lshl_b64 s[0:1], s[0:1], 2
	s_add_u32 s0, s12, s0
	s_addc_u32 s1, s13, s1
	s_load_dword s0, s[0:1], 0x0
	s_waitcnt lgkmcnt(0)
	s_sub_i32 s8, s0, s28
	v_cmp_gt_i32_e64 s[0:1], s8, v0
	s_and_saveexec_b64 s[4:5], s[0:1]
	s_cbranch_execz .LBB46_43
; %bb.41:
	s_sub_i32 s29, s28, s24
	s_mov_b64 s[10:11], 0
	v_mov_b32_e32 v2, s17
	v_mov_b32_e32 v3, v7
	;; [unrolled: 1-line block ×3, first 2 shown]
.LBB46_42:                              ; =>This Inner Loop Header: Depth=1
	v_add_u32_e32 v5, s29, v4
	v_ashrrev_i32_e32 v9, 31, v5
	v_add_co_u32_e64 v8, s[0:1], s16, v5
	v_addc_co_u32_e64 v9, s[0:1], v2, v9, s[0:1]
	global_load_sbyte v5, v[8:9], off
	v_add_u32_e32 v4, 0x100, v4
	v_cmp_le_i32_e64 s[0:1], s8, v4
	s_or_b64 s[10:11], s[0:1], s[10:11]
	s_waitcnt vmcnt(0)
	v_mul_lo_u32 v5, s33, v5
	ds_write_b32 v3, v5
	v_add_u32_e32 v3, 0x400, v3
	s_andn2_b64 exec, exec, s[10:11]
	s_cbranch_execnz .LBB46_42
.LBB46_43:
	s_or_b64 exec, exec, s[4:5]
.LBB46_44:
	s_or_saveexec_b64 s[2:3], s[2:3]
	s_and_b32 s29, s26, 0xffff
	s_add_i32 s27, s27, s30
	v_ashrrev_i32_e32 v2, 31, v1
	s_xor_b64 exec, exec, s[2:3]
	s_cbranch_execz .LBB46_46
; %bb.45:
	v_mov_b32_e32 v4, s17
	v_add_co_u32_e64 v3, s[0:1], s16, v1
	v_addc_co_u32_e64 v4, s[0:1], v4, v2, s[0:1]
	global_load_sbyte v5, v[3:4], off
	global_load_sbyte v8, v[3:4], off offset:256
	global_load_sbyte v9, v[3:4], off offset:512
	;; [unrolled: 1-line block ×3, first 2 shown]
	s_waitcnt vmcnt(3)
	v_mul_lo_u32 v3, s33, v5
	s_waitcnt vmcnt(2)
	v_mul_lo_u32 v4, s33, v8
	;; [unrolled: 2-line block ×4, first 2 shown]
	ds_write2st64_b32 v7, v3, v4 offset1:4
	ds_write2st64_b32 v7, v5, v8 offset0:8 offset1:12
.LBB46_46:
	s_or_b64 exec, exec, s[2:3]
	s_mul_hi_u32 s8, s29, s27
	v_cmp_gt_i32_e64 s[0:1], s9, v0
	s_and_saveexec_b64 s[2:3], s[0:1]
	s_cbranch_execz .LBB46_49
; %bb.47:
	v_mov_b32_e32 v3, 0x1000
	v_lshl_add_u32 v3, v0, 2, v3
	s_mov_b64 s[4:5], 0
	v_mov_b32_e32 v4, 0
	v_mov_b32_e32 v5, v0
.LBB46_48:                              ; =>This Inner Loop Header: Depth=1
	v_add_u32_e32 v5, 0x100, v5
	v_cmp_le_i32_e64 s[0:1], s9, v5
	ds_write_b32 v3, v4
	s_or_b64 s[4:5], s[0:1], s[4:5]
	v_add_u32_e32 v3, 0x400, v3
	s_andn2_b64 exec, exec, s[4:5]
	s_cbranch_execnz .LBB46_48
.LBB46_49:
	s_or_b64 exec, exec, s[2:3]
	s_sub_i32 s0, s23, s9
	s_cmp_ge_i32 s23, s9
	s_cselect_b32 s30, s0, 0
	s_waitcnt vmcnt(0) lgkmcnt(0)
	s_barrier
	s_and_saveexec_b64 s[0:1], vcc
	s_xor_b64 s[4:5], exec, s[0:1]
	s_cbranch_execz .LBB46_66
; %bb.50:
	s_ashr_i32 s1, s23, 31
	s_mov_b32 s0, s23
	s_lshl_b64 s[0:1], s[0:1], 2
	s_add_u32 s0, s12, s0
	s_addc_u32 s1, s13, s1
	s_load_dword s0, s[0:1], 0x0
	s_waitcnt lgkmcnt(0)
	s_sub_i32 s31, s0, s28
	v_cmp_gt_i32_e32 vcc, s31, v0
	s_and_saveexec_b64 s[10:11], vcc
	s_cbranch_execz .LBB46_65
; %bb.51:
	s_add_i32 s33, s23, -1
	s_add_i32 s1, s23, -2
	s_cmp_lg_u32 s22, s1
	s_cselect_b64 s[2:3], -1, 0
	v_cndmask_b32_e64 v2, 0, 1, s[2:3]
	s_sub_i32 s34, s0, s24
	s_mov_b32 s35, 0
	s_mov_b64 s[16:17], 0
	v_cmp_ne_u32_e64 s[0:1], 1, v2
	v_mov_b32_e32 v6, s13
	v_mov_b32_e32 v8, s15
	;; [unrolled: 1-line block ×4, first 2 shown]
	s_branch .LBB46_54
.LBB46_52:                              ;   in Loop: Header=BB46_54 Depth=1
	s_or_b64 exec, exec, s[2:3]
.LBB46_53:                              ;   in Loop: Header=BB46_54 Depth=1
	s_or_b64 exec, exec, s[26:27]
	v_ashrrev_i32_e32 v4, 31, v3
	v_add_co_u32_e32 v3, vcc, s18, v3
	v_addc_co_u32_e32 v4, vcc, v9, v4, vcc
	global_load_sbyte v3, v[3:4], off
	s_addk_i32 s35, 0x100
	v_add_u32_e32 v4, s35, v0
	v_cmp_le_i32_e32 vcc, s31, v4
	s_or_b64 s[16:17], vcc, s[16:17]
	s_waitcnt vmcnt(0) lgkmcnt(0)
	v_mul_lo_u32 v3, v5, v3
	ds_write_b32 v2, v3
	s_andn2_b64 exec, exec, s[16:17]
	s_cbranch_execz .LBB46_65
.LBB46_54:                              ; =>This Loop Header: Depth=1
                                        ;     Child Loop BB46_56 Depth 2
	v_add_u32_e32 v2, s35, v1
	s_and_b64 vcc, exec, s[0:1]
	v_mov_b32_e32 v11, s22
	v_mov_b32_e32 v4, s33
	s_cbranch_vccnz .LBB46_58
; %bb.55:                               ;   in Loop: Header=BB46_54 Depth=1
	s_mov_b64 s[26:27], 0
	v_mov_b32_e32 v11, s22
	v_mov_b32_e32 v4, s33
.LBB46_56:                              ;   Parent Loop BB46_54 Depth=1
                                        ; =>  This Inner Loop Header: Depth=2
	v_add_u32_e32 v3, v4, v11
	v_lshrrev_b32_e32 v12, 31, v3
	v_add_u32_e32 v3, v3, v12
	v_ashrrev_i32_e32 v12, 1, v3
	v_ashrrev_i32_e32 v13, 31, v12
	v_lshlrev_b64 v[13:14], 2, v[12:13]
	v_mov_b32_e32 v5, s13
	v_add_co_u32_e32 v13, vcc, s12, v13
	v_addc_co_u32_e32 v14, vcc, v5, v14, vcc
	global_load_dword v3, v[13:14], off
	s_waitcnt vmcnt(0)
	v_subrev_u32_e32 v3, s24, v3
	v_cmp_lt_i32_e32 vcc, v2, v3
	v_cndmask_b32_e32 v4, v4, v12, vcc
	v_cndmask_b32_e32 v11, v12, v11, vcc
	v_add_u32_e32 v3, -1, v4
	v_cmp_ge_i32_e32 vcc, v11, v4
	v_cmp_eq_u32_e64 s[2:3], v11, v3
	s_or_b64 s[2:3], vcc, s[2:3]
	s_and_b64 s[2:3], exec, s[2:3]
	s_or_b64 s[26:27], s[2:3], s[26:27]
	s_andn2_b64 exec, exec, s[26:27]
	s_cbranch_execnz .LBB46_56
; %bb.57:                               ;   in Loop: Header=BB46_54 Depth=1
	s_or_b64 exec, exec, s[26:27]
.LBB46_58:                              ;   in Loop: Header=BB46_54 Depth=1
	v_ashrrev_i32_e32 v5, 31, v4
	v_lshlrev_b64 v[12:13], 2, v[4:5]
	v_ashrrev_i32_e32 v3, 31, v2
	v_add_co_u32_e32 v12, vcc, s12, v12
	v_addc_co_u32_e32 v13, vcc, v6, v13, vcc
	global_load_dword v5, v[12:13], off
	v_lshlrev_b64 v[12:13], 2, v[2:3]
	v_add_co_u32_e32 v12, vcc, s14, v12
	v_addc_co_u32_e32 v13, vcc, v8, v13, vcc
	global_load_dword v3, v[12:13], off
	v_cmp_le_i32_e32 vcc, s34, v2
	s_waitcnt vmcnt(1)
	v_subrev_u32_e32 v5, s24, v5
	v_cmp_lt_i32_e64 s[2:3], v2, v5
	v_cndmask_b32_e64 v4, v4, v11, s[2:3]
	v_lshl_add_u32 v2, s35, 2, v7
                                        ; implicit-def: $vgpr5
	s_waitcnt vmcnt(0)
	v_subrev_u32_e32 v3, s24, v3
	v_cmp_eq_u32_e64 s[2:3], v3, v4
	s_or_b64 s[2:3], s[2:3], vcc
	s_and_saveexec_b64 s[26:27], s[2:3]
	s_xor_b64 s[2:3], exec, s[26:27]
; %bb.59:                               ;   in Loop: Header=BB46_54 Depth=1
	ds_read_b32 v5, v2
                                        ; implicit-def: $vgpr4
; %bb.60:                               ;   in Loop: Header=BB46_54 Depth=1
	s_andn2_saveexec_b64 s[26:27], s[2:3]
	s_cbranch_execz .LBB46_53
; %bb.61:                               ;   in Loop: Header=BB46_54 Depth=1
	s_waitcnt lgkmcnt(0)
	v_ashrrev_i32_e32 v5, 31, v4
	v_mov_b32_e32 v11, s19
	v_add_co_u32_e32 v4, vcc, s18, v4
	v_addc_co_u32_e32 v5, vcc, v11, v5, vcc
	global_load_sbyte v4, v[4:5], off
	ds_read_b32 v5, v2
	v_cmp_gt_i32_e32 vcc, s30, v3
	v_cmp_le_i32_e64 s[2:3], s23, v3
	s_or_b64 s[2:3], vcc, s[2:3]
	s_waitcnt vmcnt(0) lgkmcnt(0)
	v_mul_lo_u32 v11, v5, v4
	s_and_saveexec_b64 s[36:37], s[2:3]
	s_xor_b64 s[2:3], exec, s[36:37]
	s_cbranch_execz .LBB46_63
; %bb.62:                               ;   in Loop: Header=BB46_54 Depth=1
	v_ashrrev_i32_e32 v4, 31, v3
	v_lshlrev_b64 v[12:13], 2, v[3:4]
	v_mov_b32_e32 v4, s21
	v_add_co_u32_e32 v12, vcc, s20, v12
	v_addc_co_u32_e32 v13, vcc, v4, v13, vcc
	global_atomic_add v[12:13], v11, off
                                        ; implicit-def: $vgpr11
.LBB46_63:                              ;   in Loop: Header=BB46_54 Depth=1
	s_andn2_saveexec_b64 s[2:3], s[2:3]
	s_cbranch_execz .LBB46_52
; %bb.64:                               ;   in Loop: Header=BB46_54 Depth=1
	v_subrev_u32_e32 v4, s30, v3
	v_lshl_add_u32 v4, v4, 2, v10
	ds_add_u32 v4, v11
	s_branch .LBB46_52
.LBB46_65:
	s_or_b64 exec, exec, s[10:11]
                                        ; implicit-def: $vgpr6
                                        ; implicit-def: $vgpr1
.LBB46_66:
	s_andn2_saveexec_b64 s[4:5], s[4:5]
	s_cbranch_execz .LBB46_120
; %bb.67:
	s_add_i32 s26, s23, -1
	s_add_i32 s0, s23, -2
	s_cmp_lg_u32 s22, s0
	s_cselect_b64 s[2:3], -1, 0
	s_cmp_eq_u32 s22, s0
	v_mov_b32_e32 v8, s22
	v_mov_b32_e32 v4, s26
	s_cbranch_scc1 .LBB46_71
; %bb.68:
	s_mov_b64 s[10:11], 0
	v_mov_b32_e32 v8, s22
	v_mov_b32_e32 v4, s26
	;; [unrolled: 1-line block ×3, first 2 shown]
.LBB46_69:                              ; =>This Inner Loop Header: Depth=1
	v_add_u32_e32 v5, v4, v8
	v_lshrrev_b32_e32 v9, 31, v5
	v_add_u32_e32 v5, v5, v9
	v_ashrrev_i32_e32 v9, 1, v5
	v_ashrrev_i32_e32 v10, 31, v9
	v_lshlrev_b64 v[10:11], 2, v[9:10]
	v_add_co_u32_e32 v10, vcc, s12, v10
	v_addc_co_u32_e32 v11, vcc, v3, v11, vcc
	global_load_dword v5, v[10:11], off
	s_waitcnt vmcnt(0)
	v_subrev_u32_e32 v5, s24, v5
	v_cmp_lt_i32_e32 vcc, v1, v5
	v_cndmask_b32_e32 v4, v4, v9, vcc
	v_cndmask_b32_e32 v8, v9, v8, vcc
	v_add_u32_e32 v5, -1, v4
	v_cmp_ge_i32_e32 vcc, v8, v4
	v_cmp_eq_u32_e64 s[0:1], v8, v5
	s_or_b64 s[0:1], vcc, s[0:1]
	s_and_b64 s[0:1], exec, s[0:1]
	s_or_b64 s[10:11], s[0:1], s[10:11]
	s_andn2_b64 exec, exec, s[10:11]
	s_cbranch_execnz .LBB46_69
; %bb.70:
	s_or_b64 exec, exec, s[10:11]
.LBB46_71:
	v_ashrrev_i32_e32 v5, 31, v4
	v_lshlrev_b64 v[9:10], 2, v[4:5]
	v_mov_b32_e32 v3, s13
	v_add_co_u32_e32 v9, vcc, s12, v9
	v_addc_co_u32_e32 v10, vcc, v3, v10, vcc
	v_lshlrev_b64 v[2:3], 2, v[1:2]
	global_load_dword v5, v[9:10], off
	v_mov_b32_e32 v9, s15
	v_add_co_u32_e32 v2, vcc, s14, v2
	v_addc_co_u32_e32 v3, vcc, v9, v3, vcc
	global_load_dword v9, v[2:3], off
	s_ashr_i32 s1, s23, 31
	s_mov_b32 s0, s23
	s_lshl_b64 s[0:1], s[0:1], 2
	s_add_u32 s10, s12, s0
	s_addc_u32 s11, s13, s1
	s_waitcnt vmcnt(1)
	v_subrev_u32_e32 v5, s24, v5
	v_cmp_lt_i32_e32 vcc, v1, v5
	v_cndmask_b32_e32 v5, v4, v8, vcc
	s_waitcnt vmcnt(0)
	v_subrev_u32_e32 v4, s24, v9
	v_cmp_ne_u32_e32 vcc, v4, v5
                                        ; implicit-def: $vgpr9
	s_and_saveexec_b64 s[0:1], vcc
	s_xor_b64 s[14:15], exec, s[0:1]
	s_cbranch_execz .LBB46_78
; %bb.72:
	s_load_dword s0, s[10:11], 0x0
	ds_read_b32 v9, v7
	s_waitcnt lgkmcnt(0)
	s_sub_i32 s0, s0, s24
	v_cmp_gt_i32_e32 vcc, s0, v1
	s_and_saveexec_b64 s[16:17], vcc
	s_cbranch_execz .LBB46_77
; %bb.73:
	v_ashrrev_i32_e32 v8, 31, v5
	v_mov_b32_e32 v11, s19
	v_add_co_u32_e32 v10, vcc, s18, v5
	v_addc_co_u32_e32 v11, vcc, v11, v8, vcc
	global_load_sbyte v5, v[10:11], off
	v_cmp_gt_i32_e32 vcc, s30, v4
	v_cmp_le_i32_e64 s[0:1], s23, v4
	s_or_b64 s[0:1], vcc, s[0:1]
	s_waitcnt vmcnt(0)
	v_mul_lo_u32 v8, v9, v5
	s_and_saveexec_b64 s[34:35], s[0:1]
	s_xor_b64 s[0:1], exec, s[34:35]
	s_cbranch_execz .LBB46_75
; %bb.74:
	v_ashrrev_i32_e32 v5, 31, v4
	v_lshlrev_b64 v[10:11], 2, v[4:5]
	v_mov_b32_e32 v5, s21
	v_add_co_u32_e32 v10, vcc, s20, v10
	v_addc_co_u32_e32 v11, vcc, v5, v11, vcc
	global_atomic_add v[10:11], v8, off
                                        ; implicit-def: $vgpr8
.LBB46_75:
	s_andn2_saveexec_b64 s[0:1], s[0:1]
; %bb.76:
	v_subrev_u32_e32 v5, s30, v4
	v_mov_b32_e32 v10, 0x1000
	v_lshl_add_u32 v5, v5, 2, v10
	ds_add_u32 v5, v8
.LBB46_77:
	s_or_b64 exec, exec, s[16:17]
.LBB46_78:
	s_andn2_saveexec_b64 s[0:1], s[14:15]
; %bb.79:
	ds_read_b32 v9, v7
; %bb.80:
	s_or_b64 exec, exec, s[0:1]
	v_ashrrev_i32_e32 v5, 31, v4
	v_mov_b32_e32 v8, s19
	v_add_co_u32_e32 v4, vcc, s18, v4
	v_addc_co_u32_e32 v5, vcc, v8, v5, vcc
	global_load_sbyte v4, v[4:5], off
	v_cndmask_b32_e64 v5, 0, 1, s[2:3]
	v_add_u32_e32 v8, 0x100, v1
	v_cmp_ne_u32_e64 s[0:1], 1, v5
	s_andn2_b64 vcc, exec, s[2:3]
	s_waitcnt vmcnt(0) lgkmcnt(0)
	v_mul_lo_u32 v4, v9, v4
	v_mov_b32_e32 v9, s22
	ds_write_b32 v7, v4
	v_mov_b32_e32 v4, s26
	s_cbranch_vccnz .LBB46_84
; %bb.81:
	s_mov_b64 s[14:15], 0
	v_mov_b32_e32 v9, s22
	v_mov_b32_e32 v4, s26
	;; [unrolled: 1-line block ×3, first 2 shown]
.LBB46_82:                              ; =>This Inner Loop Header: Depth=1
	v_add_u32_e32 v10, v4, v9
	v_lshrrev_b32_e32 v11, 31, v10
	v_add_u32_e32 v10, v10, v11
	v_ashrrev_i32_e32 v10, 1, v10
	v_ashrrev_i32_e32 v11, 31, v10
	v_lshlrev_b64 v[11:12], 2, v[10:11]
	v_add_co_u32_e32 v11, vcc, s12, v11
	v_addc_co_u32_e32 v12, vcc, v5, v12, vcc
	global_load_dword v11, v[11:12], off
	s_waitcnt vmcnt(0)
	v_subrev_u32_e32 v11, s24, v11
	v_cmp_lt_i32_e32 vcc, v8, v11
	v_cndmask_b32_e32 v4, v4, v10, vcc
	v_cndmask_b32_e32 v9, v10, v9, vcc
	v_add_u32_e32 v10, -1, v4
	v_cmp_ge_i32_e32 vcc, v9, v4
	v_cmp_eq_u32_e64 s[2:3], v9, v10
	s_or_b64 s[2:3], vcc, s[2:3]
	s_and_b64 s[2:3], exec, s[2:3]
	s_or_b64 s[14:15], s[2:3], s[14:15]
	s_andn2_b64 exec, exec, s[14:15]
	s_cbranch_execnz .LBB46_82
; %bb.83:
	s_or_b64 exec, exec, s[14:15]
.LBB46_84:
	v_ashrrev_i32_e32 v5, 31, v4
	v_lshlrev_b64 v[10:11], 2, v[4:5]
	v_mov_b32_e32 v5, s13
	v_add_co_u32_e32 v10, vcc, s12, v10
	v_addc_co_u32_e32 v11, vcc, v5, v11, vcc
	global_load_dword v5, v[10:11], off
	global_load_dword v12, v[2:3], off offset:1024
	s_waitcnt vmcnt(1)
	v_subrev_u32_e32 v5, s24, v5
	v_cmp_lt_i32_e32 vcc, v8, v5
	v_cndmask_b32_e32 v5, v4, v9, vcc
	s_waitcnt vmcnt(0)
	v_subrev_u32_e32 v4, s24, v12
	v_cmp_ne_u32_e32 vcc, v4, v5
                                        ; implicit-def: $vgpr9
	s_and_saveexec_b64 s[2:3], vcc
	s_xor_b64 s[14:15], exec, s[2:3]
	s_cbranch_execz .LBB46_91
; %bb.85:
	s_load_dword s2, s[10:11], 0x0
	ds_read_b32 v9, v7 offset:1024
	s_waitcnt lgkmcnt(0)
	s_sub_i32 s2, s2, s24
	v_cmp_gt_i32_e32 vcc, s2, v8
	s_and_saveexec_b64 s[16:17], vcc
	s_cbranch_execz .LBB46_90
; %bb.86:
	v_ashrrev_i32_e32 v8, 31, v5
	v_mov_b32_e32 v11, s19
	v_add_co_u32_e32 v10, vcc, s18, v5
	v_addc_co_u32_e32 v11, vcc, v11, v8, vcc
	global_load_sbyte v5, v[10:11], off
	v_cmp_gt_i32_e32 vcc, s30, v4
	v_cmp_le_i32_e64 s[2:3], s23, v4
	s_or_b64 s[2:3], vcc, s[2:3]
	s_waitcnt vmcnt(0)
	v_mul_lo_u32 v8, v9, v5
	s_and_saveexec_b64 s[34:35], s[2:3]
	s_xor_b64 s[2:3], exec, s[34:35]
	s_cbranch_execz .LBB46_88
; %bb.87:
	v_ashrrev_i32_e32 v5, 31, v4
	v_lshlrev_b64 v[10:11], 2, v[4:5]
	v_mov_b32_e32 v5, s21
	v_add_co_u32_e32 v10, vcc, s20, v10
	v_addc_co_u32_e32 v11, vcc, v5, v11, vcc
	global_atomic_add v[10:11], v8, off
                                        ; implicit-def: $vgpr8
.LBB46_88:
	s_andn2_saveexec_b64 s[2:3], s[2:3]
; %bb.89:
	v_subrev_u32_e32 v5, s30, v4
	v_mov_b32_e32 v10, 0x1000
	v_lshl_add_u32 v5, v5, 2, v10
	ds_add_u32 v5, v8
.LBB46_90:
	s_or_b64 exec, exec, s[16:17]
.LBB46_91:
	s_andn2_saveexec_b64 s[2:3], s[14:15]
; %bb.92:
	ds_read_b32 v9, v7 offset:1024
; %bb.93:
	s_or_b64 exec, exec, s[2:3]
	v_ashrrev_i32_e32 v5, 31, v4
	v_mov_b32_e32 v8, s19
	v_add_co_u32_e32 v4, vcc, s18, v4
	v_addc_co_u32_e32 v5, vcc, v8, v5, vcc
	global_load_sbyte v4, v[4:5], off
	v_add_u32_e32 v1, 0x200, v1
	s_and_b64 vcc, exec, s[0:1]
	v_mov_b32_e32 v8, s22
	s_waitcnt vmcnt(0) lgkmcnt(0)
	v_mul_lo_u32 v4, v9, v4
	ds_write_b32 v7, v4 offset:1024
	v_mov_b32_e32 v4, s26
	s_cbranch_vccnz .LBB46_97
; %bb.94:
	s_mov_b64 s[14:15], 0
	v_mov_b32_e32 v8, s22
	v_mov_b32_e32 v4, s26
	;; [unrolled: 1-line block ×3, first 2 shown]
.LBB46_95:                              ; =>This Inner Loop Header: Depth=1
	v_add_u32_e32 v9, v4, v8
	v_lshrrev_b32_e32 v10, 31, v9
	v_add_u32_e32 v9, v9, v10
	v_ashrrev_i32_e32 v9, 1, v9
	v_ashrrev_i32_e32 v10, 31, v9
	v_lshlrev_b64 v[10:11], 2, v[9:10]
	v_add_co_u32_e32 v10, vcc, s12, v10
	v_addc_co_u32_e32 v11, vcc, v5, v11, vcc
	global_load_dword v10, v[10:11], off
	s_waitcnt vmcnt(0)
	v_subrev_u32_e32 v10, s24, v10
	v_cmp_lt_i32_e32 vcc, v1, v10
	v_cndmask_b32_e32 v4, v4, v9, vcc
	v_cndmask_b32_e32 v8, v9, v8, vcc
	v_add_u32_e32 v9, -1, v4
	v_cmp_ge_i32_e32 vcc, v8, v4
	v_cmp_eq_u32_e64 s[2:3], v8, v9
	s_or_b64 s[2:3], vcc, s[2:3]
	s_and_b64 s[2:3], exec, s[2:3]
	s_or_b64 s[14:15], s[2:3], s[14:15]
	s_andn2_b64 exec, exec, s[14:15]
	s_cbranch_execnz .LBB46_95
; %bb.96:
	s_or_b64 exec, exec, s[14:15]
.LBB46_97:
	v_ashrrev_i32_e32 v5, 31, v4
	v_lshlrev_b64 v[9:10], 2, v[4:5]
	v_mov_b32_e32 v5, s13
	v_add_co_u32_e32 v9, vcc, s12, v9
	v_addc_co_u32_e32 v10, vcc, v5, v10, vcc
	global_load_dword v5, v[9:10], off
	global_load_dword v11, v[2:3], off offset:2048
	s_waitcnt vmcnt(1)
	v_subrev_u32_e32 v5, s24, v5
	v_cmp_lt_i32_e32 vcc, v1, v5
	v_cndmask_b32_e32 v5, v4, v8, vcc
	s_waitcnt vmcnt(0)
	v_subrev_u32_e32 v4, s24, v11
	v_cmp_ne_u32_e32 vcc, v4, v5
                                        ; implicit-def: $vgpr8
	s_and_saveexec_b64 s[2:3], vcc
	s_xor_b64 s[14:15], exec, s[2:3]
	s_cbranch_execz .LBB46_104
; %bb.98:
	s_load_dword s2, s[10:11], 0x0
	ds_read_b32 v8, v7 offset:2048
	s_waitcnt lgkmcnt(0)
	s_sub_i32 s2, s2, s24
	v_cmp_gt_i32_e32 vcc, s2, v1
	s_and_saveexec_b64 s[16:17], vcc
	s_cbranch_execz .LBB46_103
; %bb.99:
	v_ashrrev_i32_e32 v1, 31, v5
	v_mov_b32_e32 v10, s19
	v_add_co_u32_e32 v9, vcc, s18, v5
	v_addc_co_u32_e32 v10, vcc, v10, v1, vcc
	global_load_sbyte v1, v[9:10], off
	v_cmp_gt_i32_e32 vcc, s30, v4
	v_cmp_le_i32_e64 s[2:3], s23, v4
	s_or_b64 s[2:3], vcc, s[2:3]
	s_waitcnt vmcnt(0)
	v_mul_lo_u32 v1, v8, v1
	s_and_saveexec_b64 s[34:35], s[2:3]
	s_xor_b64 s[2:3], exec, s[34:35]
	s_cbranch_execz .LBB46_101
; %bb.100:
	v_ashrrev_i32_e32 v5, 31, v4
	v_lshlrev_b64 v[9:10], 2, v[4:5]
	v_mov_b32_e32 v5, s21
	v_add_co_u32_e32 v9, vcc, s20, v9
	v_addc_co_u32_e32 v10, vcc, v5, v10, vcc
	global_atomic_add v[9:10], v1, off
                                        ; implicit-def: $vgpr1
.LBB46_101:
	s_andn2_saveexec_b64 s[2:3], s[2:3]
; %bb.102:
	v_subrev_u32_e32 v5, s30, v4
	v_mov_b32_e32 v9, 0x1000
	v_lshl_add_u32 v5, v5, 2, v9
	ds_add_u32 v5, v1
.LBB46_103:
	s_or_b64 exec, exec, s[16:17]
.LBB46_104:
	s_andn2_saveexec_b64 s[2:3], s[14:15]
; %bb.105:
	ds_read_b32 v8, v7 offset:2048
; %bb.106:
	s_or_b64 exec, exec, s[2:3]
	v_ashrrev_i32_e32 v1, 31, v4
	v_mov_b32_e32 v5, s19
	v_add_co_u32_e32 v4, vcc, s18, v4
	v_addc_co_u32_e32 v5, vcc, v5, v1, vcc
	global_load_sbyte v1, v[4:5], off
	s_and_b64 vcc, exec, s[0:1]
	s_waitcnt vmcnt(0) lgkmcnt(0)
	v_mul_lo_u32 v4, v8, v1
	v_mov_b32_e32 v1, s22
	ds_write_b32 v7, v4 offset:2048
	v_mov_b32_e32 v4, s26
	s_cbranch_vccnz .LBB46_110
; %bb.107:
	s_mov_b64 s[2:3], 0
	v_mov_b32_e32 v1, s22
	v_mov_b32_e32 v4, s26
	;; [unrolled: 1-line block ×3, first 2 shown]
.LBB46_108:                             ; =>This Inner Loop Header: Depth=1
	v_add_u32_e32 v8, v4, v1
	v_lshrrev_b32_e32 v9, 31, v8
	v_add_u32_e32 v8, v8, v9
	v_ashrrev_i32_e32 v8, 1, v8
	v_ashrrev_i32_e32 v9, 31, v8
	v_lshlrev_b64 v[9:10], 2, v[8:9]
	v_add_co_u32_e32 v9, vcc, s12, v9
	v_addc_co_u32_e32 v10, vcc, v5, v10, vcc
	global_load_dword v9, v[9:10], off
	s_waitcnt vmcnt(0)
	v_subrev_u32_e32 v9, s24, v9
	v_cmp_lt_i32_e32 vcc, v6, v9
	v_cndmask_b32_e32 v4, v4, v8, vcc
	v_cndmask_b32_e32 v1, v8, v1, vcc
	v_add_u32_e32 v8, -1, v4
	v_cmp_ge_i32_e32 vcc, v1, v4
	v_cmp_eq_u32_e64 s[0:1], v1, v8
	s_or_b64 s[0:1], vcc, s[0:1]
	s_and_b64 s[0:1], exec, s[0:1]
	s_or_b64 s[2:3], s[0:1], s[2:3]
	s_andn2_b64 exec, exec, s[2:3]
	s_cbranch_execnz .LBB46_108
; %bb.109:
	s_or_b64 exec, exec, s[2:3]
.LBB46_110:
	v_ashrrev_i32_e32 v5, 31, v4
	v_lshlrev_b64 v[8:9], 2, v[4:5]
	v_mov_b32_e32 v5, s13
	v_add_co_u32_e32 v8, vcc, s12, v8
	v_addc_co_u32_e32 v9, vcc, v5, v9, vcc
	global_load_dword v5, v[8:9], off
	global_load_dword v10, v[2:3], off offset:3072
                                        ; implicit-def: $vgpr3
	s_waitcnt vmcnt(1)
	v_subrev_u32_e32 v2, s24, v5
	v_cmp_lt_i32_e32 vcc, v6, v2
	v_cndmask_b32_e32 v2, v4, v1, vcc
	s_waitcnt vmcnt(0)
	v_subrev_u32_e32 v1, s24, v10
	v_cmp_ne_u32_e32 vcc, v1, v2
	s_and_saveexec_b64 s[0:1], vcc
	s_xor_b64 s[2:3], exec, s[0:1]
	s_cbranch_execz .LBB46_117
; %bb.111:
	s_load_dword s0, s[10:11], 0x0
	ds_read_b32 v3, v7 offset:3072
	s_waitcnt lgkmcnt(0)
	s_sub_i32 s0, s0, s24
	v_cmp_gt_i32_e32 vcc, s0, v6
	s_and_saveexec_b64 s[10:11], vcc
	s_cbranch_execz .LBB46_116
; %bb.112:
	v_ashrrev_i32_e32 v5, 31, v2
	v_mov_b32_e32 v6, s19
	v_add_co_u32_e32 v4, vcc, s18, v2
	v_addc_co_u32_e32 v5, vcc, v6, v5, vcc
	global_load_sbyte v2, v[4:5], off
	v_cmp_gt_i32_e32 vcc, s30, v1
	v_cmp_le_i32_e64 s[0:1], s23, v1
	s_or_b64 s[0:1], vcc, s[0:1]
	s_waitcnt vmcnt(0)
	v_mul_lo_u32 v4, v3, v2
	s_and_saveexec_b64 s[14:15], s[0:1]
	s_xor_b64 s[0:1], exec, s[14:15]
	s_cbranch_execz .LBB46_114
; %bb.113:
	v_ashrrev_i32_e32 v2, 31, v1
	v_lshlrev_b64 v[5:6], 2, v[1:2]
	v_mov_b32_e32 v2, s21
	v_add_co_u32_e32 v5, vcc, s20, v5
	v_addc_co_u32_e32 v6, vcc, v2, v6, vcc
	global_atomic_add v[5:6], v4, off
                                        ; implicit-def: $vgpr4
.LBB46_114:
	s_andn2_saveexec_b64 s[0:1], s[0:1]
; %bb.115:
	v_subrev_u32_e32 v2, s30, v1
	v_mov_b32_e32 v5, 0x1000
	v_lshl_add_u32 v2, v2, 2, v5
	ds_add_u32 v2, v4
.LBB46_116:
	s_or_b64 exec, exec, s[10:11]
.LBB46_117:
	s_andn2_saveexec_b64 s[0:1], s[2:3]
; %bb.118:
	ds_read_b32 v3, v7 offset:3072
; %bb.119:
	s_or_b64 exec, exec, s[0:1]
	v_ashrrev_i32_e32 v2, 31, v1
	v_mov_b32_e32 v4, s19
	v_add_co_u32_e32 v1, vcc, s18, v1
	v_addc_co_u32_e32 v2, vcc, v4, v2, vcc
	global_load_sbyte v1, v[1:2], off
	s_waitcnt vmcnt(0) lgkmcnt(0)
	v_mul_lo_u32 v1, v3, v1
	ds_write_b32 v7, v1 offset:3072
.LBB46_120:
	s_or_b64 exec, exec, s[4:5]
	s_min_i32 s4, s23, s9
	s_sub_i32 s10, s4, s25
	v_cmp_gt_i32_e32 vcc, s10, v0
	s_waitcnt lgkmcnt(0)
	s_barrier
	s_and_saveexec_b64 s[0:1], vcc
	s_cbranch_execz .LBB46_123
; %bb.121:
	v_mov_b32_e32 v1, 0x1000
	v_lshl_add_u32 v1, v0, 2, v1
	s_mov_b64 s[2:3], 0
	v_mov_b32_e32 v2, s21
	v_mov_b32_e32 v3, v0
.LBB46_122:                             ; =>This Inner Loop Header: Depth=1
	v_add_u32_e32 v4, s30, v3
	ds_read_b32 v6, v1
	v_ashrrev_i32_e32 v5, 31, v4
	v_lshlrev_b64 v[4:5], 2, v[4:5]
	v_add_u32_e32 v3, 0x100, v3
	v_add_co_u32_e32 v4, vcc, s20, v4
	v_addc_co_u32_e32 v5, vcc, v2, v5, vcc
	s_waitcnt lgkmcnt(0)
	global_atomic_add v[4:5], v6, off
	v_cmp_le_i32_e32 vcc, s10, v3
	s_or_b64 s[2:3], vcc, s[2:3]
	v_add_u32_e32 v1, 0x400, v1
	s_andn2_b64 exec, exec, s[2:3]
	s_cbranch_execnz .LBB46_122
.LBB46_123:
	s_or_b64 exec, exec, s[0:1]
	s_mul_i32 s0, s8, s25
	s_sub_i32 s0, s29, s0
	s_add_i32 s1, s8, 1
	s_sub_i32 s2, s0, s25
	s_cmp_ge_u32 s0, s25
	s_cselect_b32 s1, s1, s8
	s_cselect_b32 s0, s2, s0
	s_add_i32 s2, s1, 1
	s_cmp_ge_u32 s0, s25
	s_cselect_b32 s0, s2, s1
	s_add_i32 s0, s0, -1
	s_ashr_i32 s1, s0, 1
	s_or_b32 s0, s1, s0
	s_ashr_i32 s1, s0, 2
	s_or_b32 s0, s1, s0
	;; [unrolled: 2-line block ×5, first 2 shown]
	s_add_i32 s0, s0, 1
	s_ashr_i32 s11, s0, 1
	v_add_u32_e32 v1, s22, v0
	s_cmp_gt_i32 s11, 1
	s_mov_b64 s[0:1], -1
	s_waitcnt vmcnt(0)
	s_barrier
	s_cbranch_scc1 .LBB46_132
; %bb.124:
	v_cmp_gt_i32_e32 vcc, s23, v1
	s_and_saveexec_b64 s[0:1], vcc
	s_cbranch_execz .LBB46_131
; %bb.125:
	s_sub_i32 s2, s4, s23
	s_lshl_b32 s2, s2, 2
	s_add_i32 s14, s2, 0x1000
	s_lshl_b32 s2, s28, 2
	s_sub_i32 s15, 0, s2
	s_mov_b64 s[2:3], 0
	v_mov_b32_e32 v8, s13
	v_mov_b32_e32 v9, s21
	v_mov_b32_e32 v2, v1
	s_branch .LBB46_127
.LBB46_126:                             ;   in Loop: Header=BB46_127 Depth=1
	s_or_b64 exec, exec, s[4:5]
	v_lshl_add_u32 v5, v2, 2, s14
	ds_read_b32 v5, v5
	v_add_co_u32_e32 v3, vcc, s20, v3
	v_addc_co_u32_e32 v4, vcc, v9, v4, vcc
	s_waitcnt lgkmcnt(0)
	v_add_u32_e32 v5, v5, v10
	global_atomic_add v[3:4], v5, off
	v_add_u32_e32 v2, s29, v2
	v_cmp_le_i32_e32 vcc, s23, v2
	s_or_b64 s[2:3], vcc, s[2:3]
	s_andn2_b64 exec, exec, s[2:3]
	s_cbranch_execz .LBB46_131
.LBB46_127:                             ; =>This Loop Header: Depth=1
                                        ;     Child Loop BB46_129 Depth 2
	v_ashrrev_i32_e32 v3, 31, v2
	v_lshlrev_b64 v[3:4], 2, v[2:3]
	v_mov_b32_e32 v10, 0
	v_add_co_u32_e32 v5, vcc, s12, v3
	v_addc_co_u32_e32 v6, vcc, v8, v4, vcc
	global_load_dwordx2 v[5:6], v[5:6], off
	s_waitcnt vmcnt(0)
	v_cmp_lt_i32_e32 vcc, v5, v6
	s_and_saveexec_b64 s[4:5], vcc
	s_cbranch_execz .LBB46_126
; %bb.128:                              ;   in Loop: Header=BB46_127 Depth=1
	v_subrev_u32_e32 v6, s28, v6
	v_subrev_u32_e32 v11, s28, v5
	v_lshl_add_u32 v5, v5, 2, s15
	v_mov_b32_e32 v10, 0
	s_mov_b64 s[8:9], 0
.LBB46_129:                             ;   Parent Loop BB46_127 Depth=1
                                        ; =>  This Inner Loop Header: Depth=2
	ds_read_b32 v12, v5
	v_add_u32_e32 v11, 1, v11
	v_cmp_ge_i32_e32 vcc, v11, v6
	v_add_u32_e32 v5, 4, v5
	s_or_b64 s[8:9], vcc, s[8:9]
	s_waitcnt lgkmcnt(0)
	v_add_u32_e32 v10, v12, v10
	s_andn2_b64 exec, exec, s[8:9]
	s_cbranch_execnz .LBB46_129
; %bb.130:                              ;   in Loop: Header=BB46_127 Depth=1
	s_or_b64 exec, exec, s[8:9]
	s_branch .LBB46_126
.LBB46_131:
	s_or_b64 exec, exec, s[0:1]
	s_mov_b64 s[0:1], 0
.LBB46_132:
	s_andn2_b64 vcc, exec, s[0:1]
	s_cbranch_vccnz .LBB46_145
; %bb.133:
	v_cvt_f32_u32_e32 v2, s11
	s_sub_i32 s0, 0, s11
	v_rcp_iflag_f32_e32 v2, v2
	v_mul_f32_e32 v2, 0x4f7ffffe, v2
	v_cvt_u32_f32_e32 v2, v2
	v_mul_lo_u32 v3, s0, v2
	v_mul_hi_u32 v3, v2, v3
	v_add_u32_e32 v2, v2, v3
	v_mul_hi_u32 v2, v0, v2
	v_mul_lo_u32 v3, v2, s11
	v_add_u32_e32 v4, 1, v2
	v_sub_u32_e32 v3, v0, v3
	v_cmp_le_u32_e32 vcc, s11, v3
	v_cndmask_b32_e32 v2, v2, v4, vcc
	v_subrev_u32_e32 v4, s11, v3
	v_cndmask_b32_e32 v3, v3, v4, vcc
	v_add_u32_e32 v4, 1, v2
	v_cmp_le_u32_e32 vcc, s11, v3
	v_cndmask_b32_e32 v4, v2, v4, vcc
	v_lshlrev_b32_e32 v2, 2, v4
	global_load_dwordx2 v[2:3], v2, s[6:7]
	v_cmp_gt_i32_e32 vcc, s25, v4
	v_mov_b32_e32 v4, 0
	s_and_saveexec_b64 s[0:1], vcc
	s_cbranch_execz .LBB46_141
; %bb.134:
	s_abs_i32 s4, s11
	v_cvt_f32_u32_e32 v4, s4
	s_sub_i32 s2, 0, s4
	s_waitcnt vmcnt(0)
	v_subrev_u32_e32 v5, s28, v3
	v_subrev_u32_e32 v2, s28, v2
	v_rcp_iflag_f32_e32 v4, v4
	v_sub_u32_e32 v10, v5, v2
	s_ashr_i32 s5, s11, 31
	v_mul_f32_e32 v4, 0x4f7ffffe, v4
	v_cvt_u32_f32_e32 v4, v4
	v_mul_lo_u32 v6, s2, v4
	v_mul_hi_u32 v3, v4, v6
	v_sub_u32_e32 v6, 0, v10
	v_max_i32_e32 v11, v10, v6
	v_add_u32_e32 v3, v4, v3
	v_mad_u64_u32 v[8:9], s[2:3], v11, v3, 0
	v_ashrrev_i32_e32 v8, 31, v10
	v_xor_b32_e32 v8, s5, v8
	v_mul_lo_u32 v3, v9, s4
	v_add_u32_e32 v10, 1, v9
	s_add_i32 s2, s11, -1
	v_and_b32_e32 v6, s2, v0
	v_sub_u32_e32 v3, v11, v3
	v_cmp_le_u32_e32 vcc, s4, v3
	v_cndmask_b32_e32 v9, v9, v10, vcc
	v_subrev_u32_e32 v10, s4, v3
	v_cndmask_b32_e32 v3, v3, v10, vcc
	v_add_u32_e32 v10, 1, v9
	v_cmp_le_u32_e32 vcc, s4, v3
	v_cndmask_b32_e32 v3, v9, v10, vcc
	v_xor_b32_e32 v3, v3, v8
	v_sub_u32_e32 v3, v3, v8
	v_mov_b32_e32 v4, 0
	v_cmp_lt_i32_e32 vcc, 0, v3
	v_lshlrev_b32_e32 v8, 2, v6
	s_and_saveexec_b64 s[2:3], vcc
	s_cbranch_execz .LBB46_138
; %bb.135:
	v_lshl_add_u32 v9, v2, 2, v8
	s_lshl_b32 s6, s11, 2
	v_mov_b32_e32 v4, 0
	s_mov_b64 s[4:5], 0
	v_mov_b32_e32 v10, v3
.LBB46_136:                             ; =>This Inner Loop Header: Depth=1
	ds_read_b32 v11, v9
	v_add_u32_e32 v10, -1, v10
	v_cmp_eq_u32_e32 vcc, 0, v10
	v_add_u32_e32 v9, s6, v9
	s_or_b64 s[4:5], vcc, s[4:5]
	s_waitcnt lgkmcnt(0)
	v_add_u32_e32 v4, v11, v4
	s_andn2_b64 exec, exec, s[4:5]
	s_cbranch_execnz .LBB46_136
; %bb.137:
	s_or_b64 exec, exec, s[4:5]
.LBB46_138:
	s_or_b64 exec, exec, s[2:3]
	v_mad_u64_u32 v[2:3], s[2:3], v3, s11, v[2:3]
	v_sub_u32_e32 v3, v5, v2
	v_cmp_lt_i32_e32 vcc, v6, v3
	s_and_saveexec_b64 s[2:3], vcc
	s_cbranch_execz .LBB46_140
; %bb.139:
	v_lshl_add_u32 v2, v2, 2, v8
	ds_read_b32 v2, v2
	s_waitcnt lgkmcnt(0)
	v_add_u32_e32 v4, v2, v4
.LBB46_140:
	s_or_b64 exec, exec, s[2:3]
.LBB46_141:
	s_or_b64 exec, exec, s[0:1]
	v_cmp_gt_i32_e32 vcc, s25, v0
	s_waitcnt vmcnt(0)
	s_barrier
	ds_write_b32 v7, v4
	s_waitcnt lgkmcnt(0)
	s_barrier
	s_and_saveexec_b64 s[0:1], vcc
	s_cbranch_execz .LBB46_145
; %bb.142:
	v_mul_lo_u32 v2, s11, v0
	v_mov_b32_e32 v3, 0
	v_lshlrev_b32_e32 v2, 2, v2
.LBB46_143:                             ; =>This Inner Loop Header: Depth=1
	ds_read_b32 v4, v2
	s_add_i32 s11, s11, -1
	v_add_u32_e32 v2, 4, v2
	s_cmp_eq_u32 s11, 0
	s_waitcnt lgkmcnt(0)
	v_add_u32_e32 v3, v4, v3
	s_cbranch_scc0 .LBB46_143
; %bb.144:
	s_lshl_b32 s0, s10, 2
	s_addk_i32 s0, 0x1000
	v_lshl_add_u32 v0, v0, 2, s0
	ds_read_b32 v4, v0
	v_ashrrev_i32_e32 v2, 31, v1
	v_lshlrev_b64 v[0:1], 2, v[1:2]
	v_mov_b32_e32 v5, s21
	v_add_co_u32_e32 v0, vcc, s20, v0
	s_waitcnt lgkmcnt(0)
	v_add_u32_e32 v2, v4, v3
	v_addc_co_u32_e32 v1, vcc, v5, v1, vcc
	global_atomic_add v[0:1], v2, off
.LBB46_145:
	s_endpgm
	.section	.rodata,"a",@progbits
	.p2align	6, 0x0
	.amdhsa_kernel _ZN9rocsparseL27csrmvn_symm_adaptive_kernelIiiaaiiEEvbT_S1_PKS1_NS_24const_host_device_scalarIT4_EES3_PKT0_PKT1_PKT2_S6_PT3_21rocsparse_index_base_b
		.amdhsa_group_segment_fixed_size 4096
		.amdhsa_private_segment_fixed_size 0
		.amdhsa_kernarg_size 344
		.amdhsa_user_sgpr_count 6
		.amdhsa_user_sgpr_private_segment_buffer 1
		.amdhsa_user_sgpr_dispatch_ptr 0
		.amdhsa_user_sgpr_queue_ptr 0
		.amdhsa_user_sgpr_kernarg_segment_ptr 1
		.amdhsa_user_sgpr_dispatch_id 0
		.amdhsa_user_sgpr_flat_scratch_init 0
		.amdhsa_user_sgpr_private_segment_size 0
		.amdhsa_uses_dynamic_stack 0
		.amdhsa_system_sgpr_private_segment_wavefront_offset 0
		.amdhsa_system_sgpr_workgroup_id_x 1
		.amdhsa_system_sgpr_workgroup_id_y 0
		.amdhsa_system_sgpr_workgroup_id_z 0
		.amdhsa_system_sgpr_workgroup_info 0
		.amdhsa_system_vgpr_workitem_id 0
		.amdhsa_next_free_vgpr 15
		.amdhsa_next_free_sgpr 38
		.amdhsa_reserve_vcc 1
		.amdhsa_reserve_flat_scratch 0
		.amdhsa_float_round_mode_32 0
		.amdhsa_float_round_mode_16_64 0
		.amdhsa_float_denorm_mode_32 3
		.amdhsa_float_denorm_mode_16_64 3
		.amdhsa_dx10_clamp 1
		.amdhsa_ieee_mode 1
		.amdhsa_fp16_overflow 0
		.amdhsa_exception_fp_ieee_invalid_op 0
		.amdhsa_exception_fp_denorm_src 0
		.amdhsa_exception_fp_ieee_div_zero 0
		.amdhsa_exception_fp_ieee_overflow 0
		.amdhsa_exception_fp_ieee_underflow 0
		.amdhsa_exception_fp_ieee_inexact 0
		.amdhsa_exception_int_div_zero 0
	.end_amdhsa_kernel
	.section	.text._ZN9rocsparseL27csrmvn_symm_adaptive_kernelIiiaaiiEEvbT_S1_PKS1_NS_24const_host_device_scalarIT4_EES3_PKT0_PKT1_PKT2_S6_PT3_21rocsparse_index_base_b,"axG",@progbits,_ZN9rocsparseL27csrmvn_symm_adaptive_kernelIiiaaiiEEvbT_S1_PKS1_NS_24const_host_device_scalarIT4_EES3_PKT0_PKT1_PKT2_S6_PT3_21rocsparse_index_base_b,comdat
.Lfunc_end46:
	.size	_ZN9rocsparseL27csrmvn_symm_adaptive_kernelIiiaaiiEEvbT_S1_PKS1_NS_24const_host_device_scalarIT4_EES3_PKT0_PKT1_PKT2_S6_PT3_21rocsparse_index_base_b, .Lfunc_end46-_ZN9rocsparseL27csrmvn_symm_adaptive_kernelIiiaaiiEEvbT_S1_PKS1_NS_24const_host_device_scalarIT4_EES3_PKT0_PKT1_PKT2_S6_PT3_21rocsparse_index_base_b
                                        ; -- End function
	.set _ZN9rocsparseL27csrmvn_symm_adaptive_kernelIiiaaiiEEvbT_S1_PKS1_NS_24const_host_device_scalarIT4_EES3_PKT0_PKT1_PKT2_S6_PT3_21rocsparse_index_base_b.num_vgpr, 15
	.set _ZN9rocsparseL27csrmvn_symm_adaptive_kernelIiiaaiiEEvbT_S1_PKS1_NS_24const_host_device_scalarIT4_EES3_PKT0_PKT1_PKT2_S6_PT3_21rocsparse_index_base_b.num_agpr, 0
	.set _ZN9rocsparseL27csrmvn_symm_adaptive_kernelIiiaaiiEEvbT_S1_PKS1_NS_24const_host_device_scalarIT4_EES3_PKT0_PKT1_PKT2_S6_PT3_21rocsparse_index_base_b.numbered_sgpr, 38
	.set _ZN9rocsparseL27csrmvn_symm_adaptive_kernelIiiaaiiEEvbT_S1_PKS1_NS_24const_host_device_scalarIT4_EES3_PKT0_PKT1_PKT2_S6_PT3_21rocsparse_index_base_b.num_named_barrier, 0
	.set _ZN9rocsparseL27csrmvn_symm_adaptive_kernelIiiaaiiEEvbT_S1_PKS1_NS_24const_host_device_scalarIT4_EES3_PKT0_PKT1_PKT2_S6_PT3_21rocsparse_index_base_b.private_seg_size, 0
	.set _ZN9rocsparseL27csrmvn_symm_adaptive_kernelIiiaaiiEEvbT_S1_PKS1_NS_24const_host_device_scalarIT4_EES3_PKT0_PKT1_PKT2_S6_PT3_21rocsparse_index_base_b.uses_vcc, 1
	.set _ZN9rocsparseL27csrmvn_symm_adaptive_kernelIiiaaiiEEvbT_S1_PKS1_NS_24const_host_device_scalarIT4_EES3_PKT0_PKT1_PKT2_S6_PT3_21rocsparse_index_base_b.uses_flat_scratch, 0
	.set _ZN9rocsparseL27csrmvn_symm_adaptive_kernelIiiaaiiEEvbT_S1_PKS1_NS_24const_host_device_scalarIT4_EES3_PKT0_PKT1_PKT2_S6_PT3_21rocsparse_index_base_b.has_dyn_sized_stack, 0
	.set _ZN9rocsparseL27csrmvn_symm_adaptive_kernelIiiaaiiEEvbT_S1_PKS1_NS_24const_host_device_scalarIT4_EES3_PKT0_PKT1_PKT2_S6_PT3_21rocsparse_index_base_b.has_recursion, 0
	.set _ZN9rocsparseL27csrmvn_symm_adaptive_kernelIiiaaiiEEvbT_S1_PKS1_NS_24const_host_device_scalarIT4_EES3_PKT0_PKT1_PKT2_S6_PT3_21rocsparse_index_base_b.has_indirect_call, 0
	.section	.AMDGPU.csdata,"",@progbits
; Kernel info:
; codeLenInByte = 5608
; TotalNumSgprs: 42
; NumVgprs: 15
; ScratchSize: 0
; MemoryBound: 0
; FloatMode: 240
; IeeeMode: 1
; LDSByteSize: 4096 bytes/workgroup (compile time only)
; SGPRBlocks: 5
; VGPRBlocks: 3
; NumSGPRsForWavesPerEU: 42
; NumVGPRsForWavesPerEU: 15
; Occupancy: 10
; WaveLimiterHint : 1
; COMPUTE_PGM_RSRC2:SCRATCH_EN: 0
; COMPUTE_PGM_RSRC2:USER_SGPR: 6
; COMPUTE_PGM_RSRC2:TRAP_HANDLER: 0
; COMPUTE_PGM_RSRC2:TGID_X_EN: 1
; COMPUTE_PGM_RSRC2:TGID_Y_EN: 0
; COMPUTE_PGM_RSRC2:TGID_Z_EN: 0
; COMPUTE_PGM_RSRC2:TIDIG_COMP_CNT: 0
	.section	.text._ZL33csrmvn_symm_large_adaptive_kernelIiiaaiiEvbT_PKS0_N9rocsparse24const_host_device_scalarIT4_EES2_PKT0_PKT1_PKT2_S6_PT3_21rocsparse_index_base_b,"axG",@progbits,_ZL33csrmvn_symm_large_adaptive_kernelIiiaaiiEvbT_PKS0_N9rocsparse24const_host_device_scalarIT4_EES2_PKT0_PKT1_PKT2_S6_PT3_21rocsparse_index_base_b,comdat
	.globl	_ZL33csrmvn_symm_large_adaptive_kernelIiiaaiiEvbT_PKS0_N9rocsparse24const_host_device_scalarIT4_EES2_PKT0_PKT1_PKT2_S6_PT3_21rocsparse_index_base_b ; -- Begin function _ZL33csrmvn_symm_large_adaptive_kernelIiiaaiiEvbT_PKS0_N9rocsparse24const_host_device_scalarIT4_EES2_PKT0_PKT1_PKT2_S6_PT3_21rocsparse_index_base_b
	.p2align	8
	.type	_ZL33csrmvn_symm_large_adaptive_kernelIiiaaiiEvbT_PKS0_N9rocsparse24const_host_device_scalarIT4_EES2_PKT0_PKT1_PKT2_S6_PT3_21rocsparse_index_base_b,@function
_ZL33csrmvn_symm_large_adaptive_kernelIiiaaiiEvbT_PKS0_N9rocsparse24const_host_device_scalarIT4_EES2_PKT0_PKT1_PKT2_S6_PT3_21rocsparse_index_base_b: ; @_ZL33csrmvn_symm_large_adaptive_kernelIiiaaiiEvbT_PKS0_N9rocsparse24const_host_device_scalarIT4_EES2_PKT0_PKT1_PKT2_S6_PT3_21rocsparse_index_base_b
; %bb.0:
	s_load_dwordx2 s[10:11], s[4:5], 0x48
	s_load_dwordx2 s[8:9], s[4:5], 0x10
	s_mov_b64 s[12:13], -1
	s_waitcnt lgkmcnt(0)
	s_bitcmp1_b32 s11, 0
	s_cselect_b64 s[0:1], -1, 0
	s_xor_b64 s[2:3], s[0:1], -1
	s_and_b64 vcc, exec, s[2:3]
                                        ; implicit-def: $sgpr11
	s_cbranch_vccnz .LBB47_4
; %bb.1:
	s_load_dwordx2 s[0:1], s[4:5], 0x38
	s_andn2_b64 vcc, exec, s[12:13]
	s_cbranch_vccz .LBB47_5
.LBB47_2:
	s_and_b64 vcc, exec, s[2:3]
	s_cbranch_vccz .LBB47_6
.LBB47_3:
	s_waitcnt lgkmcnt(0)
	s_load_dword s1, s[0:1], 0x0
	s_cbranch_execz .LBB47_7
	s_branch .LBB47_8
.LBB47_4:
	s_load_dword s11, s[8:9], 0x0
	s_load_dwordx2 s[0:1], s[4:5], 0x38
	s_cbranch_execnz .LBB47_2
.LBB47_5:
	s_waitcnt lgkmcnt(0)
	s_mov_b32 s11, s8
	s_and_b64 vcc, exec, s[2:3]
	s_cbranch_vccnz .LBB47_3
.LBB47_6:
                                        ; implicit-def: $sgpr1
.LBB47_7:
	s_waitcnt lgkmcnt(0)
	s_mov_b32 s1, s0
.LBB47_8:
	s_waitcnt lgkmcnt(0)
	s_cmp_lg_u32 s11, 0
	s_cselect_b64 s[2:3], -1, 0
	s_cmp_lg_u32 s1, 1
	s_cselect_b64 s[0:1], -1, 0
	s_or_b64 s[0:1], s[2:3], s[0:1]
	s_andn2_b64 vcc, exec, s[0:1]
	s_cbranch_vccnz .LBB47_36
; %bb.9:
	s_load_dwordx2 s[0:1], s[4:5], 0x8
	s_ashr_i32 s7, s6, 31
	s_lshl_b64 s[2:3], s[6:7], 2
	v_lshlrev_b32_e32 v7, 2, v0
	v_mov_b32_e32 v8, 0
	s_waitcnt lgkmcnt(0)
	s_add_u32 s0, s0, s2
	s_addc_u32 s1, s1, s3
	ds_write2st64_b32 v7, v8, v8 offset1:4
	ds_write2st64_b32 v7, v8, v8 offset0:8 offset1:12
	s_waitcnt lgkmcnt(0)
	s_barrier
	s_load_dwordx2 s[20:21], s[0:1], 0x0
	s_load_dwordx8 s[12:19], s[4:5], 0x18
	s_load_dwordx2 s[22:23], s[4:5], 0x40
	v_subrev_u32_e32 v6, s10, v0
	s_waitcnt lgkmcnt(0)
	s_cmp_ge_i32 s20, s21
	s_cbranch_scc1 .LBB47_27
; %bb.10:
	v_cmp_gt_u32_e64 s[0:1], 64, v0
	v_cmp_gt_u32_e64 s[2:3], 16, v0
	v_cmp_gt_u32_e64 s[4:5], 4, v0
	v_cmp_eq_u32_e64 s[6:7], 0, v0
	s_mov_b32 s24, s20
	s_branch .LBB47_12
.LBB47_11:                              ;   in Loop: Header=BB47_12 Depth=1
	s_or_b64 exec, exec, s[8:9]
	s_add_i32 s24, s24, 1
	s_cmp_ge_i32 s24, s21
	s_cbranch_scc1 .LBB47_27
.LBB47_12:                              ; =>This Loop Header: Depth=1
                                        ;     Child Loop BB47_14 Depth 2
	s_ashr_i32 s25, s24, 31
	s_lshl_b64 s[26:27], s[24:25], 2
	s_add_u32 s8, s12, s26
	s_addc_u32 s9, s13, s27
	s_load_dwordx2 s[28:29], s[8:9], 0x0
	v_mov_b32_e32 v1, 0
	s_waitcnt lgkmcnt(0)
	s_sub_i32 s25, s29, s10
	v_add_u32_e32 v0, s28, v6
	v_cmp_gt_i32_e32 vcc, s25, v0
	s_and_saveexec_b64 s[28:29], vcc
	s_cbranch_execz .LBB47_16
; %bb.13:                               ;   in Loop: Header=BB47_12 Depth=1
	v_ashrrev_i32_e32 v1, 31, v0
	v_lshlrev_b64 v[2:3], 2, v[0:1]
	v_mov_b32_e32 v4, s15
	v_add_co_u32_e32 v2, vcc, s14, v2
	v_addc_co_u32_e32 v3, vcc, v4, v3, vcc
	v_mov_b32_e32 v5, s17
	v_add_co_u32_e32 v4, vcc, s16, v0
	v_addc_co_u32_e32 v5, vcc, v5, v1, vcc
	v_mov_b32_e32 v1, 0
	s_mov_b64 s[30:31], 0
.LBB47_14:                              ;   Parent Loop BB47_12 Depth=1
                                        ; =>  This Inner Loop Header: Depth=2
	global_load_dword v9, v[2:3], off
	global_load_sbyte v11, v[4:5], off
	v_mov_b32_e32 v10, s19
	v_add_u32_e32 v0, 0x100, v0
	v_cmp_le_i32_e64 s[8:9], s25, v0
	s_or_b64 s[30:31], s[8:9], s[30:31]
	s_waitcnt vmcnt(1)
	v_subrev_u32_e32 v9, s10, v9
	v_ashrrev_i32_e32 v12, 31, v9
	v_add_co_u32_e32 v9, vcc, s18, v9
	v_addc_co_u32_e32 v10, vcc, v10, v12, vcc
	global_load_sbyte v9, v[9:10], off
	v_add_co_u32_e32 v2, vcc, 0x400, v2
	v_addc_co_u32_e32 v3, vcc, 0, v3, vcc
	v_add_co_u32_e32 v4, vcc, 0x100, v4
	v_addc_co_u32_e32 v5, vcc, 0, v5, vcc
	s_waitcnt vmcnt(0)
	v_mad_i32_i24 v1, v9, v11, v1
	s_andn2_b64 exec, exec, s[30:31]
	s_cbranch_execnz .LBB47_14
; %bb.15:                               ;   in Loop: Header=BB47_12 Depth=1
	s_or_b64 exec, exec, s[30:31]
.LBB47_16:                              ;   in Loop: Header=BB47_12 Depth=1
	s_or_b64 exec, exec, s[28:29]
	ds_write_b32 v7, v1
	s_waitcnt vmcnt(0) lgkmcnt(0)
	s_barrier
	ds_read2st64_b32 v[0:1], v7 offset1:4
	ds_read2st64_b32 v[2:3], v7 offset0:8 offset1:12
	s_waitcnt lgkmcnt(0)
	v_add_u32_e32 v1, v2, v1
	v_add3_u32 v0, v1, v3, v0
	ds_write_b32 v7, v0
	s_waitcnt lgkmcnt(0)
	s_barrier
	s_and_saveexec_b64 s[8:9], s[0:1]
	s_cbranch_execz .LBB47_18
; %bb.17:                               ;   in Loop: Header=BB47_12 Depth=1
	ds_read2st64_b32 v[0:1], v7 offset1:1
	ds_read2st64_b32 v[2:3], v7 offset0:2 offset1:3
	s_waitcnt lgkmcnt(0)
	v_add_u32_e32 v1, v2, v1
	v_add3_u32 v0, v1, v3, v0
	ds_write_b32 v7, v0
.LBB47_18:                              ;   in Loop: Header=BB47_12 Depth=1
	s_or_b64 exec, exec, s[8:9]
	s_waitcnt lgkmcnt(0)
	s_barrier
	s_and_saveexec_b64 s[8:9], s[2:3]
	s_cbranch_execz .LBB47_20
; %bb.19:                               ;   in Loop: Header=BB47_12 Depth=1
	ds_read2_b32 v[0:1], v7 offset1:16
	ds_read2_b32 v[2:3], v7 offset0:32 offset1:48
	s_waitcnt lgkmcnt(0)
	v_add_u32_e32 v1, v2, v1
	v_add3_u32 v0, v1, v3, v0
	ds_write_b32 v7, v0
.LBB47_20:                              ;   in Loop: Header=BB47_12 Depth=1
	s_or_b64 exec, exec, s[8:9]
	s_waitcnt lgkmcnt(0)
	s_barrier
	s_and_saveexec_b64 s[8:9], s[4:5]
	s_cbranch_execz .LBB47_22
; %bb.21:                               ;   in Loop: Header=BB47_12 Depth=1
	ds_read2_b32 v[0:1], v7 offset1:4
	ds_read2_b32 v[2:3], v7 offset0:8 offset1:12
	s_waitcnt lgkmcnt(0)
	v_add_u32_e32 v1, v2, v1
	v_add3_u32 v0, v1, v3, v0
	ds_write_b32 v7, v0
.LBB47_22:                              ;   in Loop: Header=BB47_12 Depth=1
	s_or_b64 exec, exec, s[8:9]
	s_waitcnt lgkmcnt(0)
	s_barrier
	s_and_saveexec_b64 s[8:9], s[6:7]
	s_cbranch_execz .LBB47_24
; %bb.23:                               ;   in Loop: Header=BB47_12 Depth=1
	ds_read2_b32 v[0:1], v8 offset0:1 offset1:2
	ds_read_b32 v2, v8 offset:12
	ds_read_b32 v3, v7
	s_waitcnt lgkmcnt(2)
	v_add_u32_e32 v0, v1, v0
	s_waitcnt lgkmcnt(1)
	v_add_u32_e32 v0, v0, v2
	;; [unrolled: 2-line block ×3, first 2 shown]
	ds_write_b32 v7, v0
.LBB47_24:                              ;   in Loop: Header=BB47_12 Depth=1
	s_or_b64 exec, exec, s[8:9]
	s_waitcnt lgkmcnt(0)
	s_barrier
	s_and_saveexec_b64 s[8:9], s[6:7]
	s_cbranch_execz .LBB47_11
; %bb.25:                               ;   in Loop: Header=BB47_12 Depth=1
	s_mov_b64 s[28:29], exec
	v_mbcnt_lo_u32_b32 v0, s28, 0
	v_mbcnt_hi_u32_b32 v0, s29, v0
	v_cmp_eq_u32_e32 vcc, 0, v0
	s_and_b64 s[30:31], exec, vcc
	s_mov_b64 exec, s[30:31]
	s_cbranch_execz .LBB47_11
; %bb.26:                               ;   in Loop: Header=BB47_12 Depth=1
	ds_read_b32 v0, v8
	s_add_u32 s26, s22, s26
	s_addc_u32 s27, s23, s27
	s_bcnt1_i32_b64 s25, s[28:29]
	s_waitcnt lgkmcnt(0)
	v_mul_lo_u32 v0, v0, s11
	v_mul_lo_u32 v0, v0, s25
	global_atomic_add v8, v0, s[26:27]
	s_branch .LBB47_11
.LBB47_27:
	s_ashr_i32 s1, s20, 31
	s_mov_b32 s0, s20
	s_lshl_b64 s[0:1], s[0:1], 2
	s_add_u32 s0, s12, s0
	s_addc_u32 s1, s13, s1
	s_ashr_i32 s3, s21, 31
	s_mov_b32 s2, s21
	s_lshl_b64 s[2:3], s[2:3], 2
	s_add_u32 s2, s12, s2
	s_addc_u32 s3, s13, s3
	s_load_dword s4, s[2:3], 0x0
	s_load_dword s5, s[0:1], 0x0
	s_waitcnt lgkmcnt(0)
	s_sub_i32 s8, s4, s10
	v_add_u32_e32 v0, s5, v6
	v_cmp_gt_i32_e32 vcc, s8, v0
	s_and_saveexec_b64 s[0:1], vcc
	s_cbranch_execz .LBB47_36
; %bb.28:
	s_add_i32 s9, s21, -1
	s_cmp_lt_i32 s20, s9
	s_cselect_b64 s[0:1], -1, 0
	s_add_i32 s2, s21, -2
	s_cmp_lg_u32 s20, s2
	s_cselect_b64 s[2:3], -1, 0
	s_and_b64 s[0:1], s[0:1], s[2:3]
	v_cndmask_b32_e64 v1, 0, 1, s[0:1]
	s_mov_b64 s[4:5], 0
	v_cmp_ne_u32_e64 s[0:1], 1, v1
	v_mov_b32_e32 v4, s13
	v_mov_b32_e32 v5, s15
	s_branch .LBB47_30
.LBB47_29:                              ;   in Loop: Header=BB47_30 Depth=1
	s_or_b64 exec, exec, s[2:3]
	v_add_u32_e32 v0, 0x100, v0
	v_cmp_le_i32_e32 vcc, s8, v0
	s_or_b64 s[4:5], vcc, s[4:5]
	s_andn2_b64 exec, exec, s[4:5]
	s_cbranch_execz .LBB47_36
.LBB47_30:                              ; =>This Loop Header: Depth=1
                                        ;     Child Loop BB47_32 Depth 2
	s_and_b64 vcc, exec, s[0:1]
	v_mov_b32_e32 v6, s20
	v_mov_b32_e32 v2, s9
	s_cbranch_vccnz .LBB47_34
; %bb.31:                               ;   in Loop: Header=BB47_30 Depth=1
	s_mov_b64 s[6:7], 0
	v_mov_b32_e32 v6, s20
	v_mov_b32_e32 v2, s9
.LBB47_32:                              ;   Parent Loop BB47_30 Depth=1
                                        ; =>  This Inner Loop Header: Depth=2
	v_add_u32_e32 v1, v2, v6
	v_lshrrev_b32_e32 v7, 31, v1
	v_add_u32_e32 v1, v1, v7
	v_ashrrev_i32_e32 v7, 1, v1
	v_ashrrev_i32_e32 v8, 31, v7
	v_lshlrev_b64 v[8:9], 2, v[7:8]
	v_mov_b32_e32 v3, s13
	v_add_co_u32_e32 v8, vcc, s12, v8
	v_addc_co_u32_e32 v9, vcc, v3, v9, vcc
	global_load_dword v1, v[8:9], off
	s_waitcnt vmcnt(0)
	v_subrev_u32_e32 v1, s10, v1
	v_cmp_lt_i32_e32 vcc, v0, v1
	v_cndmask_b32_e32 v2, v2, v7, vcc
	v_cndmask_b32_e32 v6, v7, v6, vcc
	v_add_u32_e32 v1, -1, v2
	v_cmp_ge_i32_e32 vcc, v6, v2
	v_cmp_eq_u32_e64 s[2:3], v6, v1
	s_or_b64 s[2:3], vcc, s[2:3]
	s_and_b64 s[2:3], exec, s[2:3]
	s_or_b64 s[6:7], s[2:3], s[6:7]
	s_andn2_b64 exec, exec, s[6:7]
	s_cbranch_execnz .LBB47_32
; %bb.33:                               ;   in Loop: Header=BB47_30 Depth=1
	s_or_b64 exec, exec, s[6:7]
.LBB47_34:                              ;   in Loop: Header=BB47_30 Depth=1
	v_ashrrev_i32_e32 v3, 31, v2
	v_lshlrev_b64 v[7:8], 2, v[2:3]
	v_ashrrev_i32_e32 v1, 31, v0
	v_add_co_u32_e32 v7, vcc, s12, v7
	v_addc_co_u32_e32 v8, vcc, v4, v8, vcc
	global_load_dword v3, v[7:8], off
	v_lshlrev_b64 v[7:8], 2, v[0:1]
	v_add_co_u32_e32 v7, vcc, s14, v7
	v_addc_co_u32_e32 v8, vcc, v5, v8, vcc
	global_load_dword v7, v[7:8], off
	s_waitcnt vmcnt(1)
	v_subrev_u32_e32 v3, s10, v3
	v_cmp_lt_i32_e32 vcc, v0, v3
	v_cndmask_b32_e32 v3, v2, v6, vcc
	s_waitcnt vmcnt(0)
	v_subrev_u32_e32 v2, s10, v7
	v_cmp_ne_u32_e32 vcc, v2, v3
	s_and_saveexec_b64 s[2:3], vcc
	s_cbranch_execz .LBB47_29
; %bb.35:                               ;   in Loop: Header=BB47_30 Depth=1
	v_mov_b32_e32 v7, s17
	v_add_co_u32_e32 v6, vcc, s16, v0
	v_addc_co_u32_e32 v7, vcc, v7, v1, vcc
	global_load_sbyte v1, v[6:7], off
	v_ashrrev_i32_e32 v7, 31, v3
	v_mov_b32_e32 v8, s19
	v_add_co_u32_e32 v6, vcc, s18, v3
	v_addc_co_u32_e32 v7, vcc, v8, v7, vcc
	global_load_sbyte v6, v[6:7], off
	v_ashrrev_i32_e32 v3, 31, v2
	v_mov_b32_e32 v8, s23
	s_waitcnt vmcnt(1)
	v_mul_lo_u32 v7, s11, v1
	v_lshlrev_b64 v[1:2], 2, v[2:3]
	v_add_co_u32_e32 v1, vcc, s22, v1
	v_addc_co_u32_e32 v2, vcc, v8, v2, vcc
	s_waitcnt vmcnt(0)
	v_mul_lo_u32 v3, v7, v6
	global_atomic_add v[1:2], v3, off
	s_branch .LBB47_29
.LBB47_36:
	s_endpgm
	.section	.rodata,"a",@progbits
	.p2align	6, 0x0
	.amdhsa_kernel _ZL33csrmvn_symm_large_adaptive_kernelIiiaaiiEvbT_PKS0_N9rocsparse24const_host_device_scalarIT4_EES2_PKT0_PKT1_PKT2_S6_PT3_21rocsparse_index_base_b
		.amdhsa_group_segment_fixed_size 4096
		.amdhsa_private_segment_fixed_size 0
		.amdhsa_kernarg_size 80
		.amdhsa_user_sgpr_count 6
		.amdhsa_user_sgpr_private_segment_buffer 1
		.amdhsa_user_sgpr_dispatch_ptr 0
		.amdhsa_user_sgpr_queue_ptr 0
		.amdhsa_user_sgpr_kernarg_segment_ptr 1
		.amdhsa_user_sgpr_dispatch_id 0
		.amdhsa_user_sgpr_flat_scratch_init 0
		.amdhsa_user_sgpr_private_segment_size 0
		.amdhsa_uses_dynamic_stack 0
		.amdhsa_system_sgpr_private_segment_wavefront_offset 0
		.amdhsa_system_sgpr_workgroup_id_x 1
		.amdhsa_system_sgpr_workgroup_id_y 0
		.amdhsa_system_sgpr_workgroup_id_z 0
		.amdhsa_system_sgpr_workgroup_info 0
		.amdhsa_system_vgpr_workitem_id 0
		.amdhsa_next_free_vgpr 13
		.amdhsa_next_free_sgpr 32
		.amdhsa_reserve_vcc 1
		.amdhsa_reserve_flat_scratch 0
		.amdhsa_float_round_mode_32 0
		.amdhsa_float_round_mode_16_64 0
		.amdhsa_float_denorm_mode_32 3
		.amdhsa_float_denorm_mode_16_64 3
		.amdhsa_dx10_clamp 1
		.amdhsa_ieee_mode 1
		.amdhsa_fp16_overflow 0
		.amdhsa_exception_fp_ieee_invalid_op 0
		.amdhsa_exception_fp_denorm_src 0
		.amdhsa_exception_fp_ieee_div_zero 0
		.amdhsa_exception_fp_ieee_overflow 0
		.amdhsa_exception_fp_ieee_underflow 0
		.amdhsa_exception_fp_ieee_inexact 0
		.amdhsa_exception_int_div_zero 0
	.end_amdhsa_kernel
	.section	.text._ZL33csrmvn_symm_large_adaptive_kernelIiiaaiiEvbT_PKS0_N9rocsparse24const_host_device_scalarIT4_EES2_PKT0_PKT1_PKT2_S6_PT3_21rocsparse_index_base_b,"axG",@progbits,_ZL33csrmvn_symm_large_adaptive_kernelIiiaaiiEvbT_PKS0_N9rocsparse24const_host_device_scalarIT4_EES2_PKT0_PKT1_PKT2_S6_PT3_21rocsparse_index_base_b,comdat
.Lfunc_end47:
	.size	_ZL33csrmvn_symm_large_adaptive_kernelIiiaaiiEvbT_PKS0_N9rocsparse24const_host_device_scalarIT4_EES2_PKT0_PKT1_PKT2_S6_PT3_21rocsparse_index_base_b, .Lfunc_end47-_ZL33csrmvn_symm_large_adaptive_kernelIiiaaiiEvbT_PKS0_N9rocsparse24const_host_device_scalarIT4_EES2_PKT0_PKT1_PKT2_S6_PT3_21rocsparse_index_base_b
                                        ; -- End function
	.set _ZL33csrmvn_symm_large_adaptive_kernelIiiaaiiEvbT_PKS0_N9rocsparse24const_host_device_scalarIT4_EES2_PKT0_PKT1_PKT2_S6_PT3_21rocsparse_index_base_b.num_vgpr, 13
	.set _ZL33csrmvn_symm_large_adaptive_kernelIiiaaiiEvbT_PKS0_N9rocsparse24const_host_device_scalarIT4_EES2_PKT0_PKT1_PKT2_S6_PT3_21rocsparse_index_base_b.num_agpr, 0
	.set _ZL33csrmvn_symm_large_adaptive_kernelIiiaaiiEvbT_PKS0_N9rocsparse24const_host_device_scalarIT4_EES2_PKT0_PKT1_PKT2_S6_PT3_21rocsparse_index_base_b.numbered_sgpr, 32
	.set _ZL33csrmvn_symm_large_adaptive_kernelIiiaaiiEvbT_PKS0_N9rocsparse24const_host_device_scalarIT4_EES2_PKT0_PKT1_PKT2_S6_PT3_21rocsparse_index_base_b.num_named_barrier, 0
	.set _ZL33csrmvn_symm_large_adaptive_kernelIiiaaiiEvbT_PKS0_N9rocsparse24const_host_device_scalarIT4_EES2_PKT0_PKT1_PKT2_S6_PT3_21rocsparse_index_base_b.private_seg_size, 0
	.set _ZL33csrmvn_symm_large_adaptive_kernelIiiaaiiEvbT_PKS0_N9rocsparse24const_host_device_scalarIT4_EES2_PKT0_PKT1_PKT2_S6_PT3_21rocsparse_index_base_b.uses_vcc, 1
	.set _ZL33csrmvn_symm_large_adaptive_kernelIiiaaiiEvbT_PKS0_N9rocsparse24const_host_device_scalarIT4_EES2_PKT0_PKT1_PKT2_S6_PT3_21rocsparse_index_base_b.uses_flat_scratch, 0
	.set _ZL33csrmvn_symm_large_adaptive_kernelIiiaaiiEvbT_PKS0_N9rocsparse24const_host_device_scalarIT4_EES2_PKT0_PKT1_PKT2_S6_PT3_21rocsparse_index_base_b.has_dyn_sized_stack, 0
	.set _ZL33csrmvn_symm_large_adaptive_kernelIiiaaiiEvbT_PKS0_N9rocsparse24const_host_device_scalarIT4_EES2_PKT0_PKT1_PKT2_S6_PT3_21rocsparse_index_base_b.has_recursion, 0
	.set _ZL33csrmvn_symm_large_adaptive_kernelIiiaaiiEvbT_PKS0_N9rocsparse24const_host_device_scalarIT4_EES2_PKT0_PKT1_PKT2_S6_PT3_21rocsparse_index_base_b.has_indirect_call, 0
	.section	.AMDGPU.csdata,"",@progbits
; Kernel info:
; codeLenInByte = 1456
; TotalNumSgprs: 36
; NumVgprs: 13
; ScratchSize: 0
; MemoryBound: 0
; FloatMode: 240
; IeeeMode: 1
; LDSByteSize: 4096 bytes/workgroup (compile time only)
; SGPRBlocks: 4
; VGPRBlocks: 3
; NumSGPRsForWavesPerEU: 36
; NumVGPRsForWavesPerEU: 13
; Occupancy: 10
; WaveLimiterHint : 1
; COMPUTE_PGM_RSRC2:SCRATCH_EN: 0
; COMPUTE_PGM_RSRC2:USER_SGPR: 6
; COMPUTE_PGM_RSRC2:TRAP_HANDLER: 0
; COMPUTE_PGM_RSRC2:TGID_X_EN: 1
; COMPUTE_PGM_RSRC2:TGID_Y_EN: 0
; COMPUTE_PGM_RSRC2:TGID_Z_EN: 0
; COMPUTE_PGM_RSRC2:TIDIG_COMP_CNT: 0
	.section	.text._ZN9rocsparseL22csrmvn_adaptive_kernelIliaaiiEEvbT_PKS1_PjPKT0_NS_24const_host_device_scalarIT4_EES3_S7_PKT1_PKT2_SA_PT3_21rocsparse_index_base_b,"axG",@progbits,_ZN9rocsparseL22csrmvn_adaptive_kernelIliaaiiEEvbT_PKS1_PjPKT0_NS_24const_host_device_scalarIT4_EES3_S7_PKT1_PKT2_SA_PT3_21rocsparse_index_base_b,comdat
	.globl	_ZN9rocsparseL22csrmvn_adaptive_kernelIliaaiiEEvbT_PKS1_PjPKT0_NS_24const_host_device_scalarIT4_EES3_S7_PKT1_PKT2_SA_PT3_21rocsparse_index_base_b ; -- Begin function _ZN9rocsparseL22csrmvn_adaptive_kernelIliaaiiEEvbT_PKS1_PjPKT0_NS_24const_host_device_scalarIT4_EES3_S7_PKT1_PKT2_SA_PT3_21rocsparse_index_base_b
	.p2align	8
	.type	_ZN9rocsparseL22csrmvn_adaptive_kernelIliaaiiEEvbT_PKS1_PjPKT0_NS_24const_host_device_scalarIT4_EES3_S7_PKT1_PKT2_SA_PT3_21rocsparse_index_base_b,@function
_ZN9rocsparseL22csrmvn_adaptive_kernelIliaaiiEEvbT_PKS1_PjPKT0_NS_24const_host_device_scalarIT4_EES3_S7_PKT1_PKT2_SA_PT3_21rocsparse_index_base_b: ; @_ZN9rocsparseL22csrmvn_adaptive_kernelIliaaiiEEvbT_PKS1_PjPKT0_NS_24const_host_device_scalarIT4_EES3_S7_PKT1_PKT2_SA_PT3_21rocsparse_index_base_b
; %bb.0:
	s_load_dwordx2 s[44:45], s[4:5], 0x60
	s_load_dwordx2 s[8:9], s[4:5], 0x28
	s_mov_b64 s[10:11], -1
                                        ; implicit-def: $sgpr56
	s_waitcnt lgkmcnt(0)
	s_bitcmp1_b32 s45, 0
	s_cselect_b64 s[0:1], -1, 0
	s_xor_b64 s[2:3], s[0:1], -1
	s_and_b64 vcc, exec, s[2:3]
	s_cbranch_vccnz .LBB48_4
; %bb.1:
	s_load_dwordx2 s[0:1], s[4:5], 0x50
	s_andn2_b64 vcc, exec, s[10:11]
	s_cbranch_vccz .LBB48_5
.LBB48_2:
	s_and_b64 vcc, exec, s[2:3]
	s_cbranch_vccz .LBB48_6
.LBB48_3:
	s_waitcnt lgkmcnt(0)
	s_load_dword s33, s[0:1], 0x0
	s_cbranch_execz .LBB48_7
	s_branch .LBB48_8
.LBB48_4:
	s_load_dword s56, s[8:9], 0x0
	s_load_dwordx2 s[0:1], s[4:5], 0x50
	s_cbranch_execnz .LBB48_2
.LBB48_5:
	s_waitcnt lgkmcnt(0)
	s_mov_b32 s56, s8
	s_and_b64 vcc, exec, s[2:3]
	s_cbranch_vccnz .LBB48_3
.LBB48_6:
                                        ; implicit-def: $sgpr33
.LBB48_7:
	s_waitcnt lgkmcnt(0)
	s_mov_b32 s33, s0
.LBB48_8:
	s_waitcnt lgkmcnt(0)
	s_cmp_lg_u32 s56, 0
	s_cselect_b64 s[0:1], -1, 0
	s_cmp_lg_u32 s33, 1
	s_cselect_b64 s[2:3], -1, 0
	s_or_b64 s[0:1], s[0:1], s[2:3]
	s_andn2_b64 vcc, exec, s[0:1]
	s_cbranch_vccnz .LBB48_119
; %bb.9:
	s_load_dwordx2 s[0:1], s[4:5], 0x10
	s_load_dwordx2 s[8:9], s[4:5], 0x20
	s_ashr_i32 s7, s6, 31
	s_lshl_b64 s[2:3], s[6:7], 3
	s_waitcnt lgkmcnt(0)
	s_add_u32 s0, s0, s2
	s_addc_u32 s1, s1, s3
	s_load_dwordx4 s[36:39], s[0:1], 0x0
	s_load_dwordx2 s[34:35], s[4:5], 0x58
	s_load_dwordx8 s[24:31], s[4:5], 0x30
	s_lshl_b64 s[46:47], s[6:7], 2
	s_waitcnt lgkmcnt(0)
	s_sub_i32 s2, s38, s36
	s_add_u32 s0, s8, s46
	s_addc_u32 s1, s9, s47
	s_lshl_b64 s[8:9], s[36:37], 3
	s_add_u32 s40, s24, s8
	s_addc_u32 s41, s25, s9
	s_load_dword s45, s[0:1], 0x0
	s_load_dwordx2 s[42:43], s[40:41], 0x0
	s_cmp_lt_i32 s2, 2
	s_mov_b64 s[0:1], -1
	s_cbranch_scc0 .LBB48_75
; %bb.10:
	s_cmp_lg_u32 s2, 1
	s_cselect_b64 s[0:1], -1, 0
	s_waitcnt lgkmcnt(0)
	s_cmp_lg_u32 s45, 0
	s_cselect_b64 s[2:3], -1, 0
	s_or_b64 s[2:3], s[0:1], s[2:3]
	s_mov_b64 s[0:1], -1
	s_and_b64 vcc, exec, s[2:3]
	s_cbranch_vccnz .LBB48_39
; %bb.11:
	v_mov_b32_e32 v1, s36
	v_mov_b32_e32 v2, s37
	v_cmp_le_i64_e32 vcc, s[38:39], v[1:2]
	s_cbranch_vccnz .LBB48_38
; %bb.12:
	s_cmp_lg_u32 s33, 0
	v_subrev_co_u32_e32 v10, vcc, s44, v0
	s_cselect_b64 s[20:21], -1, 0
	v_subb_co_u32_e64 v11, s[0:1], 0, 0, vcc
	v_cndmask_b32_e64 v1, 0, 1, s[20:21]
	s_movk_i32 s0, 0x80
	v_cmp_ne_u32_e64 s[20:21], 1, v1
	v_mov_b32_e32 v1, s38
	v_mov_b32_e32 v9, 0
	v_lshlrev_b32_e32 v12, 2, v0
	v_cmp_gt_u32_e64 s[0:1], s0, v0
	v_cmp_gt_u32_e64 s[2:3], 64, v0
	;; [unrolled: 1-line block ×7, first 2 shown]
	v_cmp_eq_u32_e64 s[18:19], 0, v0
	v_mov_b32_e32 v2, s39
	s_mov_b64 s[48:49], s[36:37]
	s_branch .LBB48_15
.LBB48_13:                              ;   in Loop: Header=BB48_15 Depth=1
	s_lshl_b64 s[50:51], s[48:49], 2
	s_add_u32 s50, s34, s50
	s_addc_u32 s51, s35, s51
	s_waitcnt lgkmcnt(0)
	global_store_dword v9, v3, s[50:51]
.LBB48_14:                              ;   in Loop: Header=BB48_15 Depth=1
	s_or_b64 exec, exec, s[22:23]
	s_add_u32 s48, s48, 1
	s_addc_u32 s49, s49, 0
	v_cmp_ge_i64_e32 vcc, s[48:49], v[1:2]
	s_cbranch_vccnz .LBB48_38
.LBB48_15:                              ; =>This Loop Header: Depth=1
                                        ;     Child Loop BB48_17 Depth 2
	s_lshl_b64 s[22:23], s[48:49], 3
	s_add_u32 s22, s24, s22
	s_addc_u32 s23, s25, s23
	s_load_dwordx4 s[52:55], s[22:23], 0x0
	v_mov_b32_e32 v5, 0
	s_waitcnt lgkmcnt(0)
	s_sub_u32 s50, s54, s44
	v_mov_b32_e32 v4, s53
	v_add_co_u32_e32 v3, vcc, s52, v10
	s_subb_u32 s51, s55, 0
	v_addc_co_u32_e32 v4, vcc, v4, v11, vcc
	v_cmp_gt_i64_e32 vcc, s[50:51], v[3:4]
	s_and_saveexec_b64 s[52:53], vcc
	s_cbranch_execz .LBB48_19
; %bb.16:                               ;   in Loop: Header=BB48_15 Depth=1
	v_lshlrev_b64 v[5:6], 2, v[3:4]
	v_mov_b32_e32 v8, s27
	v_add_co_u32_e32 v7, vcc, s26, v5
	v_addc_co_u32_e32 v8, vcc, v8, v6, vcc
	v_mov_b32_e32 v5, 0
	s_mov_b64 s[54:55], 0
.LBB48_17:                              ;   Parent Loop BB48_15 Depth=1
                                        ; =>  This Inner Loop Header: Depth=2
	global_load_dword v6, v[7:8], off
	v_mov_b32_e32 v14, s29
	v_add_co_u32_e32 v13, vcc, s28, v3
	v_addc_co_u32_e32 v14, vcc, v14, v4, vcc
	global_load_sbyte v16, v[13:14], off
	v_mov_b32_e32 v15, s31
	s_waitcnt vmcnt(1)
	v_subrev_u32_e32 v6, s44, v6
	v_ashrrev_i32_e32 v14, 31, v6
	v_add_co_u32_e32 v13, vcc, s30, v6
	v_addc_co_u32_e32 v14, vcc, v15, v14, vcc
	global_load_sbyte v6, v[13:14], off
	v_add_co_u32_e32 v3, vcc, 0x100, v3
	s_waitcnt vmcnt(1)
	v_mul_lo_u32 v13, s56, v16
	v_addc_co_u32_e32 v4, vcc, 0, v4, vcc
	v_cmp_le_i64_e64 s[22:23], s[50:51], v[3:4]
	v_add_co_u32_e32 v7, vcc, 0x400, v7
	s_or_b64 s[54:55], s[22:23], s[54:55]
	v_addc_co_u32_e32 v8, vcc, 0, v8, vcc
	s_waitcnt vmcnt(0)
	v_mad_u64_u32 v[5:6], s[22:23], v13, v6, v[5:6]
	s_andn2_b64 exec, exec, s[54:55]
	s_cbranch_execnz .LBB48_17
; %bb.18:                               ;   in Loop: Header=BB48_15 Depth=1
	s_or_b64 exec, exec, s[54:55]
.LBB48_19:                              ;   in Loop: Header=BB48_15 Depth=1
	s_or_b64 exec, exec, s[52:53]
	ds_write_b32 v12, v5
	s_waitcnt vmcnt(0) lgkmcnt(0)
	s_barrier
	s_and_saveexec_b64 s[22:23], s[0:1]
	s_cbranch_execz .LBB48_21
; %bb.20:                               ;   in Loop: Header=BB48_15 Depth=1
	ds_read2st64_b32 v[3:4], v12 offset1:2
	s_waitcnt lgkmcnt(0)
	v_add_u32_e32 v3, v4, v3
	ds_write_b32 v12, v3
.LBB48_21:                              ;   in Loop: Header=BB48_15 Depth=1
	s_or_b64 exec, exec, s[22:23]
	s_waitcnt lgkmcnt(0)
	s_barrier
	s_and_saveexec_b64 s[22:23], s[2:3]
	s_cbranch_execz .LBB48_23
; %bb.22:                               ;   in Loop: Header=BB48_15 Depth=1
	ds_read2st64_b32 v[3:4], v12 offset1:1
	s_waitcnt lgkmcnt(0)
	v_add_u32_e32 v3, v4, v3
	ds_write_b32 v12, v3
.LBB48_23:                              ;   in Loop: Header=BB48_15 Depth=1
	s_or_b64 exec, exec, s[22:23]
	s_waitcnt lgkmcnt(0)
	s_barrier
	s_and_saveexec_b64 s[22:23], s[8:9]
	s_cbranch_execz .LBB48_25
; %bb.24:                               ;   in Loop: Header=BB48_15 Depth=1
	ds_read2_b32 v[3:4], v12 offset1:32
	s_waitcnt lgkmcnt(0)
	v_add_u32_e32 v3, v4, v3
	ds_write_b32 v12, v3
.LBB48_25:                              ;   in Loop: Header=BB48_15 Depth=1
	s_or_b64 exec, exec, s[22:23]
	s_waitcnt lgkmcnt(0)
	s_barrier
	s_and_saveexec_b64 s[22:23], s[10:11]
	s_cbranch_execz .LBB48_27
; %bb.26:                               ;   in Loop: Header=BB48_15 Depth=1
	ds_read2_b32 v[3:4], v12 offset1:16
	s_waitcnt lgkmcnt(0)
	v_add_u32_e32 v3, v4, v3
	ds_write_b32 v12, v3
.LBB48_27:                              ;   in Loop: Header=BB48_15 Depth=1
	;; [unrolled: 11-line block ×5, first 2 shown]
	s_or_b64 exec, exec, s[22:23]
	s_waitcnt lgkmcnt(0)
	s_barrier
	s_and_saveexec_b64 s[22:23], s[18:19]
	s_cbranch_execz .LBB48_35
; %bb.34:                               ;   in Loop: Header=BB48_15 Depth=1
	ds_read_b64 v[3:4], v9
	s_waitcnt lgkmcnt(0)
	v_add_u32_e32 v3, v4, v3
	ds_write_b32 v9, v3
.LBB48_35:                              ;   in Loop: Header=BB48_15 Depth=1
	s_or_b64 exec, exec, s[22:23]
	s_waitcnt lgkmcnt(0)
	s_barrier
	s_and_saveexec_b64 s[22:23], s[18:19]
	s_cbranch_execz .LBB48_14
; %bb.36:                               ;   in Loop: Header=BB48_15 Depth=1
	ds_read_b32 v3, v9
	s_and_b64 vcc, exec, s[20:21]
	s_cbranch_vccnz .LBB48_13
; %bb.37:                               ;   in Loop: Header=BB48_15 Depth=1
	s_lshl_b64 s[50:51], s[48:49], 2
	s_add_u32 s50, s34, s50
	s_addc_u32 s51, s35, s51
	global_load_dword v4, v9, s[50:51]
	s_waitcnt vmcnt(0)
	v_mul_lo_u32 v4, v4, s33
	s_waitcnt lgkmcnt(0)
	v_add_u32_e32 v3, v4, v3
	s_branch .LBB48_13
.LBB48_38:
	s_mov_b64 s[0:1], 0
.LBB48_39:
	s_andn2_b64 vcc, exec, s[0:1]
	s_cbranch_vccnz .LBB48_74
; %bb.40:
	s_load_dwordx2 s[8:9], s[4:5], 0x18
	s_sub_i32 s6, s6, s45
	v_mov_b32_e32 v1, 0
	v_or_b32_e32 v2, s45, v0
	v_cmp_eq_u32_e32 vcc, 0, v2
	s_waitcnt lgkmcnt(0)
	s_add_u32 s2, s8, s46
	s_addc_u32 s3, s9, s47
	global_load_dword v7, v1, s[2:3]
	s_and_saveexec_b64 s[0:1], vcc
	s_cbranch_execz .LBB48_44
; %bb.41:
	s_lshl_b64 s[12:13], s[36:37], 2
	s_add_u32 s12, s34, s12
	s_addc_u32 s13, s35, s13
	v_mov_b32_e32 v2, 0
	global_load_dword v1, v2, s[12:13]
	s_mov_b64 s[10:11], exec
	v_mbcnt_lo_u32_b32 v3, s10, 0
	v_mbcnt_hi_u32_b32 v3, s11, v3
	s_add_i32 s14, s33, -1
	v_cmp_eq_u32_e32 vcc, 0, v3
	s_waitcnt vmcnt(0) expcnt(0) lgkmcnt(0)
	s_and_saveexec_b64 s[12:13], vcc
	s_cbranch_execz .LBB48_43
; %bb.42:
	s_ashr_i32 s7, s6, 31
	s_lshl_b64 s[16:17], s[6:7], 2
	s_add_u32 s16, s8, s16
	s_addc_u32 s17, s9, s17
	s_bcnt1_i32_b64 s7, s[10:11]
	s_and_b32 s7, s7, 1
	v_mov_b32_e32 v3, s7
	global_atomic_xor v2, v3, s[16:17]
.LBB48_43:
	s_or_b64 exec, exec, s[12:13]
	v_mul_lo_u32 v1, v1, s14
.LBB48_44:
	s_or_b64 exec, exec, s[0:1]
	s_load_dwordx2 s[0:1], s[40:41], 0x8
	s_sub_u32 s11, s42, s44
	s_mul_i32 s7, s45, 0xc00
	s_subb_u32 s12, s43, 0
	s_mul_hi_i32 s10, s45, 0xc00
	s_add_u32 s7, s11, s7
	s_addc_u32 s12, s12, s10
	s_waitcnt lgkmcnt(0)
	s_sub_u32 s0, s0, s44
	v_mov_b32_e32 v2, s12
	v_add_co_u32_e32 v3, vcc, s7, v0
	s_subb_u32 s1, s1, 0
	v_addc_co_u32_e32 v4, vcc, 0, v2, vcc
	v_cmp_gt_i64_e32 vcc, s[0:1], v[3:4]
	s_and_saveexec_b64 s[10:11], vcc
	s_cbranch_execz .LBB48_48
; %bb.45:
	s_add_u32 s14, s7, 0xc00
	v_mov_b32_e32 v6, s1
	s_addc_u32 s15, s12, 0
	v_mov_b32_e32 v5, s0
	v_cmp_lt_i64_e32 vcc, s[14:15], v[5:6]
	v_lshlrev_b64 v[5:6], 2, v[3:4]
	s_and_b64 s[12:13], vcc, exec
	v_mov_b32_e32 v2, s27
	v_add_co_u32_e32 v5, vcc, s26, v5
	s_cselect_b32 s13, s15, s1
	s_cselect_b32 s12, s14, s0
	v_addc_co_u32_e32 v6, vcc, v2, v6, vcc
	s_mov_b64 s[14:15], 0
	v_mov_b32_e32 v8, s29
	v_mov_b32_e32 v9, s31
.LBB48_46:                              ; =>This Inner Loop Header: Depth=1
	global_load_dword v2, v[5:6], off
	v_add_co_u32_e32 v10, vcc, s28, v3
	v_addc_co_u32_e32 v11, vcc, v8, v4, vcc
	global_load_sbyte v12, v[10:11], off
	s_waitcnt vmcnt(1)
	v_subrev_u32_e32 v2, s44, v2
	v_ashrrev_i32_e32 v11, 31, v2
	v_add_co_u32_e32 v10, vcc, s30, v2
	v_addc_co_u32_e32 v11, vcc, v9, v11, vcc
	global_load_sbyte v2, v[10:11], off
	v_add_co_u32_e32 v3, vcc, 0x100, v3
	s_waitcnt vmcnt(1)
	v_mul_lo_u32 v10, s56, v12
	v_addc_co_u32_e32 v4, vcc, 0, v4, vcc
	v_cmp_le_i64_e64 s[0:1], s[12:13], v[3:4]
	v_add_co_u32_e32 v5, vcc, 0x400, v5
	s_or_b64 s[14:15], s[0:1], s[14:15]
	v_addc_co_u32_e32 v6, vcc, 0, v6, vcc
	s_waitcnt vmcnt(0)
	v_mad_u64_u32 v[1:2], s[0:1], v10, v2, v[1:2]
	s_andn2_b64 exec, exec, s[14:15]
	s_cbranch_execnz .LBB48_46
; %bb.47:
	s_or_b64 exec, exec, s[14:15]
.LBB48_48:
	s_or_b64 exec, exec, s[10:11]
	s_movk_i32 s0, 0x80
	v_lshlrev_b32_e32 v2, 2, v0
	v_cmp_gt_u32_e32 vcc, s0, v0
	ds_write_b32 v2, v1
	s_waitcnt vmcnt(0) lgkmcnt(0)
	s_barrier
	s_and_saveexec_b64 s[0:1], vcc
	s_cbranch_execz .LBB48_50
; %bb.49:
	ds_read2st64_b32 v[3:4], v2 offset1:2
	s_waitcnt lgkmcnt(0)
	v_add_u32_e32 v1, v4, v3
	ds_write_b32 v2, v1
.LBB48_50:
	s_or_b64 exec, exec, s[0:1]
	v_cmp_gt_u32_e32 vcc, 64, v0
	s_waitcnt lgkmcnt(0)
	s_barrier
	s_and_saveexec_b64 s[0:1], vcc
	s_cbranch_execz .LBB48_52
; %bb.51:
	ds_read2st64_b32 v[3:4], v2 offset1:1
	s_waitcnt lgkmcnt(0)
	v_add_u32_e32 v1, v4, v3
	ds_write_b32 v2, v1
.LBB48_52:
	s_or_b64 exec, exec, s[0:1]
	v_cmp_gt_u32_e32 vcc, 32, v0
	s_waitcnt lgkmcnt(0)
	s_barrier
	s_and_saveexec_b64 s[0:1], vcc
	s_cbranch_execz .LBB48_54
; %bb.53:
	ds_read2_b32 v[3:4], v2 offset1:32
	s_waitcnt lgkmcnt(0)
	v_add_u32_e32 v1, v4, v3
	ds_write_b32 v2, v1
.LBB48_54:
	s_or_b64 exec, exec, s[0:1]
	v_cmp_gt_u32_e32 vcc, 16, v0
	s_waitcnt lgkmcnt(0)
	s_barrier
	s_and_saveexec_b64 s[0:1], vcc
	s_cbranch_execz .LBB48_56
; %bb.55:
	ds_read2_b32 v[3:4], v2 offset1:16
	s_waitcnt lgkmcnt(0)
	v_add_u32_e32 v1, v4, v3
	ds_write_b32 v2, v1
.LBB48_56:
	;; [unrolled: 12-line block ×5, first 2 shown]
	s_or_b64 exec, exec, s[0:1]
	v_cmp_eq_u32_e32 vcc, 0, v0
	s_waitcnt lgkmcnt(0)
	s_barrier
	s_and_saveexec_b64 s[0:1], vcc
	s_cbranch_execz .LBB48_64
; %bb.63:
	v_mov_b32_e32 v3, 0
	ds_read_b64 v[1:2], v3
	s_waitcnt lgkmcnt(0)
	v_add_u32_e32 v1, v2, v1
	ds_write_b32 v3, v1
.LBB48_64:
	s_or_b64 exec, exec, s[0:1]
	s_waitcnt lgkmcnt(0)
	s_barrier
	s_and_saveexec_b64 s[0:1], vcc
	s_cbranch_execz .LBB48_73
; %bb.65:
	s_cmp_eq_u32 s45, 0
	s_cbranch_scc1 .LBB48_71
; %bb.66:
	s_ashr_i32 s7, s6, 31
	s_lshl_b64 s[6:7], s[6:7], 2
	s_add_u32 s6, s8, s6
	s_addc_u32 s7, s9, s7
	v_mov_b32_e32 v1, 0
	s_branch .LBB48_68
.LBB48_67:                              ;   in Loop: Header=BB48_68 Depth=1
	s_or_b64 exec, exec, s[8:9]
	s_waitcnt vmcnt(0)
	v_readfirstlane_b32 s8, v2
	v_cmp_eq_u32_e32 vcc, s8, v7
	s_cbranch_vccz .LBB48_70
.LBB48_68:                              ; =>This Inner Loop Header: Depth=1
	v_mbcnt_lo_u32_b32 v2, exec_lo, 0
	v_mbcnt_hi_u32_b32 v2, exec_hi, v2
	v_cmp_eq_u32_e32 vcc, 0, v2
                                        ; implicit-def: $vgpr2
	s_and_saveexec_b64 s[8:9], vcc
	s_cbranch_execz .LBB48_67
; %bb.69:                               ;   in Loop: Header=BB48_68 Depth=1
	global_load_dword v2, v1, s[6:7] glc
	s_branch .LBB48_67
.LBB48_70:
	v_mov_b32_e32 v1, 0
	global_load_ushort v2, v1, s[2:3]
	s_waitcnt vmcnt(0)
	v_xor_b32_e32 v2, 1, v2
	global_store_short v1, v2, s[2:3]
.LBB48_71:
	s_mov_b64 s[2:3], exec
	v_mbcnt_lo_u32_b32 v1, s2, 0
	v_mbcnt_hi_u32_b32 v1, s3, v1
	v_cmp_eq_u32_e32 vcc, 0, v1
	s_and_b64 s[6:7], exec, vcc
	s_mov_b64 exec, s[6:7]
	s_cbranch_execz .LBB48_73
; %bb.72:
	v_mov_b32_e32 v1, 0
	ds_read_b32 v2, v1
	s_lshl_b64 s[6:7], s[36:37], 2
	s_add_u32 s6, s34, s6
	s_addc_u32 s7, s35, s7
	s_bcnt1_i32_b64 s2, s[2:3]
	s_waitcnt lgkmcnt(0)
	v_mul_lo_u32 v2, v2, s2
	global_atomic_add v1, v2, s[6:7]
.LBB48_73:
	s_or_b64 exec, exec, s[0:1]
.LBB48_74:
	s_mov_b64 s[0:1], 0
.LBB48_75:
	s_andn2_b64 vcc, exec, s[0:1]
	s_cbranch_vccnz .LBB48_119
; %bb.76:
	s_load_dwordx2 s[0:1], s[4:5], 0x8
	v_subrev_co_u32_e32 v1, vcc, s44, v0
	v_subb_co_u32_e64 v2, s[2:3], 0, 0, vcc
	s_waitcnt lgkmcnt(0)
	v_mov_b32_e32 v3, s43
	v_add_co_u32_e32 v1, vcc, s42, v1
	v_addc_co_u32_e32 v2, vcc, v3, v2, vcc
	v_add_co_u32_e32 v3, vcc, 0x300, v1
	v_addc_co_u32_e32 v4, vcc, 0, v2, vcc
	v_cmp_le_i64_e32 vcc, s[0:1], v[3:4]
	s_and_saveexec_b64 s[0:1], vcc
	s_xor_b64 s[2:3], exec, s[0:1]
	s_cbranch_execz .LBB48_81
; %bb.77:
	s_lshl_b64 s[0:1], s[38:39], 3
	s_add_u32 s0, s24, s0
	s_addc_u32 s1, s25, s1
	s_load_dwordx2 s[0:1], s[0:1], 0x0
	s_waitcnt lgkmcnt(0)
	s_sub_u32 s4, s0, s44
	s_subb_u32 s5, s1, 0
	v_cmp_gt_i64_e32 vcc, s[4:5], v[1:2]
	s_and_saveexec_b64 s[6:7], vcc
	s_cbranch_execz .LBB48_80
; %bb.78:
	v_lshlrev_b64 v[3:4], 2, v[1:2]
	v_mov_b32_e32 v6, s27
	v_add_co_u32_e32 v3, vcc, s26, v3
	v_lshlrev_b32_e32 v5, 2, v0
	v_addc_co_u32_e32 v4, vcc, v6, v4, vcc
	s_mov_b64 s[8:9], 0
	v_mov_b32_e32 v6, s29
	v_mov_b32_e32 v7, s31
.LBB48_79:                              ; =>This Inner Loop Header: Depth=1
	global_load_dword v10, v[3:4], off
	v_add_co_u32_e32 v8, vcc, s28, v1
	v_addc_co_u32_e32 v9, vcc, v6, v2, vcc
	global_load_sbyte v11, v[8:9], off
	s_waitcnt vmcnt(1)
	v_subrev_u32_e32 v8, s44, v10
	v_ashrrev_i32_e32 v9, 31, v8
	v_add_co_u32_e32 v8, vcc, s30, v8
	v_addc_co_u32_e32 v9, vcc, v7, v9, vcc
	global_load_sbyte v8, v[8:9], off
	s_waitcnt vmcnt(1)
	v_mul_lo_u32 v9, s56, v11
	v_add_co_u32_e32 v1, vcc, 0x100, v1
	v_addc_co_u32_e32 v2, vcc, 0, v2, vcc
	v_cmp_le_i64_e64 s[0:1], s[4:5], v[1:2]
	v_add_co_u32_e32 v3, vcc, 0x400, v3
	v_addc_co_u32_e32 v4, vcc, 0, v4, vcc
	s_or_b64 s[8:9], s[0:1], s[8:9]
	s_waitcnt vmcnt(0)
	v_mul_lo_u32 v8, v9, v8
	ds_write_b32 v5, v8
	v_add_u32_e32 v5, 0x400, v5
	s_andn2_b64 exec, exec, s[8:9]
	s_cbranch_execnz .LBB48_79
.LBB48_80:
	s_or_b64 exec, exec, s[6:7]
                                        ; implicit-def: $vgpr1
.LBB48_81:
	s_or_saveexec_b64 s[0:1], s[2:3]
	v_lshlrev_b32_e32 v9, 2, v0
	s_xor_b64 exec, exec, s[0:1]
	s_cbranch_execz .LBB48_83
; %bb.82:
	v_lshlrev_b64 v[3:4], 2, v[1:2]
	v_mov_b32_e32 v5, s27
	v_add_co_u32_e32 v3, vcc, s26, v3
	v_addc_co_u32_e32 v4, vcc, v5, v4, vcc
	global_load_dword v5, v[3:4], off
	global_load_dword v6, v[3:4], off offset:1024
	global_load_dword v7, v[3:4], off offset:2048
	;; [unrolled: 1-line block ×3, first 2 shown]
	v_mov_b32_e32 v3, s29
	v_add_co_u32_e32 v1, vcc, s28, v1
	v_addc_co_u32_e32 v2, vcc, v3, v2, vcc
	global_load_sbyte v13, v[1:2], off
	global_load_sbyte v14, v[1:2], off offset:256
	global_load_sbyte v15, v[1:2], off offset:512
	;; [unrolled: 1-line block ×3, first 2 shown]
	v_mov_b32_e32 v4, s31
	v_mov_b32_e32 v10, s31
	v_mov_b32_e32 v11, s31
	v_mov_b32_e32 v12, s31
	s_waitcnt vmcnt(7)
	v_subrev_u32_e32 v1, s44, v5
	v_ashrrev_i32_e32 v2, 31, v1
	v_add_co_u32_e32 v1, vcc, s30, v1
	s_waitcnt vmcnt(6)
	v_subrev_u32_e32 v3, s44, v6
	v_addc_co_u32_e32 v2, vcc, v4, v2, vcc
	v_ashrrev_i32_e32 v6, 31, v3
	v_add_co_u32_e32 v3, vcc, s30, v3
	s_waitcnt vmcnt(5)
	v_subrev_u32_e32 v5, s44, v7
	v_addc_co_u32_e32 v4, vcc, v10, v6, vcc
	s_waitcnt vmcnt(4)
	v_subrev_u32_e32 v7, s44, v8
	v_ashrrev_i32_e32 v8, 31, v5
	v_add_co_u32_e32 v5, vcc, s30, v5
	v_addc_co_u32_e32 v6, vcc, v11, v8, vcc
	v_ashrrev_i32_e32 v17, 31, v7
	v_add_co_u32_e32 v7, vcc, s30, v7
	v_addc_co_u32_e32 v8, vcc, v12, v17, vcc
	global_load_sbyte v10, v[1:2], off
	global_load_sbyte v11, v[3:4], off
	;; [unrolled: 1-line block ×4, first 2 shown]
	s_waitcnt vmcnt(7)
	v_mul_lo_u32 v1, s56, v13
	s_waitcnt vmcnt(6)
	v_mul_lo_u32 v2, s56, v14
	;; [unrolled: 2-line block ×8, first 2 shown]
	ds_write2st64_b32 v9, v1, v2 offset1:4
	ds_write2st64_b32 v9, v3, v4 offset0:8 offset1:12
.LBB48_83:
	s_or_b64 exec, exec, s[0:1]
	s_cmp_lt_i32 s45, 2
	s_mov_b64 s[0:1], -1
	s_waitcnt vmcnt(0) lgkmcnt(0)
	s_barrier
	s_cbranch_scc0 .LBB48_94
; %bb.84:
	v_mov_b32_e32 v1, s37
	v_add_co_u32_e32 v5, vcc, s36, v0
	v_addc_co_u32_e32 v6, vcc, 0, v1, vcc
	v_cmp_gt_i64_e32 vcc, s[38:39], v[5:6]
	s_and_saveexec_b64 s[2:3], vcc
	s_cbranch_execz .LBB48_93
; %bb.85:
	s_cmp_lg_u32 s33, 0
	s_cselect_b64 s[4:5], -1, 0
	s_lshl_b32 s0, s42, 2
	s_sub_i32 s10, 0, s0
	s_mov_b64 s[6:7], 0
	v_mov_b32_e32 v10, s25
	v_mov_b32_e32 v11, s35
	s_branch .LBB48_87
.LBB48_86:                              ;   in Loop: Header=BB48_87 Depth=1
	v_add_co_u32_e32 v5, vcc, 0x100, v5
	v_addc_co_u32_e32 v6, vcc, 0, v6, vcc
	v_cmp_le_i64_e32 vcc, s[38:39], v[5:6]
	v_add_co_u32_e64 v3, s[0:1], s34, v7
	v_addc_co_u32_e64 v4, s[0:1], v11, v8, s[0:1]
	s_or_b64 s[6:7], vcc, s[6:7]
	global_store_dword v[3:4], v2, off
	s_andn2_b64 exec, exec, s[6:7]
	s_cbranch_execz .LBB48_93
.LBB48_87:                              ; =>This Loop Header: Depth=1
                                        ;     Child Loop BB48_89 Depth 2
	v_lshlrev_b64 v[1:2], 3, v[5:6]
	v_add_co_u32_e32 v1, vcc, s24, v1
	v_addc_co_u32_e32 v2, vcc, v10, v2, vcc
	global_load_dwordx4 v[1:4], v[1:2], off
	s_waitcnt vmcnt(0)
	v_mov_b32_e32 v2, 0
	v_subrev_u32_e32 v4, s42, v1
	v_subrev_u32_e32 v3, s42, v3
	v_cmp_lt_i32_e32 vcc, v4, v3
	s_and_saveexec_b64 s[0:1], vcc
	s_cbranch_execz .LBB48_91
; %bb.88:                               ;   in Loop: Header=BB48_87 Depth=1
	v_lshl_add_u32 v1, v1, 2, s10
	v_mov_b32_e32 v2, 0
	s_mov_b64 s[8:9], 0
.LBB48_89:                              ;   Parent Loop BB48_87 Depth=1
                                        ; =>  This Inner Loop Header: Depth=2
	ds_read_b32 v7, v1
	v_add_u32_e32 v4, 1, v4
	v_cmp_ge_i32_e32 vcc, v4, v3
	v_add_u32_e32 v1, 4, v1
	s_or_b64 s[8:9], vcc, s[8:9]
	s_waitcnt lgkmcnt(0)
	v_add_u32_e32 v2, v7, v2
	s_andn2_b64 exec, exec, s[8:9]
	s_cbranch_execnz .LBB48_89
; %bb.90:                               ;   in Loop: Header=BB48_87 Depth=1
	s_or_b64 exec, exec, s[8:9]
.LBB48_91:                              ;   in Loop: Header=BB48_87 Depth=1
	s_or_b64 exec, exec, s[0:1]
	v_lshlrev_b64 v[7:8], 2, v[5:6]
	s_and_b64 vcc, exec, s[4:5]
	s_cbranch_vccz .LBB48_86
; %bb.92:                               ;   in Loop: Header=BB48_87 Depth=1
	v_mov_b32_e32 v1, s35
	v_add_co_u32_e32 v3, vcc, s34, v7
	v_addc_co_u32_e32 v4, vcc, v1, v8, vcc
	global_load_dword v1, v[3:4], off
	s_waitcnt vmcnt(0)
	v_mad_u64_u32 v[2:3], s[0:1], v1, s33, v[2:3]
	s_branch .LBB48_86
.LBB48_93:
	s_or_b64 exec, exec, s[2:3]
	s_mov_b64 s[0:1], 0
.LBB48_94:
	s_andn2_b64 vcc, exec, s[0:1]
	s_cbranch_vccnz .LBB48_119
; %bb.95:
	s_flbit_i32_b32 s0, s45
	s_xor_b32 s0, s0, 31
	v_lshrrev_b32_e32 v5, s0, v0
	v_mov_b32_e32 v2, s37
	v_add_co_u32_e32 v1, vcc, s36, v5
	v_addc_co_u32_e32 v2, vcc, 0, v2, vcc
	s_add_i32 s2, s45, -1
	v_cmp_le_i64_e32 vcc, s[38:39], v[1:2]
	v_cmp_gt_i64_e64 s[0:1], s[38:39], v[1:2]
	v_mov_b32_e32 v4, 0
	v_and_b32_e32 v3, s2, v0
	s_and_saveexec_b64 s[2:3], s[0:1]
	s_cbranch_execz .LBB48_101
; %bb.96:
	v_lshlrev_b32_e32 v0, 3, v5
	global_load_dword v4, v0, s[40:41] offset:8
	global_load_dword v5, v0, s[40:41]
	s_waitcnt vmcnt(1)
	v_subrev_u32_e32 v0, s42, v4
	s_waitcnt vmcnt(0)
	v_subrev_u32_e32 v4, s42, v5
	v_add_u32_e32 v5, v3, v4
	v_cmp_lt_i32_e64 s[0:1], v5, v0
	v_mov_b32_e32 v4, 0
	s_and_saveexec_b64 s[4:5], s[0:1]
	s_cbranch_execz .LBB48_100
; %bb.97:
	v_lshlrev_b32_e32 v6, 2, v5
	s_lshl_b32 s8, s45, 2
	v_mov_b32_e32 v4, 0
	s_mov_b64 s[6:7], 0
.LBB48_98:                              ; =>This Inner Loop Header: Depth=1
	ds_read_b32 v7, v6
	v_add_u32_e32 v5, s45, v5
	v_cmp_ge_i32_e64 s[0:1], v5, v0
	v_add_u32_e32 v6, s8, v6
	s_or_b64 s[6:7], s[0:1], s[6:7]
	s_waitcnt lgkmcnt(0)
	v_add_u32_e32 v4, v7, v4
	s_andn2_b64 exec, exec, s[6:7]
	s_cbranch_execnz .LBB48_98
; %bb.99:
	s_or_b64 exec, exec, s[6:7]
.LBB48_100:
	s_or_b64 exec, exec, s[4:5]
.LBB48_101:
	s_or_b64 exec, exec, s[2:3]
	s_cmpk_lt_u32 s45, 0x81
	s_waitcnt vmcnt(0)
	s_barrier
	ds_write_b32 v9, v4
	s_waitcnt lgkmcnt(0)
	s_barrier
	s_cbranch_scc1 .LBB48_103
; %bb.102:
	ds_read_b32 v0, v9 offset:512
	s_waitcnt lgkmcnt(0)
	s_barrier
	v_add_u32_e32 v4, v0, v4
	ds_write_b32 v9, v4
.LBB48_103:
	s_cmpk_lt_u32 s45, 0x41
	s_waitcnt lgkmcnt(0)
	s_barrier
	s_cbranch_scc1 .LBB48_105
; %bb.104:
	ds_read_b32 v0, v9 offset:256
	s_waitcnt lgkmcnt(0)
	s_barrier
	v_add_u32_e32 v4, v0, v4
	ds_write_b32 v9, v4
.LBB48_105:
	s_cmp_lt_u32 s45, 33
	s_waitcnt lgkmcnt(0)
	s_barrier
	s_cbranch_scc1 .LBB48_107
; %bb.106:
	ds_read_b32 v0, v9 offset:128
	s_waitcnt lgkmcnt(0)
	s_barrier
	v_add_u32_e32 v4, v0, v4
	ds_write_b32 v9, v4
.LBB48_107:
	s_cmp_lt_u32 s45, 17
	;; [unrolled: 11-line block ×4, first 2 shown]
	s_waitcnt lgkmcnt(0)
	s_barrier
	s_cbranch_scc1 .LBB48_113
; %bb.112:
	ds_read_b32 v0, v9 offset:16
	s_waitcnt lgkmcnt(0)
	s_barrier
	v_add_u32_e32 v4, v0, v4
	ds_write_b32 v9, v4
.LBB48_113:
	s_cmp_eq_u32 s45, 2
	s_waitcnt lgkmcnt(0)
	s_barrier
	s_cbranch_scc1 .LBB48_115
; %bb.114:
	ds_read_b32 v0, v9 offset:8
	s_waitcnt lgkmcnt(0)
	s_barrier
	v_add_u32_e32 v4, v0, v4
	ds_write_b32 v9, v4
.LBB48_115:
	s_waitcnt lgkmcnt(0)
	s_barrier
	ds_read_b32 v0, v9 offset:4
	v_cmp_eq_u32_e64 s[0:1], 0, v3
	s_xor_b64 s[2:3], vcc, -1
	s_and_b64 s[0:1], s[0:1], s[2:3]
	s_waitcnt lgkmcnt(0)
	v_add_u32_e32 v0, v0, v4
	s_barrier
	ds_write_b32 v9, v0
	s_and_saveexec_b64 s[2:3], s[0:1]
	s_cbranch_execz .LBB48_119
; %bb.116:
	v_lshlrev_b64 v[2:3], 2, v[1:2]
	s_cmp_eq_u32 s33, 0
	s_cbranch_scc1 .LBB48_118
; %bb.117:
	v_mov_b32_e32 v1, s35
	v_add_co_u32_e32 v4, vcc, s34, v2
	v_addc_co_u32_e32 v5, vcc, v1, v3, vcc
	global_load_dword v1, v[4:5], off
	s_waitcnt vmcnt(0)
	v_mad_u64_u32 v[0:1], s[0:1], v1, s33, v[0:1]
.LBB48_118:
	v_mov_b32_e32 v4, s35
	v_add_co_u32_e32 v1, vcc, s34, v2
	v_addc_co_u32_e32 v2, vcc, v4, v3, vcc
	global_store_dword v[1:2], v0, off
.LBB48_119:
	s_endpgm
	.section	.rodata,"a",@progbits
	.p2align	6, 0x0
	.amdhsa_kernel _ZN9rocsparseL22csrmvn_adaptive_kernelIliaaiiEEvbT_PKS1_PjPKT0_NS_24const_host_device_scalarIT4_EES3_S7_PKT1_PKT2_SA_PT3_21rocsparse_index_base_b
		.amdhsa_group_segment_fixed_size 4096
		.amdhsa_private_segment_fixed_size 0
		.amdhsa_kernarg_size 104
		.amdhsa_user_sgpr_count 6
		.amdhsa_user_sgpr_private_segment_buffer 1
		.amdhsa_user_sgpr_dispatch_ptr 0
		.amdhsa_user_sgpr_queue_ptr 0
		.amdhsa_user_sgpr_kernarg_segment_ptr 1
		.amdhsa_user_sgpr_dispatch_id 0
		.amdhsa_user_sgpr_flat_scratch_init 0
		.amdhsa_user_sgpr_private_segment_size 0
		.amdhsa_uses_dynamic_stack 0
		.amdhsa_system_sgpr_private_segment_wavefront_offset 0
		.amdhsa_system_sgpr_workgroup_id_x 1
		.amdhsa_system_sgpr_workgroup_id_y 0
		.amdhsa_system_sgpr_workgroup_id_z 0
		.amdhsa_system_sgpr_workgroup_info 0
		.amdhsa_system_vgpr_workitem_id 0
		.amdhsa_next_free_vgpr 18
		.amdhsa_next_free_sgpr 57
		.amdhsa_reserve_vcc 1
		.amdhsa_reserve_flat_scratch 0
		.amdhsa_float_round_mode_32 0
		.amdhsa_float_round_mode_16_64 0
		.amdhsa_float_denorm_mode_32 3
		.amdhsa_float_denorm_mode_16_64 3
		.amdhsa_dx10_clamp 1
		.amdhsa_ieee_mode 1
		.amdhsa_fp16_overflow 0
		.amdhsa_exception_fp_ieee_invalid_op 0
		.amdhsa_exception_fp_denorm_src 0
		.amdhsa_exception_fp_ieee_div_zero 0
		.amdhsa_exception_fp_ieee_overflow 0
		.amdhsa_exception_fp_ieee_underflow 0
		.amdhsa_exception_fp_ieee_inexact 0
		.amdhsa_exception_int_div_zero 0
	.end_amdhsa_kernel
	.section	.text._ZN9rocsparseL22csrmvn_adaptive_kernelIliaaiiEEvbT_PKS1_PjPKT0_NS_24const_host_device_scalarIT4_EES3_S7_PKT1_PKT2_SA_PT3_21rocsparse_index_base_b,"axG",@progbits,_ZN9rocsparseL22csrmvn_adaptive_kernelIliaaiiEEvbT_PKS1_PjPKT0_NS_24const_host_device_scalarIT4_EES3_S7_PKT1_PKT2_SA_PT3_21rocsparse_index_base_b,comdat
.Lfunc_end48:
	.size	_ZN9rocsparseL22csrmvn_adaptive_kernelIliaaiiEEvbT_PKS1_PjPKT0_NS_24const_host_device_scalarIT4_EES3_S7_PKT1_PKT2_SA_PT3_21rocsparse_index_base_b, .Lfunc_end48-_ZN9rocsparseL22csrmvn_adaptive_kernelIliaaiiEEvbT_PKS1_PjPKT0_NS_24const_host_device_scalarIT4_EES3_S7_PKT1_PKT2_SA_PT3_21rocsparse_index_base_b
                                        ; -- End function
	.set _ZN9rocsparseL22csrmvn_adaptive_kernelIliaaiiEEvbT_PKS1_PjPKT0_NS_24const_host_device_scalarIT4_EES3_S7_PKT1_PKT2_SA_PT3_21rocsparse_index_base_b.num_vgpr, 18
	.set _ZN9rocsparseL22csrmvn_adaptive_kernelIliaaiiEEvbT_PKS1_PjPKT0_NS_24const_host_device_scalarIT4_EES3_S7_PKT1_PKT2_SA_PT3_21rocsparse_index_base_b.num_agpr, 0
	.set _ZN9rocsparseL22csrmvn_adaptive_kernelIliaaiiEEvbT_PKS1_PjPKT0_NS_24const_host_device_scalarIT4_EES3_S7_PKT1_PKT2_SA_PT3_21rocsparse_index_base_b.numbered_sgpr, 57
	.set _ZN9rocsparseL22csrmvn_adaptive_kernelIliaaiiEEvbT_PKS1_PjPKT0_NS_24const_host_device_scalarIT4_EES3_S7_PKT1_PKT2_SA_PT3_21rocsparse_index_base_b.num_named_barrier, 0
	.set _ZN9rocsparseL22csrmvn_adaptive_kernelIliaaiiEEvbT_PKS1_PjPKT0_NS_24const_host_device_scalarIT4_EES3_S7_PKT1_PKT2_SA_PT3_21rocsparse_index_base_b.private_seg_size, 0
	.set _ZN9rocsparseL22csrmvn_adaptive_kernelIliaaiiEEvbT_PKS1_PjPKT0_NS_24const_host_device_scalarIT4_EES3_S7_PKT1_PKT2_SA_PT3_21rocsparse_index_base_b.uses_vcc, 1
	.set _ZN9rocsparseL22csrmvn_adaptive_kernelIliaaiiEEvbT_PKS1_PjPKT0_NS_24const_host_device_scalarIT4_EES3_S7_PKT1_PKT2_SA_PT3_21rocsparse_index_base_b.uses_flat_scratch, 0
	.set _ZN9rocsparseL22csrmvn_adaptive_kernelIliaaiiEEvbT_PKS1_PjPKT0_NS_24const_host_device_scalarIT4_EES3_S7_PKT1_PKT2_SA_PT3_21rocsparse_index_base_b.has_dyn_sized_stack, 0
	.set _ZN9rocsparseL22csrmvn_adaptive_kernelIliaaiiEEvbT_PKS1_PjPKT0_NS_24const_host_device_scalarIT4_EES3_S7_PKT1_PKT2_SA_PT3_21rocsparse_index_base_b.has_recursion, 0
	.set _ZN9rocsparseL22csrmvn_adaptive_kernelIliaaiiEEvbT_PKS1_PjPKT0_NS_24const_host_device_scalarIT4_EES3_S7_PKT1_PKT2_SA_PT3_21rocsparse_index_base_b.has_indirect_call, 0
	.section	.AMDGPU.csdata,"",@progbits
; Kernel info:
; codeLenInByte = 3856
; TotalNumSgprs: 61
; NumVgprs: 18
; ScratchSize: 0
; MemoryBound: 0
; FloatMode: 240
; IeeeMode: 1
; LDSByteSize: 4096 bytes/workgroup (compile time only)
; SGPRBlocks: 7
; VGPRBlocks: 4
; NumSGPRsForWavesPerEU: 61
; NumVGPRsForWavesPerEU: 18
; Occupancy: 10
; WaveLimiterHint : 1
; COMPUTE_PGM_RSRC2:SCRATCH_EN: 0
; COMPUTE_PGM_RSRC2:USER_SGPR: 6
; COMPUTE_PGM_RSRC2:TRAP_HANDLER: 0
; COMPUTE_PGM_RSRC2:TGID_X_EN: 1
; COMPUTE_PGM_RSRC2:TGID_Y_EN: 0
; COMPUTE_PGM_RSRC2:TGID_Z_EN: 0
; COMPUTE_PGM_RSRC2:TIDIG_COMP_CNT: 0
	.section	.text._ZN9rocsparseL27csrmvn_symm_adaptive_kernelIliaaiiEEvbT_S1_PKS1_NS_24const_host_device_scalarIT4_EES3_PKT0_PKT1_PKT2_S6_PT3_21rocsparse_index_base_b,"axG",@progbits,_ZN9rocsparseL27csrmvn_symm_adaptive_kernelIliaaiiEEvbT_S1_PKS1_NS_24const_host_device_scalarIT4_EES3_PKT0_PKT1_PKT2_S6_PT3_21rocsparse_index_base_b,comdat
	.globl	_ZN9rocsparseL27csrmvn_symm_adaptive_kernelIliaaiiEEvbT_S1_PKS1_NS_24const_host_device_scalarIT4_EES3_PKT0_PKT1_PKT2_S6_PT3_21rocsparse_index_base_b ; -- Begin function _ZN9rocsparseL27csrmvn_symm_adaptive_kernelIliaaiiEEvbT_S1_PKS1_NS_24const_host_device_scalarIT4_EES3_PKT0_PKT1_PKT2_S6_PT3_21rocsparse_index_base_b
	.p2align	8
	.type	_ZN9rocsparseL27csrmvn_symm_adaptive_kernelIliaaiiEEvbT_S1_PKS1_NS_24const_host_device_scalarIT4_EES3_PKT0_PKT1_PKT2_S6_PT3_21rocsparse_index_base_b,@function
_ZN9rocsparseL27csrmvn_symm_adaptive_kernelIliaaiiEEvbT_S1_PKS1_NS_24const_host_device_scalarIT4_EES3_PKT0_PKT1_PKT2_S6_PT3_21rocsparse_index_base_b: ; @_ZN9rocsparseL27csrmvn_symm_adaptive_kernelIliaaiiEEvbT_S1_PKS1_NS_24const_host_device_scalarIT4_EES3_PKT0_PKT1_PKT2_S6_PT3_21rocsparse_index_base_b
; %bb.0:
	s_load_dwordx2 s[30:31], s[4:5], 0x58
	s_load_dwordx2 s[8:9], s[4:5], 0x20
	s_mov_b64 s[10:11], -1
	s_waitcnt lgkmcnt(0)
	s_bitcmp1_b32 s31, 0
	s_cselect_b64 s[0:1], -1, 0
	s_xor_b64 s[2:3], s[0:1], -1
	s_and_b64 vcc, exec, s[2:3]
                                        ; implicit-def: $sgpr31
	s_cbranch_vccnz .LBB49_4
; %bb.1:
	s_load_dwordx2 s[0:1], s[4:5], 0x48
	s_andn2_b64 vcc, exec, s[10:11]
	s_cbranch_vccz .LBB49_5
.LBB49_2:
	s_and_b64 vcc, exec, s[2:3]
	s_cbranch_vccz .LBB49_6
.LBB49_3:
	s_waitcnt lgkmcnt(0)
	s_load_dword s1, s[0:1], 0x0
	s_cbranch_execz .LBB49_7
	s_branch .LBB49_8
.LBB49_4:
	s_load_dword s31, s[8:9], 0x0
	s_load_dwordx2 s[0:1], s[4:5], 0x48
	s_cbranch_execnz .LBB49_2
.LBB49_5:
	s_waitcnt lgkmcnt(0)
	s_mov_b32 s31, s8
	s_and_b64 vcc, exec, s[2:3]
	s_cbranch_vccnz .LBB49_3
.LBB49_6:
                                        ; implicit-def: $sgpr1
.LBB49_7:
	s_waitcnt lgkmcnt(0)
	s_mov_b32 s1, s0
.LBB49_8:
	s_waitcnt lgkmcnt(0)
	s_cmp_lg_u32 s31, 0
	s_cselect_b64 s[2:3], -1, 0
	s_cmp_lg_u32 s1, 1
	s_cselect_b64 s[0:1], -1, 0
	s_or_b64 s[0:1], s[2:3], s[0:1]
	s_andn2_b64 vcc, exec, s[0:1]
	s_cbranch_vccnz .LBB49_141
; %bb.9:
	s_load_dwordx2 s[0:1], s[4:5], 0x18
	s_ashr_i32 s7, s6, 31
	s_lshl_b64 s[2:3], s[6:7], 3
	v_lshlrev_b32_e32 v16, 2, v0
	v_mov_b32_e32 v1, 0
	s_waitcnt lgkmcnt(0)
	s_add_u32 s0, s0, s2
	s_addc_u32 s1, s1, s3
	ds_write2st64_b32 v16, v1, v1 offset1:4
	ds_write2st64_b32 v16, v1, v1 offset0:8 offset1:12
	s_waitcnt lgkmcnt(0)
	s_barrier
	s_load_dwordx4 s[24:27], s[0:1], 0x0
	s_load_dwordx8 s[16:23], s[4:5], 0x28
	s_load_dwordx2 s[14:15], s[4:5], 0x50
	s_mov_b64 s[0:1], -1
	s_waitcnt lgkmcnt(0)
	s_sub_u32 s28, s26, s24
	s_subb_u32 s29, s27, s25
	v_cmp_gt_i64_e64 s[2:3], s[28:29], 2
	s_and_b64 vcc, exec, s[2:3]
	s_cbranch_vccnz .LBB49_40
; %bb.10:
	v_mov_b32_e32 v1, s24
	v_mov_b32_e32 v2, s25
	v_cmp_le_i64_e32 vcc, s[26:27], v[1:2]
	v_subrev_co_u32_e64 v7, s[0:1], s30, v0
	v_subb_co_u32_e64 v8, s[0:1], 0, 0, s[0:1]
	s_cbranch_vccnz .LBB49_30
; %bb.11:
	s_movk_i32 s0, 0x100
	v_mov_b32_e32 v1, s26
	v_cmp_gt_u32_e64 s[0:1], s0, v0
	v_cmp_gt_u32_e64 s[2:3], 64, v0
	;; [unrolled: 1-line block ×4, first 2 shown]
	v_cmp_eq_u32_e64 s[10:11], 0, v0
	v_mov_b32_e32 v9, 0
	v_mov_b32_e32 v2, s27
	s_mov_b64 s[34:35], s[24:25]
	s_branch .LBB49_13
.LBB49_12:                              ;   in Loop: Header=BB49_13 Depth=1
	s_or_b64 exec, exec, s[12:13]
	s_add_u32 s34, s34, 1
	s_addc_u32 s35, s35, 0
	v_cmp_ge_i64_e32 vcc, s[34:35], v[1:2]
	s_cbranch_vccnz .LBB49_30
.LBB49_13:                              ; =>This Loop Header: Depth=1
                                        ;     Child Loop BB49_15 Depth 2
	s_lshl_b64 s[12:13], s[34:35], 3
	s_add_u32 s12, s16, s12
	s_addc_u32 s13, s17, s13
	s_load_dwordx4 s[40:43], s[12:13], 0x0
	v_mov_b32_e32 v10, 0
	s_waitcnt lgkmcnt(0)
	s_sub_u32 s36, s42, s30
	v_mov_b32_e32 v4, s41
	v_add_co_u32_e32 v3, vcc, s40, v7
	s_subb_u32 s37, s43, 0
	v_addc_co_u32_e32 v4, vcc, v4, v8, vcc
	v_cmp_gt_i64_e32 vcc, s[36:37], v[3:4]
	s_and_saveexec_b64 s[38:39], vcc
	s_cbranch_execz .LBB49_17
; %bb.14:                               ;   in Loop: Header=BB49_13 Depth=1
	v_lshlrev_b64 v[5:6], 2, v[3:4]
	v_mov_b32_e32 v10, s19
	v_add_co_u32_e32 v5, vcc, s18, v5
	v_addc_co_u32_e32 v6, vcc, v10, v6, vcc
	v_mov_b32_e32 v10, 0
	s_mov_b64 s[40:41], 0
.LBB49_15:                              ;   Parent Loop BB49_13 Depth=1
                                        ; =>  This Inner Loop Header: Depth=2
	global_load_dword v13, v[5:6], off
	v_mov_b32_e32 v12, s21
	v_add_co_u32_e32 v11, vcc, s20, v3
	v_addc_co_u32_e32 v12, vcc, v12, v4, vcc
	global_load_sbyte v15, v[11:12], off
	v_mov_b32_e32 v14, s23
	s_waitcnt vmcnt(1)
	v_subrev_u32_e32 v11, s30, v13
	v_ashrrev_i32_e32 v12, 31, v11
	v_add_co_u32_e32 v11, vcc, s22, v11
	v_addc_co_u32_e32 v12, vcc, v14, v12, vcc
	global_load_sbyte v11, v[11:12], off
	v_add_co_u32_e32 v3, vcc, 0x100, v3
	v_addc_co_u32_e32 v4, vcc, 0, v4, vcc
	v_cmp_le_i64_e64 s[12:13], s[36:37], v[3:4]
	v_add_co_u32_e32 v5, vcc, 0x400, v5
	v_addc_co_u32_e32 v6, vcc, 0, v6, vcc
	s_or_b64 s[40:41], s[12:13], s[40:41]
	s_waitcnt vmcnt(0)
	v_mad_i32_i24 v10, v11, v15, v10
	s_andn2_b64 exec, exec, s[40:41]
	s_cbranch_execnz .LBB49_15
; %bb.16:                               ;   in Loop: Header=BB49_13 Depth=1
	s_or_b64 exec, exec, s[40:41]
.LBB49_17:                              ;   in Loop: Header=BB49_13 Depth=1
	s_or_b64 exec, exec, s[38:39]
	ds_write_b32 v16, v10
	s_waitcnt vmcnt(0) lgkmcnt(0)
	s_barrier
	s_and_saveexec_b64 s[12:13], s[0:1]
	s_cbranch_execz .LBB49_19
; %bb.18:                               ;   in Loop: Header=BB49_13 Depth=1
	ds_read2st64_b32 v[3:4], v16 offset1:4
	ds_read2st64_b32 v[5:6], v16 offset0:8 offset1:12
	s_waitcnt lgkmcnt(0)
	v_add_u32_e32 v4, v5, v4
	v_add3_u32 v3, v4, v6, v3
	ds_write_b32 v16, v3
.LBB49_19:                              ;   in Loop: Header=BB49_13 Depth=1
	s_or_b64 exec, exec, s[12:13]
	s_waitcnt lgkmcnt(0)
	s_barrier
	s_and_saveexec_b64 s[12:13], s[2:3]
	s_cbranch_execz .LBB49_21
; %bb.20:                               ;   in Loop: Header=BB49_13 Depth=1
	ds_read2st64_b32 v[3:4], v16 offset1:1
	ds_read2st64_b32 v[5:6], v16 offset0:2 offset1:3
	s_waitcnt lgkmcnt(0)
	v_add_u32_e32 v4, v5, v4
	v_add3_u32 v3, v4, v6, v3
	ds_write_b32 v16, v3
.LBB49_21:                              ;   in Loop: Header=BB49_13 Depth=1
	s_or_b64 exec, exec, s[12:13]
	s_waitcnt lgkmcnt(0)
	s_barrier
	s_and_saveexec_b64 s[12:13], s[6:7]
	s_cbranch_execz .LBB49_23
; %bb.22:                               ;   in Loop: Header=BB49_13 Depth=1
	ds_read2_b32 v[3:4], v16 offset1:16
	ds_read2_b32 v[5:6], v16 offset0:32 offset1:48
	s_waitcnt lgkmcnt(0)
	v_add_u32_e32 v4, v5, v4
	v_add3_u32 v3, v4, v6, v3
	ds_write_b32 v16, v3
.LBB49_23:                              ;   in Loop: Header=BB49_13 Depth=1
	s_or_b64 exec, exec, s[12:13]
	s_waitcnt lgkmcnt(0)
	s_barrier
	s_and_saveexec_b64 s[12:13], s[8:9]
	s_cbranch_execz .LBB49_25
; %bb.24:                               ;   in Loop: Header=BB49_13 Depth=1
	ds_read2_b32 v[3:4], v16 offset1:4
	ds_read2_b32 v[5:6], v16 offset0:8 offset1:12
	s_waitcnt lgkmcnt(0)
	v_add_u32_e32 v4, v5, v4
	v_add3_u32 v3, v4, v6, v3
	ds_write_b32 v16, v3
.LBB49_25:                              ;   in Loop: Header=BB49_13 Depth=1
	s_or_b64 exec, exec, s[12:13]
	s_waitcnt lgkmcnt(0)
	s_barrier
	s_and_saveexec_b64 s[12:13], s[10:11]
	s_cbranch_execz .LBB49_27
; %bb.26:                               ;   in Loop: Header=BB49_13 Depth=1
	ds_read2_b32 v[3:4], v9 offset0:1 offset1:2
	ds_read_b32 v5, v9 offset:12
	ds_read_b32 v6, v16
	s_waitcnt lgkmcnt(2)
	v_add_u32_e32 v3, v4, v3
	s_waitcnt lgkmcnt(1)
	v_add_u32_e32 v3, v3, v5
	;; [unrolled: 2-line block ×3, first 2 shown]
	ds_write_b32 v16, v3
.LBB49_27:                              ;   in Loop: Header=BB49_13 Depth=1
	s_or_b64 exec, exec, s[12:13]
	s_waitcnt lgkmcnt(0)
	s_barrier
	s_and_saveexec_b64 s[12:13], s[10:11]
	s_cbranch_execz .LBB49_12
; %bb.28:                               ;   in Loop: Header=BB49_13 Depth=1
	s_mov_b64 s[36:37], exec
	v_mbcnt_lo_u32_b32 v3, s36, 0
	v_mbcnt_hi_u32_b32 v3, s37, v3
	v_cmp_eq_u32_e32 vcc, 0, v3
	s_and_b64 s[38:39], exec, vcc
	s_mov_b64 exec, s[38:39]
	s_cbranch_execz .LBB49_12
; %bb.29:                               ;   in Loop: Header=BB49_13 Depth=1
	ds_read_b32 v3, v9
	s_lshl_b64 s[38:39], s[34:35], 2
	s_add_u32 s38, s14, s38
	s_addc_u32 s39, s15, s39
	s_bcnt1_i32_b64 s33, s[36:37]
	s_waitcnt lgkmcnt(0)
	v_mul_lo_u32 v3, v3, s31
	v_mul_lo_u32 v3, v3, s33
	global_atomic_add v9, v3, s[38:39]
	s_branch .LBB49_12
.LBB49_30:
	s_lshl_b64 s[0:1], s[24:25], 3
	s_add_u32 s0, s16, s0
	s_addc_u32 s1, s17, s1
	s_lshl_b64 s[2:3], s[26:27], 3
	s_add_u32 s2, s16, s2
	s_addc_u32 s3, s17, s3
	s_load_dwordx2 s[8:9], s[0:1], 0x0
	s_load_dwordx2 s[6:7], s[2:3], 0x0
	s_waitcnt lgkmcnt(0)
	v_mov_b32_e32 v2, s9
	s_sub_u32 s6, s6, s30
	v_add_co_u32_e32 v1, vcc, s8, v7
	s_subb_u32 s7, s7, 0
	v_addc_co_u32_e32 v2, vcc, v2, v8, vcc
	v_cmp_gt_i64_e32 vcc, s[6:7], v[1:2]
	s_and_saveexec_b64 s[8:9], vcc
	s_cbranch_execz .LBB49_39
; %bb.31:
	s_add_u32 s10, s26, -1
	s_addc_u32 s11, s27, -1
	v_mov_b32_e32 v3, s10
	s_add_u32 s0, s26, -2
	v_mov_b32_e32 v4, s11
	s_addc_u32 s1, s27, -1
	v_cmp_lt_i64_e32 vcc, s[24:25], v[3:4]
	s_cmp_lg_u64 s[24:25], s[0:1]
	s_cselect_b64 s[0:1], -1, 0
	s_and_b64 s[0:1], vcc, s[0:1]
	v_cndmask_b32_e64 v3, 0, 1, s[0:1]
	s_mov_b64 s[12:13], 0
	v_cmp_ne_u32_e64 s[0:1], 1, v3
	v_mov_b32_e32 v9, s17
	v_mov_b32_e32 v10, s19
	s_branch .LBB49_33
.LBB49_32:                              ;   in Loop: Header=BB49_33 Depth=1
	s_or_b64 exec, exec, s[2:3]
	v_add_co_u32_e32 v1, vcc, 0x100, v1
	v_addc_co_u32_e32 v2, vcc, 0, v2, vcc
	v_cmp_le_i64_e32 vcc, s[6:7], v[1:2]
	s_or_b64 s[12:13], vcc, s[12:13]
	s_andn2_b64 exec, exec, s[12:13]
	s_cbranch_execz .LBB49_39
.LBB49_33:                              ; =>This Loop Header: Depth=1
                                        ;     Child Loop BB49_35 Depth 2
	v_mov_b32_e32 v3, s24
	v_mov_b32_e32 v5, s10
	s_and_b64 vcc, exec, s[0:1]
	v_mov_b32_e32 v4, s25
	v_mov_b32_e32 v6, s11
	s_cbranch_vccnz .LBB49_37
; %bb.34:                               ;   in Loop: Header=BB49_33 Depth=1
	v_mov_b32_e32 v3, s24
	v_mov_b32_e32 v5, s10
	s_mov_b64 s[34:35], 0
	v_mov_b32_e32 v4, s25
	v_mov_b32_e32 v6, s11
.LBB49_35:                              ;   Parent Loop BB49_33 Depth=1
                                        ; =>  This Inner Loop Header: Depth=2
	v_add_co_u32_e32 v7, vcc, v5, v3
	v_addc_co_u32_e32 v8, vcc, v6, v4, vcc
	v_lshrrev_b32_e32 v11, 31, v8
	v_add_co_u32_e32 v7, vcc, v7, v11
	v_addc_co_u32_e32 v8, vcc, 0, v8, vcc
	v_ashrrev_i64 v[7:8], 1, v[7:8]
	v_mov_b32_e32 v13, s17
	v_lshlrev_b64 v[11:12], 3, v[7:8]
	v_add_co_u32_e32 v11, vcc, s16, v11
	v_addc_co_u32_e32 v12, vcc, v13, v12, vcc
	global_load_dwordx2 v[11:12], v[11:12], off
	s_waitcnt vmcnt(0)
	v_subrev_co_u32_e32 v11, vcc, s30, v11
	v_subbrev_co_u32_e32 v12, vcc, 0, v12, vcc
	v_cmp_lt_i64_e32 vcc, v[1:2], v[11:12]
	v_cndmask_b32_e32 v5, v5, v7, vcc
	v_cndmask_b32_e32 v6, v6, v8, vcc
	;; [unrolled: 1-line block ×3, first 2 shown]
	v_add_co_u32_e64 v7, s[2:3], -1, v5
	v_cndmask_b32_e32 v4, v8, v4, vcc
	v_addc_co_u32_e64 v8, s[2:3], -1, v6, s[2:3]
	v_cmp_ge_i64_e32 vcc, v[3:4], v[5:6]
	v_cmp_eq_u64_e64 s[2:3], v[3:4], v[7:8]
	s_or_b64 s[2:3], vcc, s[2:3]
	s_and_b64 s[2:3], exec, s[2:3]
	s_or_b64 s[34:35], s[2:3], s[34:35]
	s_andn2_b64 exec, exec, s[34:35]
	s_cbranch_execnz .LBB49_35
; %bb.36:                               ;   in Loop: Header=BB49_33 Depth=1
	s_or_b64 exec, exec, s[34:35]
.LBB49_37:                              ;   in Loop: Header=BB49_33 Depth=1
	v_lshlrev_b64 v[7:8], 3, v[5:6]
	v_lshlrev_b64 v[11:12], 2, v[1:2]
	v_add_co_u32_e32 v7, vcc, s16, v7
	v_addc_co_u32_e32 v8, vcc, v9, v8, vcc
	global_load_dwordx2 v[7:8], v[7:8], off
	v_add_co_u32_e32 v11, vcc, s18, v11
	v_addc_co_u32_e32 v12, vcc, v10, v12, vcc
	global_load_dword v13, v[11:12], off
	s_waitcnt vmcnt(1)
	v_subrev_co_u32_e32 v11, vcc, s30, v7
	v_subbrev_co_u32_e32 v12, vcc, 0, v8, vcc
	v_cmp_lt_i64_e32 vcc, v[1:2], v[11:12]
	s_waitcnt vmcnt(0)
	v_subrev_u32_e32 v7, s30, v13
	v_cndmask_b32_e32 v4, v6, v4, vcc
	v_cndmask_b32_e32 v3, v5, v3, vcc
	v_ashrrev_i32_e32 v8, 31, v7
	v_cmp_ne_u64_e32 vcc, v[3:4], v[7:8]
	s_and_saveexec_b64 s[2:3], vcc
	s_cbranch_execz .LBB49_32
; %bb.38:                               ;   in Loop: Header=BB49_33 Depth=1
	v_mov_b32_e32 v6, s21
	v_add_co_u32_e32 v5, vcc, s20, v1
	v_addc_co_u32_e32 v6, vcc, v6, v2, vcc
	global_load_sbyte v5, v[5:6], off
	v_mov_b32_e32 v6, s23
	v_add_co_u32_e32 v3, vcc, s22, v3
	v_addc_co_u32_e32 v4, vcc, v6, v4, vcc
	global_load_sbyte v6, v[3:4], off
	v_lshlrev_b64 v[3:4], 2, v[7:8]
	v_mov_b32_e32 v7, s15
	v_add_co_u32_e32 v3, vcc, s14, v3
	v_addc_co_u32_e32 v4, vcc, v7, v4, vcc
	s_waitcnt vmcnt(1)
	v_mul_lo_u32 v5, s31, v5
	s_waitcnt vmcnt(0)
	v_mul_lo_u32 v5, v5, v6
	global_atomic_add v[3:4], v5, off
	s_branch .LBB49_32
.LBB49_39:
	s_or_b64 exec, exec, s[8:9]
	s_mov_b64 s[0:1], 0
.LBB49_40:
	s_and_b64 vcc, exec, s[0:1]
	s_cbranch_vccz .LBB49_141
; %bb.41:
	s_load_dword s0, s[4:5], 0x6c
	v_mov_b32_e32 v1, s28
	s_mov_b32 s13, 0
	v_mov_b32_e32 v2, s29
	s_mov_b64 s[36:37], 0
	s_waitcnt lgkmcnt(0)
	s_and_b32 s12, s0, 0xffff
	v_cmp_lt_u64_e32 vcc, s[12:13], v[1:2]
	s_cbranch_vccnz .LBB49_43
; %bb.42:
	v_cvt_f32_u32_e32 v1, s28
	s_sub_i32 s0, 0, s28
	v_rcp_iflag_f32_e32 v1, v1
	v_mul_f32_e32 v1, 0x4f7ffffe, v1
	v_cvt_u32_f32_e32 v1, v1
	v_readfirstlane_b32 s1, v1
	s_mul_i32 s0, s0, s1
	s_mul_hi_u32 s0, s1, s0
	s_add_i32 s1, s1, s0
	s_mul_hi_u32 s0, s12, s1
	s_mul_i32 s2, s0, s28
	s_sub_i32 s2, s12, s2
	s_add_i32 s1, s0, 1
	s_sub_i32 s3, s2, s28
	s_cmp_ge_u32 s2, s28
	s_cselect_b32 s0, s1, s0
	s_cselect_b32 s2, s3, s2
	s_add_i32 s1, s0, 1
	s_cmp_ge_u32 s2, s28
	s_cselect_b32 s36, s1, s0
.LBB49_43:
	s_lshl_b64 s[0:1], s[24:25], 3
	s_add_u32 s34, s16, s0
	s_addc_u32 s35, s17, s1
	s_load_dwordx2 s[6:7], s[34:35], 0x0
	s_load_dwordx4 s[8:11], s[4:5], 0x8
	v_subrev_co_u32_e32 v1, vcc, s30, v0
	v_subb_co_u32_e64 v3, s[0:1], 0, 0, vcc
	s_waitcnt lgkmcnt(0)
	v_mov_b32_e32 v4, s7
	v_add_co_u32_e32 v2, vcc, s6, v1
	v_addc_co_u32_e32 v3, vcc, v4, v3, vcc
	v_add_co_u32_e32 v4, vcc, 0x300, v2
	v_addc_co_u32_e32 v5, vcc, 0, v3, vcc
	v_cmp_le_i64_e64 s[0:1], s[8:9], v[4:5]
	v_mov_b32_e32 v1, 0
	s_and_saveexec_b64 s[2:3], s[0:1]
	s_xor_b64 s[2:3], exec, s[2:3]
	s_cbranch_execnz .LBB49_46
; %bb.44:
	s_andn2_saveexec_b64 s[2:3], s[2:3]
	s_cbranch_execnz .LBB49_50
.LBB49_45:
	s_or_b64 exec, exec, s[2:3]
	v_cmp_gt_i64_e32 vcc, s[10:11], v[0:1]
	s_and_saveexec_b64 s[2:3], vcc
	s_cbranch_execnz .LBB49_51
	s_branch .LBB49_53
.LBB49_46:
	s_lshl_b64 s[4:5], s[26:27], 3
	s_add_u32 s4, s16, s4
	s_addc_u32 s5, s17, s5
	s_load_dwordx2 s[4:5], s[4:5], 0x0
	s_waitcnt lgkmcnt(0)
	s_sub_u32 s4, s4, s6
	s_subb_u32 s5, s5, s7
	v_cmp_gt_i64_e32 vcc, s[4:5], v[0:1]
	s_and_saveexec_b64 s[8:9], vcc
	s_cbranch_execz .LBB49_49
; %bb.47:
	s_sub_u32 s13, s6, s30
	s_subb_u32 s33, s7, 0
	s_add_u32 s13, s20, s13
	s_addc_u32 s33, s21, s33
	v_mov_b32_e32 v7, v1
	s_mov_b64 s[38:39], 0
	v_mov_b32_e32 v8, s33
	v_mov_b32_e32 v9, v16
	;; [unrolled: 1-line block ×3, first 2 shown]
.LBB49_48:                              ; =>This Inner Loop Header: Depth=1
	v_add_co_u32_e32 v10, vcc, s13, v6
	v_addc_co_u32_e32 v11, vcc, v8, v7, vcc
	global_load_sbyte v10, v[10:11], off
	v_add_co_u32_e32 v6, vcc, 0x100, v6
	v_addc_co_u32_e32 v7, vcc, 0, v7, vcc
	v_cmp_le_i64_e32 vcc, s[4:5], v[6:7]
	s_or_b64 s[38:39], vcc, s[38:39]
	s_waitcnt vmcnt(0)
	v_mul_lo_u32 v10, s31, v10
	ds_write_b32 v9, v10
	v_add_u32_e32 v9, 0x400, v9
	s_andn2_b64 exec, exec, s[38:39]
	s_cbranch_execnz .LBB49_48
.LBB49_49:
	s_or_b64 exec, exec, s[8:9]
	s_andn2_saveexec_b64 s[2:3], s[2:3]
	s_cbranch_execz .LBB49_45
.LBB49_50:
	v_mov_b32_e32 v7, s21
	v_add_co_u32_e32 v6, vcc, s20, v2
	v_addc_co_u32_e32 v7, vcc, v7, v3, vcc
	global_load_sbyte v8, v[6:7], off
	global_load_sbyte v9, v[6:7], off offset:256
	global_load_sbyte v10, v[6:7], off offset:512
	;; [unrolled: 1-line block ×3, first 2 shown]
	s_waitcnt vmcnt(3)
	v_mul_lo_u32 v6, s31, v8
	s_waitcnt vmcnt(2)
	v_mul_lo_u32 v7, s31, v9
	;; [unrolled: 2-line block ×4, first 2 shown]
	ds_write2st64_b32 v16, v6, v7 offset1:4
	ds_write2st64_b32 v16, v8, v9 offset0:8 offset1:12
	s_or_b64 exec, exec, s[2:3]
	v_cmp_gt_i64_e32 vcc, s[10:11], v[0:1]
	s_and_saveexec_b64 s[2:3], vcc
	s_cbranch_execz .LBB49_53
.LBB49_51:
	v_mov_b32_e32 v6, 0x1000
	v_lshl_add_u32 v8, v0, 2, v6
	v_mov_b32_e32 v7, v1
	s_mov_b64 s[4:5], 0
	v_mov_b32_e32 v9, 0
	v_mov_b32_e32 v6, v0
.LBB49_52:                              ; =>This Inner Loop Header: Depth=1
	v_add_co_u32_e32 v6, vcc, 0x100, v6
	v_addc_co_u32_e32 v7, vcc, 0, v7, vcc
	v_cmp_le_i64_e32 vcc, s[10:11], v[6:7]
	ds_write_b32 v8, v9
	s_or_b64 s[4:5], vcc, s[4:5]
	v_add_u32_e32 v8, 0x400, v8
	s_andn2_b64 exec, exec, s[4:5]
	s_cbranch_execnz .LBB49_52
.LBB49_53:
	s_or_b64 exec, exec, s[2:3]
	v_mov_b32_e32 v6, s10
	v_mov_b32_e32 v7, s11
	s_sub_u32 s4, s26, s10
	v_cmp_ge_i64_e32 vcc, s[26:27], v[6:7]
	s_subb_u32 s5, s27, s11
	s_and_b64 s[2:3], vcc, exec
	s_cselect_b32 s9, s5, 0
	s_cselect_b32 s8, s4, 0
	s_waitcnt vmcnt(0) lgkmcnt(0)
	s_barrier
	s_and_saveexec_b64 s[2:3], s[0:1]
	s_xor_b64 s[20:21], exec, s[2:3]
	s_cbranch_execz .LBB49_70
; %bb.54:
	s_lshl_b64 s[0:1], s[26:27], 3
	s_add_u32 s0, s16, s0
	s_addc_u32 s1, s17, s1
	s_load_dwordx2 s[0:1], s[0:1], 0x0
	s_waitcnt lgkmcnt(0)
	s_sub_u32 s38, s0, s6
	s_subb_u32 s39, s1, s7
	v_cmp_gt_i64_e32 vcc, s[38:39], v[0:1]
	s_and_saveexec_b64 s[40:41], vcc
	s_cbranch_execz .LBB49_69
; %bb.55:
	s_add_u32 s42, s26, -1
	s_addc_u32 s43, s27, -1
	s_add_u32 s2, s26, -2
	s_addc_u32 s3, s27, -1
	s_cmp_lg_u64 s[24:25], s[2:3]
	s_cselect_b64 s[2:3], -1, 0
	s_sub_u32 s44, s0, s30
	v_cndmask_b32_e64 v4, 0, 1, s[2:3]
	s_subb_u32 s45, s1, 0
	s_mov_b64 s[46:47], 0
	v_cmp_ne_u32_e64 s[0:1], 1, v4
	v_mov_b32_e32 v11, s17
	v_mov_b32_e32 v12, s19
	;; [unrolled: 1-line block ×3, first 2 shown]
	s_mov_b64 s[48:49], 0
	s_branch .LBB49_58
.LBB49_56:                              ;   in Loop: Header=BB49_58 Depth=1
	s_or_b64 exec, exec, s[2:3]
.LBB49_57:                              ;   in Loop: Header=BB49_58 Depth=1
	s_or_b64 exec, exec, s[4:5]
	v_mov_b32_e32 v7, s23
	v_add_co_u32_e32 v4, vcc, s22, v4
	v_addc_co_u32_e32 v5, vcc, v7, v5, vcc
	global_load_sbyte v4, v[4:5], off
	s_add_u32 s48, s48, 0x100
	s_addc_u32 s49, s49, 0
	v_mov_b32_e32 v5, s49
	s_waitcnt vmcnt(0) lgkmcnt(0)
	v_mul_lo_u32 v7, v9, v4
	v_add_co_u32_e32 v4, vcc, s48, v0
	v_addc_co_u32_e32 v5, vcc, 0, v5, vcc
	v_cmp_le_i64_e32 vcc, s[38:39], v[4:5]
	v_lshlrev_b32_e32 v4, 2, v6
	s_or_b64 s[46:47], vcc, s[46:47]
	ds_write_b32 v4, v7
	s_andn2_b64 exec, exec, s[46:47]
	s_cbranch_execz .LBB49_69
.LBB49_58:                              ; =>This Loop Header: Depth=1
                                        ;     Child Loop BB49_60 Depth 2
	v_mov_b32_e32 v4, s49
	v_add_co_u32_e32 v5, vcc, s48, v2
	v_addc_co_u32_e32 v6, vcc, v4, v3, vcc
	v_mov_b32_e32 v7, s24
	v_mov_b32_e32 v9, s42
	s_and_b64 vcc, exec, s[0:1]
	v_mov_b32_e32 v8, s25
	v_mov_b32_e32 v10, s43
	s_cbranch_vccnz .LBB49_62
; %bb.59:                               ;   in Loop: Header=BB49_58 Depth=1
	v_mov_b32_e32 v7, s24
	v_mov_b32_e32 v9, s42
	s_mov_b64 s[4:5], 0
	v_mov_b32_e32 v8, s25
	v_mov_b32_e32 v10, s43
.LBB49_60:                              ;   Parent Loop BB49_58 Depth=1
                                        ; =>  This Inner Loop Header: Depth=2
	v_add_co_u32_e32 v4, vcc, v9, v7
	v_addc_co_u32_e32 v15, vcc, v10, v8, vcc
	v_lshrrev_b32_e32 v14, 31, v15
	v_add_co_u32_e32 v14, vcc, v4, v14
	v_addc_co_u32_e32 v15, vcc, 0, v15, vcc
	v_ashrrev_i64 v[14:15], 1, v[14:15]
	v_mov_b32_e32 v19, s17
	v_lshlrev_b64 v[17:18], 3, v[14:15]
	v_add_co_u32_e32 v17, vcc, s16, v17
	v_addc_co_u32_e32 v18, vcc, v19, v18, vcc
	global_load_dwordx2 v[17:18], v[17:18], off
	s_waitcnt vmcnt(0)
	v_subrev_co_u32_e32 v17, vcc, s30, v17
	v_subbrev_co_u32_e32 v18, vcc, 0, v18, vcc
	v_cmp_lt_i64_e32 vcc, v[5:6], v[17:18]
	v_cndmask_b32_e32 v9, v9, v14, vcc
	v_cndmask_b32_e32 v10, v10, v15, vcc
	;; [unrolled: 1-line block ×3, first 2 shown]
	v_add_co_u32_e64 v14, s[2:3], -1, v9
	v_cndmask_b32_e32 v8, v15, v8, vcc
	v_addc_co_u32_e64 v15, s[2:3], -1, v10, s[2:3]
	v_cmp_ge_i64_e32 vcc, v[7:8], v[9:10]
	v_cmp_eq_u64_e64 s[2:3], v[7:8], v[14:15]
	s_or_b64 s[2:3], vcc, s[2:3]
	s_and_b64 s[2:3], exec, s[2:3]
	s_or_b64 s[4:5], s[2:3], s[4:5]
	s_andn2_b64 exec, exec, s[4:5]
	s_cbranch_execnz .LBB49_60
; %bb.61:                               ;   in Loop: Header=BB49_58 Depth=1
	s_or_b64 exec, exec, s[4:5]
.LBB49_62:                              ;   in Loop: Header=BB49_58 Depth=1
	v_lshlrev_b64 v[14:15], 3, v[9:10]
	v_lshlrev_b64 v[17:18], 2, v[5:6]
	v_add_co_u32_e32 v14, vcc, s16, v14
	v_addc_co_u32_e32 v15, vcc, v11, v15, vcc
	global_load_dwordx2 v[14:15], v[14:15], off
	v_add_co_u32_e32 v17, vcc, s18, v17
	v_addc_co_u32_e32 v18, vcc, v12, v18, vcc
	global_load_dword v4, v[17:18], off
	v_cmp_le_i64_e32 vcc, s[44:45], v[5:6]
	s_waitcnt vmcnt(1)
	v_subrev_co_u32_e64 v14, s[2:3], s30, v14
	v_subbrev_co_u32_e64 v15, s[2:3], 0, v15, s[2:3]
	v_cmp_lt_i64_e64 s[2:3], v[5:6], v[14:15]
	s_waitcnt vmcnt(0)
	v_subrev_u32_e32 v4, s30, v4
	v_cndmask_b32_e64 v8, v10, v8, s[2:3]
	v_ashrrev_i32_e32 v5, 31, v4
	v_cndmask_b32_e64 v7, v9, v7, s[2:3]
	v_cmp_eq_u64_e64 s[2:3], v[7:8], v[4:5]
	v_add_co_u32_e64 v6, s[4:5], s48, v0
	s_or_b64 s[2:3], s[2:3], vcc
	v_lshlrev_b32_e32 v10, 2, v6
                                        ; implicit-def: $vgpr9
	s_and_saveexec_b64 s[4:5], s[2:3]
	s_xor_b64 s[2:3], exec, s[4:5]
; %bb.63:                               ;   in Loop: Header=BB49_58 Depth=1
	ds_read_b32 v9, v10
                                        ; implicit-def: $vgpr10
                                        ; implicit-def: $vgpr7_vgpr8
; %bb.64:                               ;   in Loop: Header=BB49_58 Depth=1
	s_andn2_saveexec_b64 s[4:5], s[2:3]
	s_cbranch_execz .LBB49_57
; %bb.65:                               ;   in Loop: Header=BB49_58 Depth=1
	v_cmp_gt_i64_e32 vcc, s[8:9], v[4:5]
	v_cmp_le_i64_e64 s[2:3], s[26:27], v[4:5]
                                        ; implicit-def: $vgpr9
	s_or_b64 s[2:3], vcc, s[2:3]
	s_and_saveexec_b64 s[50:51], s[2:3]
	s_xor_b64 s[2:3], exec, s[50:51]
	s_cbranch_execz .LBB49_67
; %bb.66:                               ;   in Loop: Header=BB49_58 Depth=1
	s_waitcnt lgkmcnt(0)
	v_mov_b32_e32 v9, s23
	v_add_co_u32_e32 v7, vcc, s22, v7
	v_addc_co_u32_e32 v8, vcc, v9, v8, vcc
	global_load_sbyte v14, v[7:8], off
	ds_read_b32 v9, v10
	v_lshlrev_b64 v[7:8], 2, v[4:5]
	v_mov_b32_e32 v10, s15
	v_add_co_u32_e32 v7, vcc, s14, v7
	v_addc_co_u32_e32 v8, vcc, v10, v8, vcc
                                        ; implicit-def: $vgpr10
	s_waitcnt vmcnt(0) lgkmcnt(0)
	v_mul_lo_u32 v14, v9, v14
	global_atomic_add v[7:8], v14, off
                                        ; implicit-def: $vgpr7_vgpr8
.LBB49_67:                              ;   in Loop: Header=BB49_58 Depth=1
	s_andn2_saveexec_b64 s[2:3], s[2:3]
	s_cbranch_execz .LBB49_56
; %bb.68:                               ;   in Loop: Header=BB49_58 Depth=1
	s_waitcnt lgkmcnt(0)
	v_mov_b32_e32 v9, s23
	v_add_co_u32_e32 v7, vcc, s22, v7
	v_addc_co_u32_e32 v8, vcc, v9, v8, vcc
	global_load_sbyte v7, v[7:8], off
	ds_read_b32 v9, v10
	v_subrev_u32_e32 v8, s8, v4
	v_lshl_add_u32 v8, v8, 2, v13
	s_waitcnt vmcnt(0) lgkmcnt(0)
	v_mul_lo_u32 v7, v9, v7
	ds_add_u32 v8, v7
	s_branch .LBB49_56
.LBB49_69:
	s_or_b64 exec, exec, s[40:41]
                                        ; implicit-def: $vgpr4_vgpr5
                                        ; implicit-def: $vgpr2
.LBB49_70:
	s_andn2_saveexec_b64 s[4:5], s[20:21]
	s_cbranch_execz .LBB49_112
; %bb.71:
	s_add_u32 s20, s26, -1
	s_addc_u32 s21, s27, -1
	s_add_u32 s0, s26, -2
	s_addc_u32 s1, s27, -1
	s_cmp_lg_u64 s[24:25], s[0:1]
	v_mov_b32_e32 v8, s24
	v_mov_b32_e32 v10, s20
	s_cselect_b64 s[2:3], -1, 0
	s_cmp_eq_u64 s[24:25], s[0:1]
	v_mov_b32_e32 v9, s25
	v_mov_b32_e32 v11, s21
	s_cbranch_scc1 .LBB49_75
; %bb.72:
	v_mov_b32_e32 v8, s24
	v_mov_b32_e32 v10, s20
	s_mov_b64 s[38:39], 0
	v_mov_b32_e32 v9, s25
	v_mov_b32_e32 v11, s21
	;; [unrolled: 1-line block ×3, first 2 shown]
.LBB49_73:                              ; =>This Inner Loop Header: Depth=1
	v_add_co_u32_e32 v7, vcc, v10, v8
	v_addc_co_u32_e32 v13, vcc, v11, v9, vcc
	v_lshrrev_b32_e32 v12, 31, v13
	v_add_co_u32_e32 v12, vcc, v7, v12
	v_addc_co_u32_e32 v13, vcc, 0, v13, vcc
	v_ashrrev_i64 v[12:13], 1, v[12:13]
	v_lshlrev_b64 v[14:15], 3, v[12:13]
	v_add_co_u32_e32 v14, vcc, s16, v14
	v_addc_co_u32_e32 v15, vcc, v6, v15, vcc
	global_load_dwordx2 v[14:15], v[14:15], off
	s_waitcnt vmcnt(0)
	v_subrev_co_u32_e32 v14, vcc, s30, v14
	v_subbrev_co_u32_e32 v15, vcc, 0, v15, vcc
	v_cmp_lt_i64_e32 vcc, v[2:3], v[14:15]
	v_cndmask_b32_e32 v10, v10, v12, vcc
	v_cndmask_b32_e32 v11, v11, v13, vcc
	v_cndmask_b32_e32 v8, v12, v8, vcc
	v_add_co_u32_e64 v12, s[0:1], -1, v10
	v_cndmask_b32_e32 v9, v13, v9, vcc
	v_addc_co_u32_e64 v13, s[0:1], -1, v11, s[0:1]
	v_cmp_ge_i64_e32 vcc, v[8:9], v[10:11]
	v_cmp_eq_u64_e64 s[0:1], v[8:9], v[12:13]
	s_or_b64 s[0:1], vcc, s[0:1]
	s_and_b64 s[0:1], exec, s[0:1]
	s_or_b64 s[38:39], s[0:1], s[38:39]
	s_andn2_b64 exec, exec, s[38:39]
	s_cbranch_execnz .LBB49_73
; %bb.74:
	s_or_b64 exec, exec, s[38:39]
.LBB49_75:
	v_lshlrev_b64 v[6:7], 3, v[10:11]
	v_mov_b32_e32 v12, s17
	v_add_co_u32_e32 v6, vcc, s16, v6
	v_addc_co_u32_e32 v7, vcc, v12, v7, vcc
	global_load_dwordx2 v[12:13], v[6:7], off
	v_lshlrev_b64 v[6:7], 2, v[2:3]
	v_mov_b32_e32 v14, s19
	v_add_co_u32_e32 v6, vcc, s18, v6
	v_addc_co_u32_e32 v7, vcc, v14, v7, vcc
	global_load_dword v17, v[6:7], off
	s_lshl_b64 s[0:1], s[26:27], 3
	s_add_u32 s18, s16, s0
	s_addc_u32 s19, s17, s1
	s_waitcnt vmcnt(1)
	v_subrev_co_u32_e32 v14, vcc, s30, v12
	v_subbrev_co_u32_e32 v15, vcc, 0, v13, vcc
	v_cmp_lt_i64_e32 vcc, v[2:3], v[14:15]
	v_cndmask_b32_e32 v9, v11, v9, vcc
	s_waitcnt vmcnt(0)
	v_subrev_u32_e32 v12, s30, v17
	v_cndmask_b32_e32 v8, v10, v8, vcc
	v_ashrrev_i32_e32 v13, 31, v12
	v_cmp_ne_u64_e32 vcc, v[8:9], v[12:13]
	s_and_saveexec_b64 s[38:39], vcc
	s_cbranch_execz .LBB49_81
; %bb.76:
	s_load_dwordx2 s[0:1], s[18:19], 0x0
	s_waitcnt lgkmcnt(0)
	s_sub_u32 s0, s0, s30
	s_subb_u32 s1, s1, 0
	v_cmp_gt_i64_e32 vcc, s[0:1], v[2:3]
	s_and_b64 exec, exec, vcc
	s_cbranch_execz .LBB49_81
; %bb.77:
	v_cmp_gt_i64_e32 vcc, s[8:9], v[12:13]
	v_cmp_le_i64_e64 s[0:1], s[26:27], v[12:13]
	s_or_b64 s[0:1], vcc, s[0:1]
	s_and_saveexec_b64 s[40:41], s[0:1]
	s_xor_b64 s[0:1], exec, s[40:41]
	s_cbranch_execz .LBB49_79
; %bb.78:
	v_mov_b32_e32 v10, s23
	v_add_co_u32_e32 v8, vcc, s22, v8
	v_addc_co_u32_e32 v9, vcc, v10, v9, vcc
	global_load_sbyte v10, v[8:9], off
	ds_read_b32 v11, v16
	v_lshlrev_b64 v[8:9], 2, v[12:13]
	v_mov_b32_e32 v14, s15
	v_add_co_u32_e32 v8, vcc, s14, v8
	v_addc_co_u32_e32 v9, vcc, v14, v9, vcc
	s_waitcnt vmcnt(0) lgkmcnt(0)
	v_mul_lo_u32 v10, v11, v10
	global_atomic_add v[8:9], v10, off
                                        ; implicit-def: $vgpr8_vgpr9
.LBB49_79:
	s_andn2_saveexec_b64 s[0:1], s[0:1]
	s_cbranch_execz .LBB49_81
; %bb.80:
	v_mov_b32_e32 v10, s23
	v_add_co_u32_e32 v8, vcc, s22, v8
	v_addc_co_u32_e32 v9, vcc, v10, v9, vcc
	global_load_sbyte v8, v[8:9], off
	ds_read_b32 v9, v16
	v_mov_b32_e32 v10, 0x1000
	s_waitcnt vmcnt(0) lgkmcnt(0)
	v_mul_lo_u32 v8, v9, v8
	v_subrev_u32_e32 v9, s8, v12
	v_lshl_add_u32 v9, v9, 2, v10
	ds_add_u32 v9, v8
.LBB49_81:
	s_or_b64 exec, exec, s[38:39]
	v_mov_b32_e32 v9, s23
	v_add_co_u32_e32 v8, vcc, s22, v12
	v_addc_co_u32_e32 v9, vcc, v9, v13, vcc
	global_load_sbyte v9, v[8:9], off
	ds_read_b32 v12, v16
	v_add_co_u32_e32 v8, vcc, 0x100, v2
	v_cndmask_b32_e64 v13, 0, 1, s[2:3]
	v_mov_b32_e32 v10, s24
	v_cmp_ne_u32_e64 s[0:1], 1, v13
	v_mov_b32_e32 v11, s25
	s_waitcnt vmcnt(0) lgkmcnt(0)
	v_mul_lo_u32 v12, v12, v9
	v_addc_co_u32_e32 v9, vcc, 0, v3, vcc
	s_andn2_b64 vcc, exec, s[2:3]
	ds_write_b32 v16, v12
	v_mov_b32_e32 v12, s20
	v_mov_b32_e32 v13, s21
	s_cbranch_vccnz .LBB49_85
; %bb.82:
	v_mov_b32_e32 v10, s24
	v_mov_b32_e32 v12, s20
	s_mov_b64 s[38:39], 0
	v_mov_b32_e32 v11, s25
	v_mov_b32_e32 v13, s21
	;; [unrolled: 1-line block ×3, first 2 shown]
.LBB49_83:                              ; =>This Inner Loop Header: Depth=1
	v_add_co_u32_e32 v15, vcc, v12, v10
	v_addc_co_u32_e32 v18, vcc, v13, v11, vcc
	v_lshrrev_b32_e32 v17, 31, v18
	v_add_co_u32_e32 v17, vcc, v15, v17
	v_addc_co_u32_e32 v18, vcc, 0, v18, vcc
	v_ashrrev_i64 v[17:18], 1, v[17:18]
	v_lshlrev_b64 v[19:20], 3, v[17:18]
	v_add_co_u32_e32 v19, vcc, s16, v19
	v_addc_co_u32_e32 v20, vcc, v14, v20, vcc
	global_load_dwordx2 v[19:20], v[19:20], off
	s_waitcnt vmcnt(0)
	v_subrev_co_u32_e32 v19, vcc, s30, v19
	v_subbrev_co_u32_e32 v20, vcc, 0, v20, vcc
	v_cmp_lt_i64_e32 vcc, v[8:9], v[19:20]
	v_cndmask_b32_e32 v12, v12, v17, vcc
	v_cndmask_b32_e32 v13, v13, v18, vcc
	;; [unrolled: 1-line block ×3, first 2 shown]
	v_add_co_u32_e64 v17, s[2:3], -1, v12
	v_cndmask_b32_e32 v11, v18, v11, vcc
	v_addc_co_u32_e64 v18, s[2:3], -1, v13, s[2:3]
	v_cmp_ge_i64_e32 vcc, v[10:11], v[12:13]
	v_cmp_eq_u64_e64 s[2:3], v[10:11], v[17:18]
	s_or_b64 s[2:3], vcc, s[2:3]
	s_and_b64 s[2:3], exec, s[2:3]
	s_or_b64 s[38:39], s[2:3], s[38:39]
	s_andn2_b64 exec, exec, s[38:39]
	s_cbranch_execnz .LBB49_83
; %bb.84:
	s_or_b64 exec, exec, s[38:39]
.LBB49_85:
	v_lshlrev_b64 v[14:15], 3, v[12:13]
	v_mov_b32_e32 v17, s17
	v_add_co_u32_e32 v14, vcc, s16, v14
	v_addc_co_u32_e32 v15, vcc, v17, v15, vcc
	global_load_dwordx2 v[17:18], v[14:15], off
	global_load_dword v19, v[6:7], off offset:1024
	s_waitcnt vmcnt(1)
	v_subrev_co_u32_e32 v17, vcc, s30, v17
	v_subbrev_co_u32_e32 v18, vcc, 0, v18, vcc
	v_cmp_lt_i64_e32 vcc, v[8:9], v[17:18]
	s_waitcnt vmcnt(0)
	v_subrev_u32_e32 v14, s30, v19
	v_cndmask_b32_e32 v11, v13, v11, vcc
	v_cndmask_b32_e32 v10, v12, v10, vcc
	v_ashrrev_i32_e32 v15, 31, v14
	v_cmp_ne_u64_e32 vcc, v[10:11], v[14:15]
	s_and_saveexec_b64 s[38:39], vcc
	s_cbranch_execz .LBB49_91
; %bb.86:
	s_load_dwordx2 s[2:3], s[18:19], 0x0
	s_waitcnt lgkmcnt(0)
	s_sub_u32 s2, s2, s30
	s_subb_u32 s3, s3, 0
	v_cmp_gt_i64_e32 vcc, s[2:3], v[8:9]
	s_and_b64 exec, exec, vcc
	s_cbranch_execz .LBB49_91
; %bb.87:
	v_cmp_gt_i64_e32 vcc, s[8:9], v[14:15]
	v_cmp_le_i64_e64 s[2:3], s[26:27], v[14:15]
	s_or_b64 s[2:3], vcc, s[2:3]
	s_and_saveexec_b64 s[40:41], s[2:3]
	s_xor_b64 s[2:3], exec, s[40:41]
	s_cbranch_execz .LBB49_89
; %bb.88:
	v_mov_b32_e32 v9, s23
	v_add_co_u32_e32 v8, vcc, s22, v10
	v_addc_co_u32_e32 v9, vcc, v9, v11, vcc
	global_load_sbyte v10, v[8:9], off
	ds_read_b32 v11, v16 offset:1024
	v_lshlrev_b64 v[8:9], 2, v[14:15]
	v_mov_b32_e32 v12, s15
	v_add_co_u32_e32 v8, vcc, s14, v8
	v_addc_co_u32_e32 v9, vcc, v12, v9, vcc
	s_waitcnt vmcnt(0) lgkmcnt(0)
	v_mul_lo_u32 v10, v11, v10
	global_atomic_add v[8:9], v10, off
                                        ; implicit-def: $vgpr10_vgpr11
.LBB49_89:
	s_andn2_saveexec_b64 s[2:3], s[2:3]
	s_cbranch_execz .LBB49_91
; %bb.90:
	v_mov_b32_e32 v9, s23
	v_add_co_u32_e32 v8, vcc, s22, v10
	v_addc_co_u32_e32 v9, vcc, v9, v11, vcc
	global_load_sbyte v8, v[8:9], off
	ds_read_b32 v9, v16 offset:1024
	v_mov_b32_e32 v10, 0x1000
	s_waitcnt vmcnt(0) lgkmcnt(0)
	v_mul_lo_u32 v8, v9, v8
	v_subrev_u32_e32 v9, s8, v14
	v_lshl_add_u32 v9, v9, 2, v10
	ds_add_u32 v9, v8
.LBB49_91:
	s_or_b64 exec, exec, s[38:39]
	v_mov_b32_e32 v9, s23
	v_add_co_u32_e32 v8, vcc, s22, v14
	v_addc_co_u32_e32 v9, vcc, v9, v15, vcc
	global_load_sbyte v10, v[8:9], off
	ds_read_b32 v11, v16 offset:1024
	v_add_co_u32_e32 v2, vcc, 0x200, v2
	v_mov_b32_e32 v8, s24
	v_addc_co_u32_e32 v3, vcc, 0, v3, vcc
	v_mov_b32_e32 v9, s25
	s_and_b64 vcc, exec, s[0:1]
	s_waitcnt vmcnt(0) lgkmcnt(0)
	v_mul_lo_u32 v10, v11, v10
	ds_write_b32 v16, v10 offset:1024
	v_mov_b32_e32 v10, s20
	v_mov_b32_e32 v11, s21
	s_cbranch_vccnz .LBB49_95
; %bb.92:
	v_mov_b32_e32 v8, s24
	v_mov_b32_e32 v10, s20
	s_mov_b64 s[38:39], 0
	v_mov_b32_e32 v9, s25
	v_mov_b32_e32 v11, s21
	;; [unrolled: 1-line block ×3, first 2 shown]
.LBB49_93:                              ; =>This Inner Loop Header: Depth=1
	v_add_co_u32_e32 v13, vcc, v10, v8
	v_addc_co_u32_e32 v14, vcc, v11, v9, vcc
	v_lshrrev_b32_e32 v15, 31, v14
	v_add_co_u32_e32 v13, vcc, v13, v15
	v_addc_co_u32_e32 v14, vcc, 0, v14, vcc
	v_ashrrev_i64 v[13:14], 1, v[13:14]
	v_lshlrev_b64 v[17:18], 3, v[13:14]
	v_add_co_u32_e32 v17, vcc, s16, v17
	v_addc_co_u32_e32 v18, vcc, v12, v18, vcc
	global_load_dwordx2 v[17:18], v[17:18], off
	s_waitcnt vmcnt(0)
	v_subrev_co_u32_e32 v17, vcc, s30, v17
	v_subbrev_co_u32_e32 v18, vcc, 0, v18, vcc
	v_cmp_lt_i64_e32 vcc, v[2:3], v[17:18]
	v_cndmask_b32_e32 v10, v10, v13, vcc
	v_cndmask_b32_e32 v11, v11, v14, vcc
	;; [unrolled: 1-line block ×3, first 2 shown]
	v_add_co_u32_e64 v13, s[2:3], -1, v10
	v_cndmask_b32_e32 v9, v14, v9, vcc
	v_addc_co_u32_e64 v14, s[2:3], -1, v11, s[2:3]
	v_cmp_ge_i64_e32 vcc, v[8:9], v[10:11]
	v_cmp_eq_u64_e64 s[2:3], v[8:9], v[13:14]
	s_or_b64 s[2:3], vcc, s[2:3]
	s_and_b64 s[2:3], exec, s[2:3]
	s_or_b64 s[38:39], s[2:3], s[38:39]
	s_andn2_b64 exec, exec, s[38:39]
	s_cbranch_execnz .LBB49_93
; %bb.94:
	s_or_b64 exec, exec, s[38:39]
.LBB49_95:
	v_lshlrev_b64 v[12:13], 3, v[10:11]
	v_mov_b32_e32 v14, s17
	v_add_co_u32_e32 v12, vcc, s16, v12
	v_addc_co_u32_e32 v13, vcc, v14, v13, vcc
	global_load_dwordx2 v[13:14], v[12:13], off
	s_waitcnt vmcnt(0)
	v_subrev_co_u32_e32 v13, vcc, s30, v13
	global_load_dword v15, v[6:7], off offset:2048
	v_subbrev_co_u32_e32 v14, vcc, 0, v14, vcc
	v_cmp_lt_i64_e32 vcc, v[2:3], v[13:14]
	v_cndmask_b32_e32 v9, v11, v9, vcc
	v_cndmask_b32_e32 v8, v10, v8, vcc
	s_waitcnt vmcnt(0)
	v_subrev_u32_e32 v12, s30, v15
	v_ashrrev_i32_e32 v13, 31, v12
	v_cmp_ne_u64_e32 vcc, v[8:9], v[12:13]
	s_and_saveexec_b64 s[38:39], vcc
	s_cbranch_execz .LBB49_101
; %bb.96:
	s_load_dwordx2 s[2:3], s[18:19], 0x0
	s_waitcnt lgkmcnt(0)
	s_sub_u32 s2, s2, s30
	s_subb_u32 s3, s3, 0
	v_cmp_gt_i64_e32 vcc, s[2:3], v[2:3]
	s_and_b64 exec, exec, vcc
	s_cbranch_execz .LBB49_101
; %bb.97:
	v_cmp_gt_i64_e32 vcc, s[8:9], v[12:13]
	v_cmp_le_i64_e64 s[2:3], s[26:27], v[12:13]
	s_or_b64 s[2:3], vcc, s[2:3]
	s_and_saveexec_b64 s[40:41], s[2:3]
	s_xor_b64 s[2:3], exec, s[40:41]
	s_cbranch_execz .LBB49_99
; %bb.98:
	v_mov_b32_e32 v3, s23
	v_add_co_u32_e32 v2, vcc, s22, v8
	v_addc_co_u32_e32 v3, vcc, v3, v9, vcc
	global_load_sbyte v8, v[2:3], off
	ds_read_b32 v9, v16 offset:2048
	v_lshlrev_b64 v[2:3], 2, v[12:13]
	v_mov_b32_e32 v10, s15
	v_add_co_u32_e32 v2, vcc, s14, v2
	v_addc_co_u32_e32 v3, vcc, v10, v3, vcc
	s_waitcnt vmcnt(0) lgkmcnt(0)
	v_mul_lo_u32 v8, v9, v8
	global_atomic_add v[2:3], v8, off
                                        ; implicit-def: $vgpr8_vgpr9
.LBB49_99:
	s_andn2_saveexec_b64 s[2:3], s[2:3]
	s_cbranch_execz .LBB49_101
; %bb.100:
	v_mov_b32_e32 v3, s23
	v_add_co_u32_e32 v2, vcc, s22, v8
	v_addc_co_u32_e32 v3, vcc, v3, v9, vcc
	global_load_sbyte v2, v[2:3], off
	ds_read_b32 v3, v16 offset:2048
	v_mov_b32_e32 v8, 0x1000
	s_waitcnt vmcnt(0) lgkmcnt(0)
	v_mul_lo_u32 v2, v3, v2
	v_subrev_u32_e32 v3, s8, v12
	v_lshl_add_u32 v3, v3, 2, v8
	ds_add_u32 v3, v2
.LBB49_101:
	s_or_b64 exec, exec, s[38:39]
	v_mov_b32_e32 v3, s23
	v_add_co_u32_e32 v2, vcc, s22, v12
	v_addc_co_u32_e32 v3, vcc, v3, v13, vcc
	global_load_sbyte v2, v[2:3], off
	ds_read_b32 v3, v16 offset:2048
	s_and_b64 vcc, exec, s[0:1]
	s_waitcnt vmcnt(0) lgkmcnt(0)
	v_mul_lo_u32 v8, v3, v2
	v_mov_b32_e32 v2, s24
	v_mov_b32_e32 v3, s25
	ds_write_b32 v16, v8 offset:2048
	v_mov_b32_e32 v8, s20
	v_mov_b32_e32 v9, s21
	s_cbranch_vccnz .LBB49_105
; %bb.102:
	v_mov_b32_e32 v2, s24
	v_mov_b32_e32 v8, s20
	s_mov_b64 s[2:3], 0
	v_mov_b32_e32 v3, s25
	v_mov_b32_e32 v9, s21
	;; [unrolled: 1-line block ×3, first 2 shown]
.LBB49_103:                             ; =>This Inner Loop Header: Depth=1
	v_add_co_u32_e32 v11, vcc, v8, v2
	v_addc_co_u32_e32 v12, vcc, v9, v3, vcc
	v_lshrrev_b32_e32 v13, 31, v12
	v_add_co_u32_e32 v11, vcc, v11, v13
	v_addc_co_u32_e32 v12, vcc, 0, v12, vcc
	v_ashrrev_i64 v[11:12], 1, v[11:12]
	v_lshlrev_b64 v[13:14], 3, v[11:12]
	v_add_co_u32_e32 v13, vcc, s16, v13
	v_addc_co_u32_e32 v14, vcc, v10, v14, vcc
	global_load_dwordx2 v[13:14], v[13:14], off
	s_waitcnt vmcnt(0)
	v_subrev_co_u32_e32 v13, vcc, s30, v13
	v_subbrev_co_u32_e32 v14, vcc, 0, v14, vcc
	v_cmp_lt_i64_e32 vcc, v[4:5], v[13:14]
	v_cndmask_b32_e32 v8, v8, v11, vcc
	v_cndmask_b32_e32 v9, v9, v12, vcc
	;; [unrolled: 1-line block ×3, first 2 shown]
	v_add_co_u32_e64 v11, s[0:1], -1, v8
	v_cndmask_b32_e32 v3, v12, v3, vcc
	v_addc_co_u32_e64 v12, s[0:1], -1, v9, s[0:1]
	v_cmp_ge_i64_e32 vcc, v[2:3], v[8:9]
	v_cmp_eq_u64_e64 s[0:1], v[2:3], v[11:12]
	s_or_b64 s[0:1], vcc, s[0:1]
	s_and_b64 s[0:1], exec, s[0:1]
	s_or_b64 s[2:3], s[0:1], s[2:3]
	s_andn2_b64 exec, exec, s[2:3]
	s_cbranch_execnz .LBB49_103
; %bb.104:
	s_or_b64 exec, exec, s[2:3]
.LBB49_105:
	v_lshlrev_b64 v[10:11], 3, v[8:9]
	v_mov_b32_e32 v12, s17
	global_load_dword v13, v[6:7], off offset:3072
	v_add_co_u32_e32 v6, vcc, s16, v10
	v_addc_co_u32_e32 v7, vcc, v12, v11, vcc
	global_load_dwordx2 v[10:11], v[6:7], off
	s_waitcnt vmcnt(1)
	v_subrev_u32_e32 v6, s30, v13
	v_ashrrev_i32_e32 v7, 31, v6
	s_waitcnt vmcnt(0)
	v_subrev_co_u32_e32 v10, vcc, s30, v10
	v_subbrev_co_u32_e32 v11, vcc, 0, v11, vcc
	v_cmp_lt_i64_e32 vcc, v[4:5], v[10:11]
	v_cndmask_b32_e32 v3, v9, v3, vcc
	v_cndmask_b32_e32 v2, v8, v2, vcc
	v_cmp_ne_u64_e32 vcc, v[2:3], v[6:7]
	s_and_saveexec_b64 s[2:3], vcc
	s_cbranch_execz .LBB49_111
; %bb.106:
	s_load_dwordx2 s[0:1], s[18:19], 0x0
	s_waitcnt lgkmcnt(0)
	s_sub_u32 s0, s0, s30
	s_subb_u32 s1, s1, 0
	v_cmp_gt_i64_e32 vcc, s[0:1], v[4:5]
	s_and_b64 exec, exec, vcc
	s_cbranch_execz .LBB49_111
; %bb.107:
	v_cmp_gt_i64_e32 vcc, s[8:9], v[6:7]
	v_cmp_le_i64_e64 s[0:1], s[26:27], v[6:7]
	s_or_b64 s[0:1], vcc, s[0:1]
	s_and_saveexec_b64 s[18:19], s[0:1]
	s_xor_b64 s[0:1], exec, s[18:19]
	s_cbranch_execz .LBB49_109
; %bb.108:
	v_mov_b32_e32 v4, s23
	v_add_co_u32_e32 v2, vcc, s22, v2
	v_addc_co_u32_e32 v3, vcc, v4, v3, vcc
	global_load_sbyte v4, v[2:3], off
	ds_read_b32 v5, v16 offset:3072
	v_lshlrev_b64 v[2:3], 2, v[6:7]
	v_mov_b32_e32 v8, s15
	v_add_co_u32_e32 v2, vcc, s14, v2
	v_addc_co_u32_e32 v3, vcc, v8, v3, vcc
	s_waitcnt vmcnt(0) lgkmcnt(0)
	v_mul_lo_u32 v4, v5, v4
	global_atomic_add v[2:3], v4, off
                                        ; implicit-def: $vgpr2_vgpr3
.LBB49_109:
	s_andn2_saveexec_b64 s[0:1], s[0:1]
	s_cbranch_execz .LBB49_111
; %bb.110:
	v_mov_b32_e32 v4, s23
	v_add_co_u32_e32 v2, vcc, s22, v2
	v_addc_co_u32_e32 v3, vcc, v4, v3, vcc
	global_load_sbyte v2, v[2:3], off
	ds_read_b32 v3, v16 offset:3072
	v_mov_b32_e32 v4, 0x1000
	s_waitcnt vmcnt(0) lgkmcnt(0)
	v_mul_lo_u32 v2, v3, v2
	v_subrev_u32_e32 v3, s8, v6
	v_lshl_add_u32 v3, v3, 2, v4
	ds_add_u32 v3, v2
.LBB49_111:
	s_or_b64 exec, exec, s[2:3]
	v_mov_b32_e32 v3, s23
	v_add_co_u32_e32 v2, vcc, s22, v6
	v_addc_co_u32_e32 v3, vcc, v3, v7, vcc
	global_load_sbyte v2, v[2:3], off
	ds_read_b32 v3, v16 offset:3072
	s_waitcnt vmcnt(0) lgkmcnt(0)
	v_mul_lo_u32 v2, v3, v2
	ds_write_b32 v16, v2 offset:3072
.LBB49_112:
	s_or_b64 exec, exec, s[4:5]
	v_mov_b32_e32 v2, s10
	v_mov_b32_e32 v3, s11
	v_cmp_lt_i64_e32 vcc, s[26:27], v[2:3]
	s_waitcnt lgkmcnt(0)
	s_and_b64 s[0:1], vcc, exec
	s_cselect_b32 s8, s26, s10
	s_cselect_b32 s0, s27, s11
	s_sub_u32 s2, s8, s28
	s_subb_u32 s3, s0, s29
	v_cmp_gt_i64_e32 vcc, s[2:3], v[0:1]
	s_barrier
	s_and_saveexec_b64 s[0:1], vcc
	s_cbranch_execz .LBB49_115
; %bb.113:
	v_mov_b32_e32 v2, s10
	v_mov_b32_e32 v3, s11
	v_cmp_gt_i64_e32 vcc, s[26:27], v[2:3]
	v_lshlrev_b32_e32 v2, 2, v0
	s_and_b64 s[4:5], vcc, exec
	s_cselect_b32 s5, s27, s11
	s_cselect_b32 s4, s26, s10
	s_lshl_b64 s[4:5], s[4:5], 2
	v_mov_b32_e32 v3, s5
	v_add_co_u32_e32 v2, vcc, s4, v2
	v_addc_co_u32_e32 v3, vcc, 0, v3, vcc
	s_lshl_b64 s[4:5], s[10:11], 2
	v_mov_b32_e32 v4, s5
	v_subrev_co_u32_e32 v2, vcc, s4, v2
	v_subb_co_u32_e32 v3, vcc, v3, v4, vcc
	v_mov_b32_e32 v4, s15
	v_add_co_u32_e32 v2, vcc, s14, v2
	v_addc_co_u32_e32 v3, vcc, v4, v3, vcc
	v_mov_b32_e32 v4, 0x1000
	v_lshl_add_u32 v6, v0, 2, v4
	v_mov_b32_e32 v5, v1
	s_mov_b64 s[4:5], 0
	v_mov_b32_e32 v4, v0
.LBB49_114:                             ; =>This Inner Loop Header: Depth=1
	ds_read_b32 v7, v6
	v_add_co_u32_e32 v4, vcc, 0x100, v4
	v_addc_co_u32_e32 v5, vcc, 0, v5, vcc
	s_waitcnt lgkmcnt(0)
	global_atomic_add v[2:3], v7, off
	v_cmp_le_i64_e32 vcc, s[2:3], v[4:5]
	v_add_u32_e32 v6, 0x400, v6
	s_or_b64 s[4:5], vcc, s[4:5]
	v_add_co_u32_e32 v2, vcc, 0x400, v2
	v_addc_co_u32_e32 v3, vcc, 0, v3, vcc
	s_andn2_b64 exec, exec, s[4:5]
	s_cbranch_execnz .LBB49_114
.LBB49_115:
	s_or_b64 exec, exec, s[0:1]
	s_add_i32 s0, s36, -1
	s_ashr_i32 s1, s0, 1
	s_or_b32 s0, s1, s0
	s_ashr_i32 s1, s0, 2
	s_or_b32 s0, s1, s0
	;; [unrolled: 2-line block ×5, first 2 shown]
	s_add_i32 s0, s0, 1
	s_ashr_i32 s3, s0, 1
	v_mov_b32_e32 v2, s25
	v_add_co_u32_e32 v6, vcc, s24, v0
	v_addc_co_u32_e32 v7, vcc, 0, v2, vcc
	s_cmp_gt_i32 s3, 1
	s_mov_b64 s[0:1], -1
	s_waitcnt vmcnt(0)
	s_barrier
	s_cbranch_scc1 .LBB49_124
; %bb.116:
	v_cmp_gt_i64_e32 vcc, s[26:27], v[6:7]
	s_and_saveexec_b64 s[0:1], vcc
	s_cbranch_execz .LBB49_123
; %bb.117:
	s_sub_i32 s4, s8, s26
	s_lshl_b32 s4, s4, 2
	s_add_i32 s13, s4, 0x1000
	s_lshl_b32 s4, s6, 2
	v_mov_b32_e32 v9, v7
	s_sub_i32 s18, 0, s4
	s_mov_b64 s[4:5], 0
	v_mov_b32_e32 v12, s17
	v_mov_b32_e32 v13, s15
	v_mov_b32_e32 v8, v6
	s_branch .LBB49_119
.LBB49_118:                             ;   in Loop: Header=BB49_119 Depth=1
	s_or_b64 exec, exec, s[8:9]
	v_lshl_add_u32 v2, v8, 2, s13
	ds_read_b32 v4, v2
	v_lshlrev_b64 v[2:3], 2, v[8:9]
	v_add_co_u32_e32 v2, vcc, s14, v2
	s_waitcnt lgkmcnt(0)
	v_add_u32_e32 v4, v4, v14
	v_addc_co_u32_e32 v3, vcc, v13, v3, vcc
	global_atomic_add v[2:3], v4, off
	v_add_co_u32_e32 v8, vcc, s12, v8
	v_addc_co_u32_e32 v9, vcc, 0, v9, vcc
	v_cmp_le_i64_e32 vcc, s[26:27], v[8:9]
	s_or_b64 s[4:5], vcc, s[4:5]
	s_andn2_b64 exec, exec, s[4:5]
	s_cbranch_execz .LBB49_123
.LBB49_119:                             ; =>This Loop Header: Depth=1
                                        ;     Child Loop BB49_121 Depth 2
	v_lshlrev_b64 v[2:3], 3, v[8:9]
	v_mov_b32_e32 v14, 0
	v_add_co_u32_e32 v2, vcc, s16, v2
	v_addc_co_u32_e32 v3, vcc, v12, v3, vcc
	global_load_dwordx4 v[2:5], v[2:3], off
	s_waitcnt vmcnt(0)
	v_cmp_lt_i64_e32 vcc, v[2:3], v[4:5]
	s_and_saveexec_b64 s[8:9], vcc
	s_cbranch_execz .LBB49_118
; %bb.120:                              ;   in Loop: Header=BB49_119 Depth=1
	v_mov_b32_e32 v10, s7
	v_subrev_co_u32_e32 v4, vcc, s6, v4
	v_subb_co_u32_e32 v5, vcc, v5, v10, vcc
	v_mov_b32_e32 v11, s7
	v_subrev_co_u32_e32 v10, vcc, s6, v2
	v_subb_co_u32_e32 v11, vcc, v3, v11, vcc
	v_lshl_add_u32 v2, v2, 2, s18
	v_mov_b32_e32 v14, 0
	s_mov_b64 s[10:11], 0
.LBB49_121:                             ;   Parent Loop BB49_119 Depth=1
                                        ; =>  This Inner Loop Header: Depth=2
	ds_read_b32 v3, v2
	v_add_co_u32_e32 v10, vcc, 1, v10
	v_addc_co_u32_e32 v11, vcc, 0, v11, vcc
	v_cmp_ge_i64_e32 vcc, v[10:11], v[4:5]
	v_add_u32_e32 v2, 4, v2
	s_or_b64 s[10:11], vcc, s[10:11]
	s_waitcnt lgkmcnt(0)
	v_add_u32_e32 v14, v3, v14
	s_andn2_b64 exec, exec, s[10:11]
	s_cbranch_execnz .LBB49_121
; %bb.122:                              ;   in Loop: Header=BB49_119 Depth=1
	s_or_b64 exec, exec, s[10:11]
	s_branch .LBB49_118
.LBB49_123:
	s_or_b64 exec, exec, s[0:1]
	s_mov_b64 s[0:1], 0
.LBB49_124:
	s_andn2_b64 vcc, exec, s[0:1]
	s_cbranch_vccnz .LBB49_141
; %bb.125:
	v_cvt_f32_u32_e32 v2, s3
	s_sub_i32 s8, 0, s3
	v_mov_b32_e32 v5, 0
	v_mov_b32_e32 v8, s35
	v_rcp_iflag_f32_e32 v2, v2
	v_mov_b32_e32 v13, s7
	v_mul_f32_e32 v2, 0x4f7ffffe, v2
	v_cvt_u32_f32_e32 v2, v2
	v_mul_lo_u32 v3, s8, v2
	v_mul_hi_u32 v3, v2, v3
	v_add_u32_e32 v2, v2, v3
	v_mul_hi_u32 v2, v0, v2
	v_mul_lo_u32 v3, v2, s3
	v_add_u32_e32 v4, 1, v2
	v_sub_u32_e32 v3, v0, v3
	v_cmp_le_u32_e32 vcc, s3, v3
	v_cndmask_b32_e32 v2, v2, v4, vcc
	v_subrev_u32_e32 v4, s3, v3
	v_cndmask_b32_e32 v3, v3, v4, vcc
	v_add_u32_e32 v4, 1, v2
	v_cmp_le_u32_e32 vcc, s3, v3
	v_cndmask_b32_e32 v4, v2, v4, vcc
	v_lshlrev_b64 v[2:3], 3, v[4:5]
	v_add_co_u32_e32 v2, vcc, s34, v2
	v_addc_co_u32_e32 v3, vcc, v8, v3, vcc
	global_load_dwordx4 v[8:11], v[2:3], off
	v_mov_b32_e32 v3, s7
	s_waitcnt vmcnt(0)
	v_subrev_co_u32_e32 v2, vcc, s6, v8
	v_subb_co_u32_e32 v3, vcc, v9, v3, vcc
	v_subrev_co_u32_e32 v12, vcc, s6, v10
	v_subb_co_u32_e32 v13, vcc, v11, v13, vcc
	v_sub_co_u32_e32 v11, vcc, v12, v2
	v_subb_co_u32_e32 v10, vcc, v13, v3, vcc
	v_mov_b32_e32 v9, v5
	v_cmp_ne_u64_e32 vcc, 0, v[9:10]
                                        ; implicit-def: $vgpr8_vgpr9
	s_and_saveexec_b64 s[0:1], vcc
	s_xor_b64 s[4:5], exec, s[0:1]
	s_cbranch_execz .LBB49_127
; %bb.126:
	s_add_u32 s0, s3, 0
	s_addc_u32 s1, 0, 0
	s_xor_b64 s[6:7], s[0:1], 0
	v_cvt_f32_u32_e32 v8, s6
	v_cvt_f32_u32_e32 v9, s7
	s_sub_u32 s9, 0, s6
	s_subb_u32 s10, 0, s7
	v_ashrrev_i32_e32 v14, 31, v10
	v_madmk_f32 v8, v9, 0x4f800000, v8
	v_rcp_f32_e32 v8, v8
	v_mul_f32_e32 v8, 0x5f7ffffc, v8
	v_mul_f32_e32 v9, 0x2f800000, v8
	v_trunc_f32_e32 v9, v9
	v_madmk_f32 v8, v9, 0xcf800000, v8
	v_cvt_u32_f32_e32 v9, v9
	v_cvt_u32_f32_e32 v8, v8
	v_readfirstlane_b32 s11, v9
	v_readfirstlane_b32 s0, v8
	s_mul_i32 s1, s9, s11
	s_mul_hi_u32 s13, s9, s0
	s_mul_i32 s12, s10, s0
	s_add_i32 s1, s13, s1
	s_mul_i32 s16, s9, s0
	s_add_i32 s1, s1, s12
	s_mul_i32 s13, s0, s1
	s_mul_hi_u32 s17, s0, s16
	s_mul_hi_u32 s12, s0, s1
	s_add_u32 s13, s17, s13
	s_addc_u32 s12, 0, s12
	s_mul_hi_u32 s18, s11, s16
	s_mul_i32 s16, s11, s16
	s_add_u32 s13, s13, s16
	s_mul_hi_u32 s17, s11, s1
	s_addc_u32 s12, s12, s18
	s_addc_u32 s13, s17, 0
	s_mul_i32 s1, s11, s1
	s_add_u32 s1, s12, s1
	s_addc_u32 s12, 0, s13
	s_add_u32 s13, s0, s1
	s_cselect_b64 s[0:1], -1, 0
	s_cmp_lg_u64 s[0:1], 0
	s_addc_u32 s11, s11, s12
	s_mul_i32 s0, s9, s11
	s_mul_hi_u32 s1, s9, s13
	s_add_i32 s0, s1, s0
	s_mul_i32 s10, s10, s13
	s_add_i32 s0, s0, s10
	s_mul_i32 s9, s9, s13
	s_mul_hi_u32 s10, s11, s9
	s_mul_i32 s12, s11, s9
	s_mul_i32 s17, s13, s0
	s_mul_hi_u32 s9, s13, s9
	s_mul_hi_u32 s16, s13, s0
	s_add_u32 s9, s9, s17
	s_addc_u32 s16, 0, s16
	s_add_u32 s9, s9, s12
	s_mul_hi_u32 s1, s11, s0
	s_addc_u32 s9, s16, s10
	s_addc_u32 s1, s1, 0
	s_mul_i32 s0, s11, s0
	s_add_u32 s0, s9, s0
	s_addc_u32 s9, 0, s1
	s_add_u32 s10, s13, s0
	s_cselect_b64 s[0:1], -1, 0
	s_cmp_lg_u64 s[0:1], 0
	v_add_co_u32_e32 v8, vcc, v11, v14
	s_addc_u32 s9, s11, s9
	v_xor_b32_e32 v15, v8, v14
	v_mad_u64_u32 v[8:9], s[0:1], v15, s9, 0
	v_mul_hi_u32 v11, v15, s10
	v_addc_co_u32_e32 v10, vcc, v10, v14, vcc
	v_xor_b32_e32 v17, v10, v14
	v_add_co_u32_e32 v18, vcc, v11, v8
	v_addc_co_u32_e32 v19, vcc, 0, v9, vcc
	v_mad_u64_u32 v[8:9], s[0:1], v17, s10, 0
	v_mad_u64_u32 v[10:11], s[0:1], v17, s9, 0
	v_add_co_u32_e32 v8, vcc, v18, v8
	v_addc_co_u32_e32 v8, vcc, v19, v9, vcc
	v_addc_co_u32_e32 v9, vcc, 0, v11, vcc
	v_add_co_u32_e32 v10, vcc, v8, v10
	v_addc_co_u32_e32 v11, vcc, 0, v9, vcc
	v_mul_lo_u32 v18, s7, v10
	v_mul_lo_u32 v19, s6, v11
	v_mad_u64_u32 v[8:9], s[0:1], s6, v10, 0
	v_add3_u32 v9, v9, v19, v18
	v_sub_u32_e32 v18, v17, v9
	v_mov_b32_e32 v19, s7
	v_sub_co_u32_e32 v8, vcc, v15, v8
	v_subb_co_u32_e64 v15, s[0:1], v18, v19, vcc
	v_subrev_co_u32_e64 v18, s[0:1], s6, v8
	v_subbrev_co_u32_e64 v15, s[0:1], 0, v15, s[0:1]
	v_cmp_le_u32_e64 s[0:1], s7, v15
	v_cndmask_b32_e64 v19, 0, -1, s[0:1]
	v_cmp_le_u32_e64 s[0:1], s6, v18
	v_cndmask_b32_e64 v18, 0, -1, s[0:1]
	v_cmp_eq_u32_e64 s[0:1], s7, v15
	v_cndmask_b32_e64 v15, v19, v18, s[0:1]
	v_add_co_u32_e64 v18, s[0:1], 2, v10
	v_subb_co_u32_e32 v9, vcc, v17, v9, vcc
	v_addc_co_u32_e64 v19, s[0:1], 0, v11, s[0:1]
	v_cmp_le_u32_e32 vcc, s7, v9
	v_add_co_u32_e64 v20, s[0:1], 1, v10
	v_cndmask_b32_e64 v17, 0, -1, vcc
	v_cmp_le_u32_e32 vcc, s6, v8
	v_addc_co_u32_e64 v21, s[0:1], 0, v11, s[0:1]
	v_cndmask_b32_e64 v8, 0, -1, vcc
	v_cmp_eq_u32_e32 vcc, s7, v9
	v_cmp_ne_u32_e64 s[0:1], 0, v15
	v_cndmask_b32_e32 v8, v17, v8, vcc
	v_cndmask_b32_e64 v15, v21, v19, s[0:1]
	v_cmp_ne_u32_e32 vcc, 0, v8
	v_cndmask_b32_e64 v9, v20, v18, s[0:1]
	v_cndmask_b32_e32 v8, v11, v15, vcc
	v_cndmask_b32_e32 v9, v10, v9, vcc
	v_xor_b32_e32 v10, v8, v14
	v_xor_b32_e32 v8, v9, v14
	v_sub_co_u32_e32 v8, vcc, v8, v14
	v_subb_co_u32_e32 v9, vcc, v10, v14, vcc
                                        ; implicit-def: $vgpr11
.LBB49_127:
	s_andn2_saveexec_b64 s[0:1], s[4:5]
	s_cbranch_execz .LBB49_129
; %bb.128:
	v_cvt_f32_u32_e32 v8, s3
	v_rcp_iflag_f32_e32 v8, v8
	v_mul_f32_e32 v8, 0x4f7ffffe, v8
	v_cvt_u32_f32_e32 v8, v8
	v_mul_lo_u32 v9, s8, v8
	v_mul_hi_u32 v9, v8, v9
	v_add_u32_e32 v8, v8, v9
	v_mul_hi_u32 v8, v11, v8
	v_mul_lo_u32 v9, v8, s3
	v_add_u32_e32 v10, 1, v8
	v_sub_u32_e32 v9, v11, v9
	v_subrev_u32_e32 v11, s3, v9
	v_cmp_le_u32_e32 vcc, s3, v9
	v_cndmask_b32_e32 v9, v9, v11, vcc
	v_cndmask_b32_e32 v8, v8, v10, vcc
	v_add_u32_e32 v10, 1, v8
	v_cmp_le_u32_e32 vcc, s3, v9
	v_cndmask_b32_e32 v8, v8, v10, vcc
	v_mov_b32_e32 v9, 0
.LBB49_129:
	s_or_b64 exec, exec, s[0:1]
	v_cmp_gt_i64_e32 vcc, s[28:29], v[4:5]
	v_mov_b32_e32 v14, 0
	s_and_saveexec_b64 s[0:1], vcc
	s_cbranch_execz .LBB49_137
; %bb.130:
	s_add_i32 s4, s3, -1
	v_and_b32_e32 v4, s4, v0
	v_cmp_lt_i64_e32 vcc, 0, v[8:9]
	s_mov_b64 s[4:5], 0
	v_mov_b32_e32 v14, 0
	v_lshlrev_b32_e32 v15, 2, v4
	s_and_saveexec_b64 s[6:7], vcc
	s_cbranch_execz .LBB49_134
; %bb.131:
	v_mov_b32_e32 v11, v9
	v_lshl_add_u32 v5, v2, 2, v15
	s_lshl_b32 s8, s3, 2
	v_mov_b32_e32 v14, 0
	v_mov_b32_e32 v10, v8
.LBB49_132:                             ; =>This Inner Loop Header: Depth=1
	ds_read_b32 v17, v5
	v_add_co_u32_e32 v10, vcc, -1, v10
	v_addc_co_u32_e32 v11, vcc, -1, v11, vcc
	v_cmp_eq_u64_e32 vcc, 0, v[10:11]
	v_add_u32_e32 v5, s8, v5
	s_or_b64 s[4:5], vcc, s[4:5]
	s_waitcnt lgkmcnt(0)
	v_add_u32_e32 v14, v17, v14
	s_andn2_b64 exec, exec, s[4:5]
	s_cbranch_execnz .LBB49_132
; %bb.133:
	s_or_b64 exec, exec, s[4:5]
.LBB49_134:
	s_or_b64 exec, exec, s[6:7]
	v_mad_u64_u32 v[2:3], s[4:5], v8, s3, v[2:3]
	v_mov_b32_e32 v5, 0
	v_mad_u64_u32 v[8:9], s[4:5], v9, s3, v[3:4]
	v_sub_co_u32_e32 v9, vcc, v12, v2
	v_subb_co_u32_e32 v10, vcc, v13, v8, vcc
	v_cmp_gt_i64_e32 vcc, v[9:10], v[4:5]
	s_and_saveexec_b64 s[4:5], vcc
	s_cbranch_execz .LBB49_136
; %bb.135:
	v_lshl_add_u32 v2, v2, 2, v15
	ds_read_b32 v2, v2
	s_waitcnt lgkmcnt(0)
	v_add_u32_e32 v14, v2, v14
.LBB49_136:
	s_or_b64 exec, exec, s[4:5]
.LBB49_137:
	s_or_b64 exec, exec, s[0:1]
	v_cmp_gt_i64_e32 vcc, s[28:29], v[0:1]
	s_barrier
	ds_write_b32 v16, v14
	s_waitcnt lgkmcnt(0)
	s_barrier
	s_and_saveexec_b64 s[0:1], vcc
	s_cbranch_execz .LBB49_141
; %bb.138:
	v_mul_lo_u32 v1, s3, v0
	v_lshlrev_b32_e32 v2, 2, v1
	v_mov_b32_e32 v1, 0
.LBB49_139:                             ; =>This Inner Loop Header: Depth=1
	ds_read_b32 v3, v2
	s_add_i32 s3, s3, -1
	v_add_u32_e32 v2, 4, v2
	s_cmp_eq_u32 s3, 0
	s_waitcnt lgkmcnt(0)
	v_add_u32_e32 v1, v3, v1
	s_cbranch_scc0 .LBB49_139
; %bb.140:
	s_lshl_b32 s0, s2, 2
	s_addk_i32 s0, 0x1000
	v_lshl_add_u32 v0, v0, 2, s0
	ds_read_b32 v0, v0
	v_lshlrev_b64 v[2:3], 2, v[6:7]
	v_mov_b32_e32 v4, s15
	s_waitcnt lgkmcnt(0)
	v_add_u32_e32 v5, v0, v1
	v_add_co_u32_e32 v0, vcc, s14, v2
	v_addc_co_u32_e32 v1, vcc, v4, v3, vcc
	global_atomic_add v[0:1], v5, off
.LBB49_141:
	s_endpgm
	.section	.rodata,"a",@progbits
	.p2align	6, 0x0
	.amdhsa_kernel _ZN9rocsparseL27csrmvn_symm_adaptive_kernelIliaaiiEEvbT_S1_PKS1_NS_24const_host_device_scalarIT4_EES3_PKT0_PKT1_PKT2_S6_PT3_21rocsparse_index_base_b
		.amdhsa_group_segment_fixed_size 4096
		.amdhsa_private_segment_fixed_size 0
		.amdhsa_kernarg_size 352
		.amdhsa_user_sgpr_count 6
		.amdhsa_user_sgpr_private_segment_buffer 1
		.amdhsa_user_sgpr_dispatch_ptr 0
		.amdhsa_user_sgpr_queue_ptr 0
		.amdhsa_user_sgpr_kernarg_segment_ptr 1
		.amdhsa_user_sgpr_dispatch_id 0
		.amdhsa_user_sgpr_flat_scratch_init 0
		.amdhsa_user_sgpr_private_segment_size 0
		.amdhsa_uses_dynamic_stack 0
		.amdhsa_system_sgpr_private_segment_wavefront_offset 0
		.amdhsa_system_sgpr_workgroup_id_x 1
		.amdhsa_system_sgpr_workgroup_id_y 0
		.amdhsa_system_sgpr_workgroup_id_z 0
		.amdhsa_system_sgpr_workgroup_info 0
		.amdhsa_system_vgpr_workitem_id 0
		.amdhsa_next_free_vgpr 22
		.amdhsa_next_free_sgpr 52
		.amdhsa_reserve_vcc 1
		.amdhsa_reserve_flat_scratch 0
		.amdhsa_float_round_mode_32 0
		.amdhsa_float_round_mode_16_64 0
		.amdhsa_float_denorm_mode_32 3
		.amdhsa_float_denorm_mode_16_64 3
		.amdhsa_dx10_clamp 1
		.amdhsa_ieee_mode 1
		.amdhsa_fp16_overflow 0
		.amdhsa_exception_fp_ieee_invalid_op 0
		.amdhsa_exception_fp_denorm_src 0
		.amdhsa_exception_fp_ieee_div_zero 0
		.amdhsa_exception_fp_ieee_overflow 0
		.amdhsa_exception_fp_ieee_underflow 0
		.amdhsa_exception_fp_ieee_inexact 0
		.amdhsa_exception_int_div_zero 0
	.end_amdhsa_kernel
	.section	.text._ZN9rocsparseL27csrmvn_symm_adaptive_kernelIliaaiiEEvbT_S1_PKS1_NS_24const_host_device_scalarIT4_EES3_PKT0_PKT1_PKT2_S6_PT3_21rocsparse_index_base_b,"axG",@progbits,_ZN9rocsparseL27csrmvn_symm_adaptive_kernelIliaaiiEEvbT_S1_PKS1_NS_24const_host_device_scalarIT4_EES3_PKT0_PKT1_PKT2_S6_PT3_21rocsparse_index_base_b,comdat
.Lfunc_end49:
	.size	_ZN9rocsparseL27csrmvn_symm_adaptive_kernelIliaaiiEEvbT_S1_PKS1_NS_24const_host_device_scalarIT4_EES3_PKT0_PKT1_PKT2_S6_PT3_21rocsparse_index_base_b, .Lfunc_end49-_ZN9rocsparseL27csrmvn_symm_adaptive_kernelIliaaiiEEvbT_S1_PKS1_NS_24const_host_device_scalarIT4_EES3_PKT0_PKT1_PKT2_S6_PT3_21rocsparse_index_base_b
                                        ; -- End function
	.set _ZN9rocsparseL27csrmvn_symm_adaptive_kernelIliaaiiEEvbT_S1_PKS1_NS_24const_host_device_scalarIT4_EES3_PKT0_PKT1_PKT2_S6_PT3_21rocsparse_index_base_b.num_vgpr, 22
	.set _ZN9rocsparseL27csrmvn_symm_adaptive_kernelIliaaiiEEvbT_S1_PKS1_NS_24const_host_device_scalarIT4_EES3_PKT0_PKT1_PKT2_S6_PT3_21rocsparse_index_base_b.num_agpr, 0
	.set _ZN9rocsparseL27csrmvn_symm_adaptive_kernelIliaaiiEEvbT_S1_PKS1_NS_24const_host_device_scalarIT4_EES3_PKT0_PKT1_PKT2_S6_PT3_21rocsparse_index_base_b.numbered_sgpr, 52
	.set _ZN9rocsparseL27csrmvn_symm_adaptive_kernelIliaaiiEEvbT_S1_PKS1_NS_24const_host_device_scalarIT4_EES3_PKT0_PKT1_PKT2_S6_PT3_21rocsparse_index_base_b.num_named_barrier, 0
	.set _ZN9rocsparseL27csrmvn_symm_adaptive_kernelIliaaiiEEvbT_S1_PKS1_NS_24const_host_device_scalarIT4_EES3_PKT0_PKT1_PKT2_S6_PT3_21rocsparse_index_base_b.private_seg_size, 0
	.set _ZN9rocsparseL27csrmvn_symm_adaptive_kernelIliaaiiEEvbT_S1_PKS1_NS_24const_host_device_scalarIT4_EES3_PKT0_PKT1_PKT2_S6_PT3_21rocsparse_index_base_b.uses_vcc, 1
	.set _ZN9rocsparseL27csrmvn_symm_adaptive_kernelIliaaiiEEvbT_S1_PKS1_NS_24const_host_device_scalarIT4_EES3_PKT0_PKT1_PKT2_S6_PT3_21rocsparse_index_base_b.uses_flat_scratch, 0
	.set _ZN9rocsparseL27csrmvn_symm_adaptive_kernelIliaaiiEEvbT_S1_PKS1_NS_24const_host_device_scalarIT4_EES3_PKT0_PKT1_PKT2_S6_PT3_21rocsparse_index_base_b.has_dyn_sized_stack, 0
	.set _ZN9rocsparseL27csrmvn_symm_adaptive_kernelIliaaiiEEvbT_S1_PKS1_NS_24const_host_device_scalarIT4_EES3_PKT0_PKT1_PKT2_S6_PT3_21rocsparse_index_base_b.has_recursion, 0
	.set _ZN9rocsparseL27csrmvn_symm_adaptive_kernelIliaaiiEEvbT_S1_PKS1_NS_24const_host_device_scalarIT4_EES3_PKT0_PKT1_PKT2_S6_PT3_21rocsparse_index_base_b.has_indirect_call, 0
	.section	.AMDGPU.csdata,"",@progbits
; Kernel info:
; codeLenInByte = 7056
; TotalNumSgprs: 56
; NumVgprs: 22
; ScratchSize: 0
; MemoryBound: 0
; FloatMode: 240
; IeeeMode: 1
; LDSByteSize: 4096 bytes/workgroup (compile time only)
; SGPRBlocks: 6
; VGPRBlocks: 5
; NumSGPRsForWavesPerEU: 56
; NumVGPRsForWavesPerEU: 22
; Occupancy: 10
; WaveLimiterHint : 1
; COMPUTE_PGM_RSRC2:SCRATCH_EN: 0
; COMPUTE_PGM_RSRC2:USER_SGPR: 6
; COMPUTE_PGM_RSRC2:TRAP_HANDLER: 0
; COMPUTE_PGM_RSRC2:TGID_X_EN: 1
; COMPUTE_PGM_RSRC2:TGID_Y_EN: 0
; COMPUTE_PGM_RSRC2:TGID_Z_EN: 0
; COMPUTE_PGM_RSRC2:TIDIG_COMP_CNT: 0
	.section	.text._ZL33csrmvn_symm_large_adaptive_kernelIliaaiiEvbT_PKS0_N9rocsparse24const_host_device_scalarIT4_EES2_PKT0_PKT1_PKT2_S6_PT3_21rocsparse_index_base_b,"axG",@progbits,_ZL33csrmvn_symm_large_adaptive_kernelIliaaiiEvbT_PKS0_N9rocsparse24const_host_device_scalarIT4_EES2_PKT0_PKT1_PKT2_S6_PT3_21rocsparse_index_base_b,comdat
	.globl	_ZL33csrmvn_symm_large_adaptive_kernelIliaaiiEvbT_PKS0_N9rocsparse24const_host_device_scalarIT4_EES2_PKT0_PKT1_PKT2_S6_PT3_21rocsparse_index_base_b ; -- Begin function _ZL33csrmvn_symm_large_adaptive_kernelIliaaiiEvbT_PKS0_N9rocsparse24const_host_device_scalarIT4_EES2_PKT0_PKT1_PKT2_S6_PT3_21rocsparse_index_base_b
	.p2align	8
	.type	_ZL33csrmvn_symm_large_adaptive_kernelIliaaiiEvbT_PKS0_N9rocsparse24const_host_device_scalarIT4_EES2_PKT0_PKT1_PKT2_S6_PT3_21rocsparse_index_base_b,@function
_ZL33csrmvn_symm_large_adaptive_kernelIliaaiiEvbT_PKS0_N9rocsparse24const_host_device_scalarIT4_EES2_PKT0_PKT1_PKT2_S6_PT3_21rocsparse_index_base_b: ; @_ZL33csrmvn_symm_large_adaptive_kernelIliaaiiEvbT_PKS0_N9rocsparse24const_host_device_scalarIT4_EES2_PKT0_PKT1_PKT2_S6_PT3_21rocsparse_index_base_b
; %bb.0:
	s_load_dwordx2 s[10:11], s[4:5], 0x50
	s_load_dwordx2 s[8:9], s[4:5], 0x18
	s_mov_b64 s[12:13], -1
	s_waitcnt lgkmcnt(0)
	s_bitcmp1_b32 s11, 0
	s_cselect_b64 s[0:1], -1, 0
	s_xor_b64 s[2:3], s[0:1], -1
	s_and_b64 vcc, exec, s[2:3]
                                        ; implicit-def: $sgpr11
	s_cbranch_vccnz .LBB50_4
; %bb.1:
	s_load_dwordx2 s[0:1], s[4:5], 0x40
	s_andn2_b64 vcc, exec, s[12:13]
	s_cbranch_vccz .LBB50_5
.LBB50_2:
	s_and_b64 vcc, exec, s[2:3]
	s_cbranch_vccz .LBB50_6
.LBB50_3:
	s_waitcnt lgkmcnt(0)
	s_load_dword s1, s[0:1], 0x0
	s_cbranch_execz .LBB50_7
	s_branch .LBB50_8
.LBB50_4:
	s_load_dword s11, s[8:9], 0x0
	s_load_dwordx2 s[0:1], s[4:5], 0x40
	s_cbranch_execnz .LBB50_2
.LBB50_5:
	s_waitcnt lgkmcnt(0)
	s_mov_b32 s11, s8
	s_and_b64 vcc, exec, s[2:3]
	s_cbranch_vccnz .LBB50_3
.LBB50_6:
                                        ; implicit-def: $sgpr1
.LBB50_7:
	s_waitcnt lgkmcnt(0)
	s_mov_b32 s1, s0
.LBB50_8:
	s_waitcnt lgkmcnt(0)
	s_cmp_lg_u32 s11, 0
	s_cselect_b64 s[2:3], -1, 0
	s_cmp_lg_u32 s1, 1
	s_cselect_b64 s[0:1], -1, 0
	s_or_b64 s[0:1], s[2:3], s[0:1]
	s_andn2_b64 vcc, exec, s[0:1]
	s_cbranch_vccnz .LBB50_36
; %bb.9:
	s_load_dwordx2 s[0:1], s[4:5], 0x10
	s_ashr_i32 s7, s6, 31
	s_lshl_b64 s[2:3], s[6:7], 3
	v_lshlrev_b32_e32 v6, 2, v0
	v_mov_b32_e32 v7, 0
	s_waitcnt lgkmcnt(0)
	s_add_u32 s0, s0, s2
	s_addc_u32 s1, s1, s3
	ds_write2st64_b32 v6, v7, v7 offset1:4
	ds_write2st64_b32 v6, v7, v7 offset0:8 offset1:12
	s_waitcnt lgkmcnt(0)
	s_barrier
	s_load_dwordx4 s[20:23], s[0:1], 0x0
	s_load_dwordx8 s[12:19], s[4:5], 0x20
	s_load_dwordx2 s[24:25], s[4:5], 0x48
	v_subrev_co_u32_e64 v8, s[0:1], s10, v0
	s_waitcnt lgkmcnt(0)
	v_mov_b32_e32 v1, s22
	v_mov_b32_e32 v2, s23
	v_cmp_ge_i64_e32 vcc, s[20:21], v[1:2]
	v_subb_co_u32_e64 v9, s[0:1], 0, 0, s[0:1]
	s_cbranch_vccnz .LBB50_27
; %bb.10:
	v_cmp_gt_u32_e64 s[0:1], 64, v0
	v_cmp_gt_u32_e64 s[2:3], 16, v0
	;; [unrolled: 1-line block ×3, first 2 shown]
	v_cmp_eq_u32_e64 s[6:7], 0, v0
	v_mov_b32_e32 v0, s22
	v_mov_b32_e32 v1, s23
	s_mov_b64 s[26:27], s[20:21]
	s_branch .LBB50_12
.LBB50_11:                              ;   in Loop: Header=BB50_12 Depth=1
	s_or_b64 exec, exec, s[8:9]
	s_add_u32 s26, s26, 1
	s_addc_u32 s27, s27, 0
	v_cmp_ge_i64_e32 vcc, s[26:27], v[0:1]
	s_cbranch_vccnz .LBB50_27
.LBB50_12:                              ; =>This Loop Header: Depth=1
                                        ;     Child Loop BB50_14 Depth 2
	s_lshl_b64 s[8:9], s[26:27], 3
	s_add_u32 s8, s12, s8
	s_addc_u32 s9, s13, s9
	s_load_dwordx4 s[36:39], s[8:9], 0x0
	v_mov_b32_e32 v10, 0
	s_waitcnt lgkmcnt(0)
	s_sub_u32 s28, s38, s10
	v_mov_b32_e32 v3, s37
	v_add_co_u32_e32 v2, vcc, s36, v8
	s_subb_u32 s29, s39, 0
	v_addc_co_u32_e32 v3, vcc, v3, v9, vcc
	v_cmp_gt_i64_e32 vcc, s[28:29], v[2:3]
	s_and_saveexec_b64 s[30:31], vcc
	s_cbranch_execz .LBB50_16
; %bb.13:                               ;   in Loop: Header=BB50_12 Depth=1
	v_lshlrev_b64 v[4:5], 2, v[2:3]
	v_mov_b32_e32 v10, s15
	v_add_co_u32_e32 v4, vcc, s14, v4
	v_addc_co_u32_e32 v5, vcc, v10, v5, vcc
	v_mov_b32_e32 v10, 0
	s_mov_b64 s[34:35], 0
.LBB50_14:                              ;   Parent Loop BB50_12 Depth=1
                                        ; =>  This Inner Loop Header: Depth=2
	global_load_dword v13, v[4:5], off
	v_mov_b32_e32 v12, s17
	v_add_co_u32_e32 v11, vcc, s16, v2
	v_addc_co_u32_e32 v12, vcc, v12, v3, vcc
	global_load_sbyte v15, v[11:12], off
	v_mov_b32_e32 v14, s19
	s_waitcnt vmcnt(1)
	v_subrev_u32_e32 v11, s10, v13
	v_ashrrev_i32_e32 v12, 31, v11
	v_add_co_u32_e32 v11, vcc, s18, v11
	v_addc_co_u32_e32 v12, vcc, v14, v12, vcc
	global_load_sbyte v11, v[11:12], off
	v_add_co_u32_e32 v2, vcc, 0x100, v2
	v_addc_co_u32_e32 v3, vcc, 0, v3, vcc
	v_cmp_le_i64_e64 s[8:9], s[28:29], v[2:3]
	v_add_co_u32_e32 v4, vcc, 0x400, v4
	v_addc_co_u32_e32 v5, vcc, 0, v5, vcc
	s_or_b64 s[34:35], s[8:9], s[34:35]
	s_waitcnt vmcnt(0)
	v_mad_i32_i24 v10, v11, v15, v10
	s_andn2_b64 exec, exec, s[34:35]
	s_cbranch_execnz .LBB50_14
; %bb.15:                               ;   in Loop: Header=BB50_12 Depth=1
	s_or_b64 exec, exec, s[34:35]
.LBB50_16:                              ;   in Loop: Header=BB50_12 Depth=1
	s_or_b64 exec, exec, s[30:31]
	ds_write_b32 v6, v10
	s_waitcnt vmcnt(0) lgkmcnt(0)
	s_barrier
	ds_read2st64_b32 v[2:3], v6 offset1:4
	ds_read2st64_b32 v[4:5], v6 offset0:8 offset1:12
	s_waitcnt lgkmcnt(0)
	v_add_u32_e32 v3, v4, v3
	v_add3_u32 v2, v3, v5, v2
	ds_write_b32 v6, v2
	s_waitcnt lgkmcnt(0)
	s_barrier
	s_and_saveexec_b64 s[8:9], s[0:1]
	s_cbranch_execz .LBB50_18
; %bb.17:                               ;   in Loop: Header=BB50_12 Depth=1
	ds_read2st64_b32 v[2:3], v6 offset1:1
	ds_read2st64_b32 v[4:5], v6 offset0:2 offset1:3
	s_waitcnt lgkmcnt(0)
	v_add_u32_e32 v3, v4, v3
	v_add3_u32 v2, v3, v5, v2
	ds_write_b32 v6, v2
.LBB50_18:                              ;   in Loop: Header=BB50_12 Depth=1
	s_or_b64 exec, exec, s[8:9]
	s_waitcnt lgkmcnt(0)
	s_barrier
	s_and_saveexec_b64 s[8:9], s[2:3]
	s_cbranch_execz .LBB50_20
; %bb.19:                               ;   in Loop: Header=BB50_12 Depth=1
	ds_read2_b32 v[2:3], v6 offset1:16
	ds_read2_b32 v[4:5], v6 offset0:32 offset1:48
	s_waitcnt lgkmcnt(0)
	v_add_u32_e32 v3, v4, v3
	v_add3_u32 v2, v3, v5, v2
	ds_write_b32 v6, v2
.LBB50_20:                              ;   in Loop: Header=BB50_12 Depth=1
	s_or_b64 exec, exec, s[8:9]
	s_waitcnt lgkmcnt(0)
	s_barrier
	s_and_saveexec_b64 s[8:9], s[4:5]
	s_cbranch_execz .LBB50_22
; %bb.21:                               ;   in Loop: Header=BB50_12 Depth=1
	ds_read2_b32 v[2:3], v6 offset1:4
	ds_read2_b32 v[4:5], v6 offset0:8 offset1:12
	s_waitcnt lgkmcnt(0)
	v_add_u32_e32 v3, v4, v3
	v_add3_u32 v2, v3, v5, v2
	ds_write_b32 v6, v2
.LBB50_22:                              ;   in Loop: Header=BB50_12 Depth=1
	s_or_b64 exec, exec, s[8:9]
	s_waitcnt lgkmcnt(0)
	s_barrier
	s_and_saveexec_b64 s[8:9], s[6:7]
	s_cbranch_execz .LBB50_24
; %bb.23:                               ;   in Loop: Header=BB50_12 Depth=1
	ds_read2_b32 v[2:3], v7 offset0:1 offset1:2
	ds_read_b32 v4, v7 offset:12
	ds_read_b32 v5, v6
	s_waitcnt lgkmcnt(2)
	v_add_u32_e32 v2, v3, v2
	s_waitcnt lgkmcnt(1)
	v_add_u32_e32 v2, v2, v4
	;; [unrolled: 2-line block ×3, first 2 shown]
	ds_write_b32 v6, v2
.LBB50_24:                              ;   in Loop: Header=BB50_12 Depth=1
	s_or_b64 exec, exec, s[8:9]
	s_waitcnt lgkmcnt(0)
	s_barrier
	s_and_saveexec_b64 s[8:9], s[6:7]
	s_cbranch_execz .LBB50_11
; %bb.25:                               ;   in Loop: Header=BB50_12 Depth=1
	s_mov_b64 s[28:29], exec
	v_mbcnt_lo_u32_b32 v2, s28, 0
	v_mbcnt_hi_u32_b32 v2, s29, v2
	v_cmp_eq_u32_e32 vcc, 0, v2
	s_and_b64 s[30:31], exec, vcc
	s_mov_b64 exec, s[30:31]
	s_cbranch_execz .LBB50_11
; %bb.26:                               ;   in Loop: Header=BB50_12 Depth=1
	ds_read_b32 v2, v7
	s_lshl_b64 s[30:31], s[26:27], 2
	s_add_u32 s30, s24, s30
	s_addc_u32 s31, s25, s31
	s_bcnt1_i32_b64 s28, s[28:29]
	s_waitcnt lgkmcnt(0)
	v_mul_lo_u32 v2, v2, s11
	v_mul_lo_u32 v2, v2, s28
	global_atomic_add v7, v2, s[30:31]
	s_branch .LBB50_11
.LBB50_27:
	s_lshl_b64 s[0:1], s[20:21], 3
	s_add_u32 s0, s12, s0
	s_addc_u32 s1, s13, s1
	s_lshl_b64 s[2:3], s[22:23], 3
	s_add_u32 s2, s12, s2
	s_addc_u32 s3, s13, s3
	s_load_dwordx2 s[6:7], s[0:1], 0x0
	s_load_dwordx2 s[4:5], s[2:3], 0x0
	s_waitcnt lgkmcnt(0)
	v_mov_b32_e32 v1, s7
	s_sub_u32 s4, s4, s10
	v_add_co_u32_e32 v0, vcc, s6, v8
	s_subb_u32 s5, s5, 0
	v_addc_co_u32_e32 v1, vcc, v1, v9, vcc
	v_cmp_gt_i64_e32 vcc, s[4:5], v[0:1]
	s_and_saveexec_b64 s[0:1], vcc
	s_cbranch_execz .LBB50_36
; %bb.28:
	s_add_u32 s6, s22, -1
	s_addc_u32 s7, s23, -1
	v_mov_b32_e32 v2, s6
	s_add_u32 s0, s22, -2
	v_mov_b32_e32 v3, s7
	s_addc_u32 s1, s23, -1
	v_cmp_lt_i64_e32 vcc, s[20:21], v[2:3]
	s_cmp_lg_u64 s[20:21], s[0:1]
	s_cselect_b64 s[0:1], -1, 0
	s_and_b64 s[0:1], vcc, s[0:1]
	v_cndmask_b32_e64 v2, 0, 1, s[0:1]
	s_mov_b64 s[8:9], 0
	v_cmp_ne_u32_e64 s[0:1], 1, v2
	v_mov_b32_e32 v8, s13
	v_mov_b32_e32 v9, s15
	s_branch .LBB50_30
.LBB50_29:                              ;   in Loop: Header=BB50_30 Depth=1
	s_or_b64 exec, exec, s[2:3]
	v_add_co_u32_e32 v0, vcc, 0x100, v0
	v_addc_co_u32_e32 v1, vcc, 0, v1, vcc
	v_cmp_le_i64_e32 vcc, s[4:5], v[0:1]
	s_or_b64 s[8:9], vcc, s[8:9]
	s_andn2_b64 exec, exec, s[8:9]
	s_cbranch_execz .LBB50_36
.LBB50_30:                              ; =>This Loop Header: Depth=1
                                        ;     Child Loop BB50_32 Depth 2
	v_mov_b32_e32 v2, s20
	v_mov_b32_e32 v4, s6
	s_and_b64 vcc, exec, s[0:1]
	v_mov_b32_e32 v3, s21
	v_mov_b32_e32 v5, s7
	s_cbranch_vccnz .LBB50_34
; %bb.31:                               ;   in Loop: Header=BB50_30 Depth=1
	v_mov_b32_e32 v2, s20
	v_mov_b32_e32 v4, s6
	s_mov_b64 s[22:23], 0
	v_mov_b32_e32 v3, s21
	v_mov_b32_e32 v5, s7
.LBB50_32:                              ;   Parent Loop BB50_30 Depth=1
                                        ; =>  This Inner Loop Header: Depth=2
	v_add_co_u32_e32 v6, vcc, v4, v2
	v_addc_co_u32_e32 v7, vcc, v5, v3, vcc
	v_lshrrev_b32_e32 v10, 31, v7
	v_add_co_u32_e32 v6, vcc, v6, v10
	v_addc_co_u32_e32 v7, vcc, 0, v7, vcc
	v_ashrrev_i64 v[6:7], 1, v[6:7]
	v_mov_b32_e32 v12, s13
	v_lshlrev_b64 v[10:11], 3, v[6:7]
	v_add_co_u32_e32 v10, vcc, s12, v10
	v_addc_co_u32_e32 v11, vcc, v12, v11, vcc
	global_load_dwordx2 v[10:11], v[10:11], off
	s_waitcnt vmcnt(0)
	v_subrev_co_u32_e32 v10, vcc, s10, v10
	v_subbrev_co_u32_e32 v11, vcc, 0, v11, vcc
	v_cmp_lt_i64_e32 vcc, v[0:1], v[10:11]
	v_cndmask_b32_e32 v4, v4, v6, vcc
	v_cndmask_b32_e32 v5, v5, v7, vcc
	;; [unrolled: 1-line block ×3, first 2 shown]
	v_add_co_u32_e64 v6, s[2:3], -1, v4
	v_cndmask_b32_e32 v3, v7, v3, vcc
	v_addc_co_u32_e64 v7, s[2:3], -1, v5, s[2:3]
	v_cmp_ge_i64_e32 vcc, v[2:3], v[4:5]
	v_cmp_eq_u64_e64 s[2:3], v[2:3], v[6:7]
	s_or_b64 s[2:3], vcc, s[2:3]
	s_and_b64 s[2:3], exec, s[2:3]
	s_or_b64 s[22:23], s[2:3], s[22:23]
	s_andn2_b64 exec, exec, s[22:23]
	s_cbranch_execnz .LBB50_32
; %bb.33:                               ;   in Loop: Header=BB50_30 Depth=1
	s_or_b64 exec, exec, s[22:23]
.LBB50_34:                              ;   in Loop: Header=BB50_30 Depth=1
	v_lshlrev_b64 v[6:7], 3, v[4:5]
	v_lshlrev_b64 v[10:11], 2, v[0:1]
	v_add_co_u32_e32 v6, vcc, s12, v6
	v_addc_co_u32_e32 v7, vcc, v8, v7, vcc
	global_load_dwordx2 v[6:7], v[6:7], off
	v_add_co_u32_e32 v10, vcc, s14, v10
	v_addc_co_u32_e32 v11, vcc, v9, v11, vcc
	global_load_dword v12, v[10:11], off
	s_waitcnt vmcnt(1)
	v_subrev_co_u32_e32 v10, vcc, s10, v6
	v_subbrev_co_u32_e32 v11, vcc, 0, v7, vcc
	v_cmp_lt_i64_e32 vcc, v[0:1], v[10:11]
	s_waitcnt vmcnt(0)
	v_subrev_u32_e32 v6, s10, v12
	v_cndmask_b32_e32 v3, v5, v3, vcc
	v_cndmask_b32_e32 v2, v4, v2, vcc
	v_ashrrev_i32_e32 v7, 31, v6
	v_cmp_ne_u64_e32 vcc, v[2:3], v[6:7]
	s_and_saveexec_b64 s[2:3], vcc
	s_cbranch_execz .LBB50_29
; %bb.35:                               ;   in Loop: Header=BB50_30 Depth=1
	v_mov_b32_e32 v5, s17
	v_add_co_u32_e32 v4, vcc, s16, v0
	v_addc_co_u32_e32 v5, vcc, v5, v1, vcc
	global_load_sbyte v4, v[4:5], off
	v_mov_b32_e32 v5, s19
	v_add_co_u32_e32 v2, vcc, s18, v2
	v_addc_co_u32_e32 v3, vcc, v5, v3, vcc
	global_load_sbyte v5, v[2:3], off
	v_lshlrev_b64 v[2:3], 2, v[6:7]
	v_mov_b32_e32 v6, s25
	v_add_co_u32_e32 v2, vcc, s24, v2
	v_addc_co_u32_e32 v3, vcc, v6, v3, vcc
	s_waitcnt vmcnt(1)
	v_mul_lo_u32 v4, s11, v4
	s_waitcnt vmcnt(0)
	v_mul_lo_u32 v4, v4, v5
	global_atomic_add v[2:3], v4, off
	s_branch .LBB50_29
.LBB50_36:
	s_endpgm
	.section	.rodata,"a",@progbits
	.p2align	6, 0x0
	.amdhsa_kernel _ZL33csrmvn_symm_large_adaptive_kernelIliaaiiEvbT_PKS0_N9rocsparse24const_host_device_scalarIT4_EES2_PKT0_PKT1_PKT2_S6_PT3_21rocsparse_index_base_b
		.amdhsa_group_segment_fixed_size 4096
		.amdhsa_private_segment_fixed_size 0
		.amdhsa_kernarg_size 88
		.amdhsa_user_sgpr_count 6
		.amdhsa_user_sgpr_private_segment_buffer 1
		.amdhsa_user_sgpr_dispatch_ptr 0
		.amdhsa_user_sgpr_queue_ptr 0
		.amdhsa_user_sgpr_kernarg_segment_ptr 1
		.amdhsa_user_sgpr_dispatch_id 0
		.amdhsa_user_sgpr_flat_scratch_init 0
		.amdhsa_user_sgpr_private_segment_size 0
		.amdhsa_uses_dynamic_stack 0
		.amdhsa_system_sgpr_private_segment_wavefront_offset 0
		.amdhsa_system_sgpr_workgroup_id_x 1
		.amdhsa_system_sgpr_workgroup_id_y 0
		.amdhsa_system_sgpr_workgroup_id_z 0
		.amdhsa_system_sgpr_workgroup_info 0
		.amdhsa_system_vgpr_workitem_id 0
		.amdhsa_next_free_vgpr 16
		.amdhsa_next_free_sgpr 40
		.amdhsa_reserve_vcc 1
		.amdhsa_reserve_flat_scratch 0
		.amdhsa_float_round_mode_32 0
		.amdhsa_float_round_mode_16_64 0
		.amdhsa_float_denorm_mode_32 3
		.amdhsa_float_denorm_mode_16_64 3
		.amdhsa_dx10_clamp 1
		.amdhsa_ieee_mode 1
		.amdhsa_fp16_overflow 0
		.amdhsa_exception_fp_ieee_invalid_op 0
		.amdhsa_exception_fp_denorm_src 0
		.amdhsa_exception_fp_ieee_div_zero 0
		.amdhsa_exception_fp_ieee_overflow 0
		.amdhsa_exception_fp_ieee_underflow 0
		.amdhsa_exception_fp_ieee_inexact 0
		.amdhsa_exception_int_div_zero 0
	.end_amdhsa_kernel
	.section	.text._ZL33csrmvn_symm_large_adaptive_kernelIliaaiiEvbT_PKS0_N9rocsparse24const_host_device_scalarIT4_EES2_PKT0_PKT1_PKT2_S6_PT3_21rocsparse_index_base_b,"axG",@progbits,_ZL33csrmvn_symm_large_adaptive_kernelIliaaiiEvbT_PKS0_N9rocsparse24const_host_device_scalarIT4_EES2_PKT0_PKT1_PKT2_S6_PT3_21rocsparse_index_base_b,comdat
.Lfunc_end50:
	.size	_ZL33csrmvn_symm_large_adaptive_kernelIliaaiiEvbT_PKS0_N9rocsparse24const_host_device_scalarIT4_EES2_PKT0_PKT1_PKT2_S6_PT3_21rocsparse_index_base_b, .Lfunc_end50-_ZL33csrmvn_symm_large_adaptive_kernelIliaaiiEvbT_PKS0_N9rocsparse24const_host_device_scalarIT4_EES2_PKT0_PKT1_PKT2_S6_PT3_21rocsparse_index_base_b
                                        ; -- End function
	.set _ZL33csrmvn_symm_large_adaptive_kernelIliaaiiEvbT_PKS0_N9rocsparse24const_host_device_scalarIT4_EES2_PKT0_PKT1_PKT2_S6_PT3_21rocsparse_index_base_b.num_vgpr, 16
	.set _ZL33csrmvn_symm_large_adaptive_kernelIliaaiiEvbT_PKS0_N9rocsparse24const_host_device_scalarIT4_EES2_PKT0_PKT1_PKT2_S6_PT3_21rocsparse_index_base_b.num_agpr, 0
	.set _ZL33csrmvn_symm_large_adaptive_kernelIliaaiiEvbT_PKS0_N9rocsparse24const_host_device_scalarIT4_EES2_PKT0_PKT1_PKT2_S6_PT3_21rocsparse_index_base_b.numbered_sgpr, 40
	.set _ZL33csrmvn_symm_large_adaptive_kernelIliaaiiEvbT_PKS0_N9rocsparse24const_host_device_scalarIT4_EES2_PKT0_PKT1_PKT2_S6_PT3_21rocsparse_index_base_b.num_named_barrier, 0
	.set _ZL33csrmvn_symm_large_adaptive_kernelIliaaiiEvbT_PKS0_N9rocsparse24const_host_device_scalarIT4_EES2_PKT0_PKT1_PKT2_S6_PT3_21rocsparse_index_base_b.private_seg_size, 0
	.set _ZL33csrmvn_symm_large_adaptive_kernelIliaaiiEvbT_PKS0_N9rocsparse24const_host_device_scalarIT4_EES2_PKT0_PKT1_PKT2_S6_PT3_21rocsparse_index_base_b.uses_vcc, 1
	.set _ZL33csrmvn_symm_large_adaptive_kernelIliaaiiEvbT_PKS0_N9rocsparse24const_host_device_scalarIT4_EES2_PKT0_PKT1_PKT2_S6_PT3_21rocsparse_index_base_b.uses_flat_scratch, 0
	.set _ZL33csrmvn_symm_large_adaptive_kernelIliaaiiEvbT_PKS0_N9rocsparse24const_host_device_scalarIT4_EES2_PKT0_PKT1_PKT2_S6_PT3_21rocsparse_index_base_b.has_dyn_sized_stack, 0
	.set _ZL33csrmvn_symm_large_adaptive_kernelIliaaiiEvbT_PKS0_N9rocsparse24const_host_device_scalarIT4_EES2_PKT0_PKT1_PKT2_S6_PT3_21rocsparse_index_base_b.has_recursion, 0
	.set _ZL33csrmvn_symm_large_adaptive_kernelIliaaiiEvbT_PKS0_N9rocsparse24const_host_device_scalarIT4_EES2_PKT0_PKT1_PKT2_S6_PT3_21rocsparse_index_base_b.has_indirect_call, 0
	.section	.AMDGPU.csdata,"",@progbits
; Kernel info:
; codeLenInByte = 1544
; TotalNumSgprs: 44
; NumVgprs: 16
; ScratchSize: 0
; MemoryBound: 0
; FloatMode: 240
; IeeeMode: 1
; LDSByteSize: 4096 bytes/workgroup (compile time only)
; SGPRBlocks: 5
; VGPRBlocks: 3
; NumSGPRsForWavesPerEU: 44
; NumVGPRsForWavesPerEU: 16
; Occupancy: 10
; WaveLimiterHint : 1
; COMPUTE_PGM_RSRC2:SCRATCH_EN: 0
; COMPUTE_PGM_RSRC2:USER_SGPR: 6
; COMPUTE_PGM_RSRC2:TRAP_HANDLER: 0
; COMPUTE_PGM_RSRC2:TGID_X_EN: 1
; COMPUTE_PGM_RSRC2:TGID_Y_EN: 0
; COMPUTE_PGM_RSRC2:TGID_Z_EN: 0
; COMPUTE_PGM_RSRC2:TIDIG_COMP_CNT: 0
	.section	.text._ZN9rocsparseL22csrmvn_adaptive_kernelIllaaiiEEvbT_PKS1_PjPKT0_NS_24const_host_device_scalarIT4_EES3_S7_PKT1_PKT2_SA_PT3_21rocsparse_index_base_b,"axG",@progbits,_ZN9rocsparseL22csrmvn_adaptive_kernelIllaaiiEEvbT_PKS1_PjPKT0_NS_24const_host_device_scalarIT4_EES3_S7_PKT1_PKT2_SA_PT3_21rocsparse_index_base_b,comdat
	.globl	_ZN9rocsparseL22csrmvn_adaptive_kernelIllaaiiEEvbT_PKS1_PjPKT0_NS_24const_host_device_scalarIT4_EES3_S7_PKT1_PKT2_SA_PT3_21rocsparse_index_base_b ; -- Begin function _ZN9rocsparseL22csrmvn_adaptive_kernelIllaaiiEEvbT_PKS1_PjPKT0_NS_24const_host_device_scalarIT4_EES3_S7_PKT1_PKT2_SA_PT3_21rocsparse_index_base_b
	.p2align	8
	.type	_ZN9rocsparseL22csrmvn_adaptive_kernelIllaaiiEEvbT_PKS1_PjPKT0_NS_24const_host_device_scalarIT4_EES3_S7_PKT1_PKT2_SA_PT3_21rocsparse_index_base_b,@function
_ZN9rocsparseL22csrmvn_adaptive_kernelIllaaiiEEvbT_PKS1_PjPKT0_NS_24const_host_device_scalarIT4_EES3_S7_PKT1_PKT2_SA_PT3_21rocsparse_index_base_b: ; @_ZN9rocsparseL22csrmvn_adaptive_kernelIllaaiiEEvbT_PKS1_PjPKT0_NS_24const_host_device_scalarIT4_EES3_S7_PKT1_PKT2_SA_PT3_21rocsparse_index_base_b
; %bb.0:
	s_load_dwordx2 s[46:47], s[4:5], 0x60
	s_load_dwordx2 s[8:9], s[4:5], 0x28
	s_mov_b64 s[10:11], -1
	s_waitcnt lgkmcnt(0)
	s_bitcmp1_b32 s47, 0
	s_cselect_b64 s[0:1], -1, 0
	s_xor_b64 s[2:3], s[0:1], -1
	s_and_b64 vcc, exec, s[2:3]
                                        ; implicit-def: $sgpr47
	s_cbranch_vccnz .LBB51_4
; %bb.1:
	s_load_dwordx2 s[0:1], s[4:5], 0x50
	s_andn2_b64 vcc, exec, s[10:11]
	s_cbranch_vccz .LBB51_5
.LBB51_2:
	s_and_b64 vcc, exec, s[2:3]
	s_cbranch_vccz .LBB51_6
.LBB51_3:
	s_waitcnt lgkmcnt(0)
	s_load_dword s33, s[0:1], 0x0
	s_cbranch_execz .LBB51_7
	s_branch .LBB51_8
.LBB51_4:
	s_load_dword s47, s[8:9], 0x0
	s_load_dwordx2 s[0:1], s[4:5], 0x50
	s_cbranch_execnz .LBB51_2
.LBB51_5:
	s_waitcnt lgkmcnt(0)
	s_mov_b32 s47, s8
	s_and_b64 vcc, exec, s[2:3]
	s_cbranch_vccnz .LBB51_3
.LBB51_6:
                                        ; implicit-def: $sgpr33
.LBB51_7:
	s_waitcnt lgkmcnt(0)
	s_mov_b32 s33, s0
.LBB51_8:
	s_waitcnt lgkmcnt(0)
	s_cmp_lg_u32 s47, 0
	s_cselect_b64 s[0:1], -1, 0
	s_cmp_lg_u32 s33, 1
	s_cselect_b64 s[2:3], -1, 0
	s_or_b64 s[0:1], s[0:1], s[2:3]
	s_andn2_b64 vcc, exec, s[0:1]
	s_cbranch_vccnz .LBB51_118
; %bb.9:
	s_load_dwordx2 s[0:1], s[4:5], 0x10
	s_load_dwordx2 s[2:3], s[4:5], 0x20
	s_ashr_i32 s7, s6, 31
	s_lshl_b64 s[8:9], s[6:7], 3
	s_waitcnt lgkmcnt(0)
	s_add_u32 s0, s0, s8
	s_addc_u32 s1, s1, s9
	s_load_dwordx4 s[36:39], s[0:1], 0x0
	s_load_dwordx2 s[34:35], s[4:5], 0x58
	s_load_dwordx8 s[24:31], s[4:5], 0x30
	s_waitcnt lgkmcnt(0)
	s_sub_u32 s0, s38, s36
	s_subb_u32 s1, s39, s37
	s_add_u32 s2, s2, s8
	s_addc_u32 s3, s3, s9
	s_lshl_b64 s[8:9], s[36:37], 3
	s_add_u32 s44, s24, s8
	s_addc_u32 s45, s25, s9
	s_load_dwordx2 s[40:41], s[2:3], 0x0
	s_load_dwordx2 s[42:43], s[44:45], 0x0
	v_cmp_lt_i64_e64 s[8:9], s[0:1], 2
	s_mov_b64 s[2:3], -1
	s_and_b64 vcc, exec, s[8:9]
	s_cbranch_vccz .LBB51_74
; %bb.10:
	s_cmp_lg_u64 s[0:1], 1
	s_cselect_b64 s[0:1], -1, 0
	s_waitcnt lgkmcnt(0)
	s_cmp_lg_u64 s[40:41], 0
	s_cselect_b64 s[2:3], -1, 0
	s_or_b64 s[0:1], s[0:1], s[2:3]
	s_mov_b64 s[18:19], -1
	s_and_b64 vcc, exec, s[0:1]
	v_cmp_gt_u32_e64 s[0:1], 64, v0
	v_cmp_gt_u32_e64 s[2:3], 32, v0
	;; [unrolled: 1-line block ×6, first 2 shown]
	v_cmp_eq_u32_e64 s[16:17], 0, v0
	s_cbranch_vccnz .LBB51_38
; %bb.11:
	s_cmp_lg_u32 s33, 0
	v_subrev_co_u32_e32 v10, vcc, s46, v0
	s_cselect_b64 s[20:21], -1, 0
	v_subb_co_u32_e64 v11, s[18:19], 0, 0, vcc
	v_cndmask_b32_e64 v1, 0, 1, s[20:21]
	s_movk_i32 s18, 0x80
	v_cmp_ne_u32_e64 s[20:21], 1, v1
	v_mov_b32_e32 v1, s38
	v_mov_b32_e32 v9, 0
	v_lshlrev_b32_e32 v12, 2, v0
	v_cmp_gt_u32_e64 s[18:19], s18, v0
	v_mov_b32_e32 v2, s39
	s_mov_b64 s[48:49], s[36:37]
	s_branch .LBB51_14
.LBB51_12:                              ;   in Loop: Header=BB51_14 Depth=1
	s_lshl_b64 s[50:51], s[48:49], 2
	s_add_u32 s50, s34, s50
	s_addc_u32 s51, s35, s51
	s_waitcnt lgkmcnt(0)
	global_store_dword v9, v3, s[50:51]
.LBB51_13:                              ;   in Loop: Header=BB51_14 Depth=1
	s_or_b64 exec, exec, s[22:23]
	s_add_u32 s48, s48, 1
	s_addc_u32 s49, s49, 0
	v_cmp_ge_i64_e32 vcc, s[48:49], v[1:2]
	s_cbranch_vccnz .LBB51_37
.LBB51_14:                              ; =>This Loop Header: Depth=1
                                        ;     Child Loop BB51_16 Depth 2
	s_lshl_b64 s[22:23], s[48:49], 3
	s_add_u32 s22, s24, s22
	s_addc_u32 s23, s25, s23
	s_load_dwordx4 s[52:55], s[22:23], 0x0
	v_mov_b32_e32 v5, 0
	s_waitcnt lgkmcnt(0)
	s_sub_u32 s50, s54, s46
	v_mov_b32_e32 v4, s53
	v_add_co_u32_e32 v3, vcc, s52, v10
	s_subb_u32 s51, s55, 0
	v_addc_co_u32_e32 v4, vcc, v4, v11, vcc
	v_cmp_gt_i64_e32 vcc, s[50:51], v[3:4]
	s_and_saveexec_b64 s[52:53], vcc
	s_cbranch_execz .LBB51_18
; %bb.15:                               ;   in Loop: Header=BB51_14 Depth=1
	v_lshlrev_b64 v[5:6], 3, v[3:4]
	v_mov_b32_e32 v8, s27
	v_add_co_u32_e32 v7, vcc, s26, v5
	v_addc_co_u32_e32 v8, vcc, v8, v6, vcc
	v_mov_b32_e32 v5, 0
	s_mov_b64 s[54:55], 0
.LBB51_16:                              ;   Parent Loop BB51_14 Depth=1
                                        ; =>  This Inner Loop Header: Depth=2
	global_load_dwordx2 v[13:14], v[7:8], off
	v_mov_b32_e32 v6, s29
	v_add_co_u32_e32 v15, vcc, s28, v3
	v_addc_co_u32_e32 v16, vcc, v6, v4, vcc
	global_load_sbyte v6, v[15:16], off
	v_mov_b32_e32 v17, s31
	s_waitcnt vmcnt(1)
	v_subrev_co_u32_e32 v13, vcc, s46, v13
	v_subbrev_co_u32_e32 v14, vcc, 0, v14, vcc
	v_add_co_u32_e32 v13, vcc, s30, v13
	v_addc_co_u32_e32 v14, vcc, v17, v14, vcc
	global_load_sbyte v13, v[13:14], off
	v_add_co_u32_e32 v3, vcc, 0x100, v3
	s_waitcnt vmcnt(1)
	v_mul_lo_u32 v6, s47, v6
	v_addc_co_u32_e32 v4, vcc, 0, v4, vcc
	v_cmp_le_i64_e64 s[22:23], s[50:51], v[3:4]
	v_add_co_u32_e32 v7, vcc, 0x800, v7
	s_or_b64 s[54:55], s[22:23], s[54:55]
	v_addc_co_u32_e32 v8, vcc, 0, v8, vcc
	s_waitcnt vmcnt(0)
	v_mad_u64_u32 v[5:6], s[22:23], v6, v13, v[5:6]
	s_andn2_b64 exec, exec, s[54:55]
	s_cbranch_execnz .LBB51_16
; %bb.17:                               ;   in Loop: Header=BB51_14 Depth=1
	s_or_b64 exec, exec, s[54:55]
.LBB51_18:                              ;   in Loop: Header=BB51_14 Depth=1
	s_or_b64 exec, exec, s[52:53]
	ds_write_b32 v12, v5
	s_waitcnt vmcnt(0) lgkmcnt(0)
	s_barrier
	s_and_saveexec_b64 s[22:23], s[18:19]
	s_cbranch_execz .LBB51_20
; %bb.19:                               ;   in Loop: Header=BB51_14 Depth=1
	ds_read2st64_b32 v[3:4], v12 offset1:2
	s_waitcnt lgkmcnt(0)
	v_add_u32_e32 v3, v4, v3
	ds_write_b32 v12, v3
.LBB51_20:                              ;   in Loop: Header=BB51_14 Depth=1
	s_or_b64 exec, exec, s[22:23]
	s_waitcnt lgkmcnt(0)
	s_barrier
	s_and_saveexec_b64 s[22:23], s[0:1]
	s_cbranch_execz .LBB51_22
; %bb.21:                               ;   in Loop: Header=BB51_14 Depth=1
	ds_read2st64_b32 v[3:4], v12 offset1:1
	s_waitcnt lgkmcnt(0)
	v_add_u32_e32 v3, v4, v3
	ds_write_b32 v12, v3
.LBB51_22:                              ;   in Loop: Header=BB51_14 Depth=1
	s_or_b64 exec, exec, s[22:23]
	s_waitcnt lgkmcnt(0)
	s_barrier
	s_and_saveexec_b64 s[22:23], s[2:3]
	s_cbranch_execz .LBB51_24
; %bb.23:                               ;   in Loop: Header=BB51_14 Depth=1
	ds_read2_b32 v[3:4], v12 offset1:32
	s_waitcnt lgkmcnt(0)
	v_add_u32_e32 v3, v4, v3
	ds_write_b32 v12, v3
.LBB51_24:                              ;   in Loop: Header=BB51_14 Depth=1
	s_or_b64 exec, exec, s[22:23]
	s_waitcnt lgkmcnt(0)
	s_barrier
	s_and_saveexec_b64 s[22:23], s[8:9]
	s_cbranch_execz .LBB51_26
; %bb.25:                               ;   in Loop: Header=BB51_14 Depth=1
	ds_read2_b32 v[3:4], v12 offset1:16
	s_waitcnt lgkmcnt(0)
	v_add_u32_e32 v3, v4, v3
	ds_write_b32 v12, v3
.LBB51_26:                              ;   in Loop: Header=BB51_14 Depth=1
	;; [unrolled: 11-line block ×5, first 2 shown]
	s_or_b64 exec, exec, s[22:23]
	s_waitcnt lgkmcnt(0)
	s_barrier
	s_and_saveexec_b64 s[22:23], s[16:17]
	s_cbranch_execz .LBB51_34
; %bb.33:                               ;   in Loop: Header=BB51_14 Depth=1
	ds_read_b64 v[3:4], v9
	s_waitcnt lgkmcnt(0)
	v_add_u32_e32 v3, v4, v3
	ds_write_b32 v9, v3
.LBB51_34:                              ;   in Loop: Header=BB51_14 Depth=1
	s_or_b64 exec, exec, s[22:23]
	s_waitcnt lgkmcnt(0)
	s_barrier
	s_and_saveexec_b64 s[22:23], s[16:17]
	s_cbranch_execz .LBB51_13
; %bb.35:                               ;   in Loop: Header=BB51_14 Depth=1
	ds_read_b32 v3, v9
	s_and_b64 vcc, exec, s[20:21]
	s_cbranch_vccnz .LBB51_12
; %bb.36:                               ;   in Loop: Header=BB51_14 Depth=1
	s_lshl_b64 s[50:51], s[48:49], 2
	s_add_u32 s50, s34, s50
	s_addc_u32 s51, s35, s51
	global_load_dword v4, v9, s[50:51]
	s_waitcnt vmcnt(0)
	v_mul_lo_u32 v4, v4, s33
	s_waitcnt lgkmcnt(0)
	v_add_u32_e32 v3, v4, v3
	s_branch .LBB51_12
.LBB51_37:
	s_mov_b64 s[18:19], 0
.LBB51_38:
	s_and_b64 vcc, exec, s[18:19]
	s_cbranch_vccz .LBB51_73
; %bb.39:
	s_load_dwordx2 s[8:9], s[4:5], 0x18
	s_sub_u32 s10, s6, s40
	s_subb_u32 s11, s7, s41
	s_lshl_b64 s[0:1], s[6:7], 2
	v_mov_b32_e32 v1, 0
	s_waitcnt lgkmcnt(0)
	s_add_u32 s6, s8, s0
	s_addc_u32 s7, s9, s1
	global_load_dword v7, v1, s[6:7]
	s_cmp_lg_u64 s[40:41], 0
	s_cselect_b64 s[12:13], -1, 0
	s_cmp_eq_u64 s[40:41], 0
	s_cselect_b64 s[2:3], -1, 0
	v_cmp_eq_u32_e64 s[0:1], 0, v0
	s_and_b64 s[14:15], s[0:1], s[2:3]
	s_and_saveexec_b64 s[2:3], s[14:15]
	s_cbranch_execz .LBB51_43
; %bb.40:
	s_lshl_b64 s[16:17], s[36:37], 2
	s_add_u32 s16, s34, s16
	s_addc_u32 s17, s35, s17
	v_mov_b32_e32 v2, 0
	global_load_dword v1, v2, s[16:17]
	s_mov_b64 s[14:15], exec
	v_mbcnt_lo_u32_b32 v3, s14, 0
	v_mbcnt_hi_u32_b32 v3, s15, v3
	s_add_i32 s18, s33, -1
	v_cmp_eq_u32_e32 vcc, 0, v3
	s_waitcnt vmcnt(0) expcnt(0) lgkmcnt(0)
	s_and_saveexec_b64 s[16:17], vcc
	s_cbranch_execz .LBB51_42
; %bb.41:
	s_lshl_b64 s[20:21], s[10:11], 2
	s_add_u32 s20, s8, s20
	s_addc_u32 s21, s9, s21
	s_bcnt1_i32_b64 s14, s[14:15]
	s_and_b32 s14, s14, 1
	v_mov_b32_e32 v3, s14
	global_atomic_xor v2, v3, s[20:21]
.LBB51_42:
	s_or_b64 exec, exec, s[16:17]
	v_mul_lo_u32 v1, v1, s18
.LBB51_43:
	s_or_b64 exec, exec, s[2:3]
	s_mul_i32 s2, s41, 0xc00
	s_mul_hi_u32 s3, s40, 0xc00
	s_add_i32 s14, s3, s2
	s_load_dwordx2 s[2:3], s[44:45], 0x8
	s_sub_u32 s16, s42, s46
	s_mul_i32 s15, s40, 0xc00
	s_subb_u32 s17, s43, 0
	s_add_u32 s16, s16, s15
	s_addc_u32 s17, s17, s14
	s_waitcnt lgkmcnt(0)
	s_sub_u32 s2, s2, s46
	v_mov_b32_e32 v2, s17
	v_add_co_u32_e32 v3, vcc, s16, v0
	s_subb_u32 s3, s3, 0
	v_addc_co_u32_e32 v4, vcc, 0, v2, vcc
	v_cmp_gt_i64_e32 vcc, s[2:3], v[3:4]
	s_and_saveexec_b64 s[14:15], vcc
	s_cbranch_execz .LBB51_47
; %bb.44:
	s_add_u32 s16, s16, 0xc00
	v_mov_b32_e32 v6, s3
	s_addc_u32 s17, s17, 0
	v_mov_b32_e32 v5, s2
	v_cmp_lt_i64_e32 vcc, s[16:17], v[5:6]
	v_lshlrev_b64 v[5:6], 3, v[3:4]
	s_and_b64 s[18:19], vcc, exec
	v_mov_b32_e32 v2, s27
	v_add_co_u32_e32 v5, vcc, s26, v5
	s_cselect_b32 s17, s17, s3
	s_cselect_b32 s16, s16, s2
	v_addc_co_u32_e32 v6, vcc, v2, v6, vcc
	s_mov_b64 s[18:19], 0
	v_mov_b32_e32 v8, s29
	v_mov_b32_e32 v9, s31
.LBB51_45:                              ; =>This Inner Loop Header: Depth=1
	global_load_dwordx2 v[10:11], v[5:6], off
	v_add_co_u32_e32 v12, vcc, s28, v3
	v_addc_co_u32_e32 v13, vcc, v8, v4, vcc
	global_load_sbyte v2, v[12:13], off
	s_waitcnt vmcnt(1)
	v_subrev_co_u32_e32 v10, vcc, s46, v10
	v_subbrev_co_u32_e32 v11, vcc, 0, v11, vcc
	v_add_co_u32_e32 v10, vcc, s30, v10
	v_addc_co_u32_e32 v11, vcc, v9, v11, vcc
	global_load_sbyte v10, v[10:11], off
	v_add_co_u32_e32 v3, vcc, 0x100, v3
	s_waitcnt vmcnt(1)
	v_mul_lo_u32 v2, s47, v2
	v_addc_co_u32_e32 v4, vcc, 0, v4, vcc
	v_cmp_le_i64_e64 s[2:3], s[16:17], v[3:4]
	v_add_co_u32_e32 v5, vcc, 0x800, v5
	s_or_b64 s[18:19], s[2:3], s[18:19]
	v_addc_co_u32_e32 v6, vcc, 0, v6, vcc
	s_waitcnt vmcnt(0)
	v_mad_u64_u32 v[1:2], s[2:3], v2, v10, v[1:2]
	s_andn2_b64 exec, exec, s[18:19]
	s_cbranch_execnz .LBB51_45
; %bb.46:
	s_or_b64 exec, exec, s[18:19]
.LBB51_47:
	s_or_b64 exec, exec, s[14:15]
	s_movk_i32 s2, 0x80
	v_lshlrev_b32_e32 v2, 2, v0
	v_cmp_gt_u32_e32 vcc, s2, v0
	ds_write_b32 v2, v1
	s_waitcnt vmcnt(0) lgkmcnt(0)
	s_barrier
	s_and_saveexec_b64 s[2:3], vcc
	s_cbranch_execz .LBB51_49
; %bb.48:
	ds_read2st64_b32 v[3:4], v2 offset1:2
	s_waitcnt lgkmcnt(0)
	v_add_u32_e32 v1, v4, v3
	ds_write_b32 v2, v1
.LBB51_49:
	s_or_b64 exec, exec, s[2:3]
	v_cmp_gt_u32_e32 vcc, 64, v0
	s_waitcnt lgkmcnt(0)
	s_barrier
	s_and_saveexec_b64 s[2:3], vcc
	s_cbranch_execz .LBB51_51
; %bb.50:
	ds_read2st64_b32 v[3:4], v2 offset1:1
	s_waitcnt lgkmcnt(0)
	v_add_u32_e32 v1, v4, v3
	ds_write_b32 v2, v1
.LBB51_51:
	s_or_b64 exec, exec, s[2:3]
	v_cmp_gt_u32_e32 vcc, 32, v0
	s_waitcnt lgkmcnt(0)
	s_barrier
	s_and_saveexec_b64 s[2:3], vcc
	s_cbranch_execz .LBB51_53
; %bb.52:
	ds_read2_b32 v[3:4], v2 offset1:32
	s_waitcnt lgkmcnt(0)
	v_add_u32_e32 v1, v4, v3
	ds_write_b32 v2, v1
.LBB51_53:
	s_or_b64 exec, exec, s[2:3]
	v_cmp_gt_u32_e32 vcc, 16, v0
	s_waitcnt lgkmcnt(0)
	s_barrier
	s_and_saveexec_b64 s[2:3], vcc
	s_cbranch_execz .LBB51_55
; %bb.54:
	ds_read2_b32 v[3:4], v2 offset1:16
	s_waitcnt lgkmcnt(0)
	v_add_u32_e32 v1, v4, v3
	ds_write_b32 v2, v1
.LBB51_55:
	;; [unrolled: 12-line block ×5, first 2 shown]
	s_or_b64 exec, exec, s[2:3]
	s_waitcnt lgkmcnt(0)
	s_barrier
	s_and_saveexec_b64 s[2:3], s[0:1]
	s_cbranch_execz .LBB51_63
; %bb.62:
	v_mov_b32_e32 v3, 0
	ds_read_b64 v[1:2], v3
	s_waitcnt lgkmcnt(0)
	v_add_u32_e32 v1, v2, v1
	ds_write_b32 v3, v1
.LBB51_63:
	s_or_b64 exec, exec, s[2:3]
	s_waitcnt lgkmcnt(0)
	s_barrier
	s_and_saveexec_b64 s[2:3], s[0:1]
	s_cbranch_execz .LBB51_72
; %bb.64:
	s_andn2_b64 vcc, exec, s[12:13]
	s_cbranch_vccnz .LBB51_70
; %bb.65:
	s_lshl_b64 s[0:1], s[10:11], 2
	s_add_u32 s0, s8, s0
	s_addc_u32 s1, s9, s1
	v_mov_b32_e32 v1, 0
	s_branch .LBB51_67
.LBB51_66:                              ;   in Loop: Header=BB51_67 Depth=1
	s_or_b64 exec, exec, s[8:9]
	s_waitcnt vmcnt(0)
	v_readfirstlane_b32 s8, v2
	v_cmp_eq_u32_e32 vcc, s8, v7
	s_cbranch_vccz .LBB51_69
.LBB51_67:                              ; =>This Inner Loop Header: Depth=1
	v_mbcnt_lo_u32_b32 v2, exec_lo, 0
	v_mbcnt_hi_u32_b32 v2, exec_hi, v2
	v_cmp_eq_u32_e32 vcc, 0, v2
                                        ; implicit-def: $vgpr2
	s_and_saveexec_b64 s[8:9], vcc
	s_cbranch_execz .LBB51_66
; %bb.68:                               ;   in Loop: Header=BB51_67 Depth=1
	global_load_dword v2, v1, s[0:1] glc
	s_branch .LBB51_66
.LBB51_69:
	v_mov_b32_e32 v1, 0
	global_load_ushort v2, v1, s[6:7]
	s_waitcnt vmcnt(0)
	v_xor_b32_e32 v2, 1, v2
	global_store_short v1, v2, s[6:7]
.LBB51_70:
	s_mov_b64 s[0:1], exec
	v_mbcnt_lo_u32_b32 v1, s0, 0
	v_mbcnt_hi_u32_b32 v1, s1, v1
	v_cmp_eq_u32_e32 vcc, 0, v1
	s_and_b64 s[6:7], exec, vcc
	s_mov_b64 exec, s[6:7]
	s_cbranch_execz .LBB51_72
; %bb.71:
	v_mov_b32_e32 v1, 0
	ds_read_b32 v2, v1
	s_lshl_b64 s[6:7], s[36:37], 2
	s_add_u32 s6, s34, s6
	s_addc_u32 s7, s35, s7
	s_bcnt1_i32_b64 s0, s[0:1]
	s_waitcnt lgkmcnt(0)
	v_mul_lo_u32 v2, v2, s0
	global_atomic_add v1, v2, s[6:7]
.LBB51_72:
	s_or_b64 exec, exec, s[2:3]
.LBB51_73:
	s_mov_b64 s[2:3], 0
.LBB51_74:
	s_andn2_b64 vcc, exec, s[2:3]
	s_cbranch_vccnz .LBB51_118
; %bb.75:
	s_load_dwordx2 s[0:1], s[4:5], 0x8
	v_subrev_co_u32_e32 v1, vcc, s46, v0
	v_subb_co_u32_e64 v2, s[2:3], 0, 0, vcc
	s_waitcnt lgkmcnt(0)
	v_mov_b32_e32 v3, s43
	v_add_co_u32_e32 v1, vcc, s42, v1
	v_addc_co_u32_e32 v2, vcc, v3, v2, vcc
	v_add_co_u32_e32 v3, vcc, 0x300, v1
	v_addc_co_u32_e32 v4, vcc, 0, v2, vcc
	v_cmp_le_i64_e32 vcc, s[0:1], v[3:4]
	s_and_saveexec_b64 s[0:1], vcc
	s_xor_b64 s[2:3], exec, s[0:1]
	s_cbranch_execz .LBB51_80
; %bb.76:
	s_lshl_b64 s[0:1], s[38:39], 3
	s_add_u32 s0, s24, s0
	s_addc_u32 s1, s25, s1
	s_load_dwordx2 s[0:1], s[0:1], 0x0
	s_waitcnt lgkmcnt(0)
	s_sub_u32 s4, s0, s46
	s_subb_u32 s5, s1, 0
	v_cmp_gt_i64_e32 vcc, s[4:5], v[1:2]
	s_and_saveexec_b64 s[6:7], vcc
	s_cbranch_execz .LBB51_79
; %bb.77:
	v_lshlrev_b64 v[3:4], 3, v[1:2]
	v_mov_b32_e32 v6, s27
	v_add_co_u32_e32 v3, vcc, s26, v3
	v_lshlrev_b32_e32 v5, 2, v0
	v_addc_co_u32_e32 v4, vcc, v6, v4, vcc
	s_mov_b64 s[8:9], 0
	v_mov_b32_e32 v6, s29
	v_mov_b32_e32 v7, s31
.LBB51_78:                              ; =>This Inner Loop Header: Depth=1
	global_load_dwordx2 v[8:9], v[3:4], off
	v_add_co_u32_e32 v10, vcc, s28, v1
	v_addc_co_u32_e32 v11, vcc, v6, v2, vcc
	global_load_sbyte v10, v[10:11], off
	s_waitcnt vmcnt(1)
	v_subrev_co_u32_e32 v8, vcc, s46, v8
	v_subbrev_co_u32_e32 v9, vcc, 0, v9, vcc
	v_add_co_u32_e32 v8, vcc, s30, v8
	v_addc_co_u32_e32 v9, vcc, v7, v9, vcc
	global_load_sbyte v8, v[8:9], off
	s_waitcnt vmcnt(1)
	v_mul_lo_u32 v9, s47, v10
	v_add_co_u32_e32 v1, vcc, 0x100, v1
	v_addc_co_u32_e32 v2, vcc, 0, v2, vcc
	v_cmp_le_i64_e64 s[0:1], s[4:5], v[1:2]
	v_add_co_u32_e32 v3, vcc, 0x800, v3
	v_addc_co_u32_e32 v4, vcc, 0, v4, vcc
	s_or_b64 s[8:9], s[0:1], s[8:9]
	s_waitcnt vmcnt(0)
	v_mul_lo_u32 v8, v9, v8
	ds_write_b32 v5, v8
	v_add_u32_e32 v5, 0x400, v5
	s_andn2_b64 exec, exec, s[8:9]
	s_cbranch_execnz .LBB51_78
.LBB51_79:
	s_or_b64 exec, exec, s[6:7]
                                        ; implicit-def: $vgpr1
.LBB51_80:
	s_or_saveexec_b64 s[0:1], s[2:3]
	v_lshlrev_b32_e32 v10, 2, v0
	s_xor_b64 exec, exec, s[0:1]
	s_cbranch_execz .LBB51_82
; %bb.81:
	v_lshlrev_b64 v[3:4], 3, v[1:2]
	v_mov_b32_e32 v5, s27
	v_add_co_u32_e32 v3, vcc, s26, v3
	v_addc_co_u32_e32 v4, vcc, v5, v4, vcc
	global_load_dwordx2 v[5:6], v[3:4], off
	global_load_dwordx2 v[7:8], v[3:4], off offset:2048
	s_movk_i32 s2, 0x1000
	v_add_co_u32_e32 v3, vcc, s2, v3
	v_addc_co_u32_e32 v4, vcc, 0, v4, vcc
	global_load_dwordx2 v[11:12], v[3:4], off
	global_load_dwordx2 v[13:14], v[3:4], off offset:2048
	v_mov_b32_e32 v3, s29
	v_add_co_u32_e32 v1, vcc, s28, v1
	v_addc_co_u32_e32 v2, vcc, v3, v2, vcc
	global_load_sbyte v17, v[1:2], off
	global_load_sbyte v18, v[1:2], off offset:256
	global_load_sbyte v19, v[1:2], off offset:512
	;; [unrolled: 1-line block ×3, first 2 shown]
	v_mov_b32_e32 v4, s31
	v_mov_b32_e32 v9, s31
	;; [unrolled: 1-line block ×4, first 2 shown]
	s_waitcnt vmcnt(7)
	v_subrev_co_u32_e32 v1, vcc, s46, v5
	v_subbrev_co_u32_e32 v2, vcc, 0, v6, vcc
	s_waitcnt vmcnt(6)
	v_subrev_co_u32_e32 v3, vcc, s46, v7
	v_subbrev_co_u32_e32 v5, vcc, 0, v8, vcc
	v_add_co_u32_e32 v1, vcc, s30, v1
	v_addc_co_u32_e32 v2, vcc, v4, v2, vcc
	v_add_co_u32_e32 v3, vcc, s30, v3
	v_addc_co_u32_e32 v4, vcc, v9, v5, vcc
	s_waitcnt vmcnt(5)
	v_subrev_co_u32_e32 v5, vcc, s46, v11
	v_subbrev_co_u32_e32 v6, vcc, 0, v12, vcc
	s_waitcnt vmcnt(4)
	v_subrev_co_u32_e32 v7, vcc, s46, v13
	v_subbrev_co_u32_e32 v8, vcc, 0, v14, vcc
	global_load_sbyte v9, v[1:2], off
	global_load_sbyte v11, v[3:4], off
	v_add_co_u32_e32 v1, vcc, s30, v5
	v_addc_co_u32_e32 v2, vcc, v15, v6, vcc
	v_add_co_u32_e32 v3, vcc, s30, v7
	v_addc_co_u32_e32 v4, vcc, v16, v8, vcc
	global_load_sbyte v5, v[1:2], off
	global_load_sbyte v6, v[3:4], off
	s_waitcnt vmcnt(7)
	v_mul_lo_u32 v1, s47, v17
	s_waitcnt vmcnt(6)
	v_mul_lo_u32 v2, s47, v18
	;; [unrolled: 2-line block ×8, first 2 shown]
	ds_write2st64_b32 v10, v1, v2 offset1:4
	ds_write2st64_b32 v10, v3, v4 offset0:8 offset1:12
.LBB51_82:
	s_or_b64 exec, exec, s[0:1]
	v_cmp_lt_i64_e64 s[2:3], s[40:41], 2
	s_mov_b64 s[0:1], -1
	s_and_b64 vcc, exec, s[2:3]
	s_waitcnt vmcnt(0) lgkmcnt(0)
	s_barrier
	s_cbranch_vccz .LBB51_93
; %bb.83:
	v_mov_b32_e32 v1, s37
	v_add_co_u32_e32 v5, vcc, s36, v0
	v_addc_co_u32_e32 v6, vcc, 0, v1, vcc
	v_cmp_gt_i64_e32 vcc, s[38:39], v[5:6]
	s_and_saveexec_b64 s[2:3], vcc
	s_cbranch_execz .LBB51_92
; %bb.84:
	s_cmp_lg_u32 s33, 0
	s_cselect_b64 s[4:5], -1, 0
	s_lshl_b32 s0, s42, 2
	s_sub_i32 s10, 0, s0
	s_mov_b64 s[6:7], 0
	v_mov_b32_e32 v11, s25
	v_mov_b32_e32 v12, s35
	s_branch .LBB51_86
.LBB51_85:                              ;   in Loop: Header=BB51_86 Depth=1
	v_add_co_u32_e32 v5, vcc, 0x100, v5
	v_addc_co_u32_e32 v6, vcc, 0, v6, vcc
	v_cmp_le_i64_e32 vcc, s[38:39], v[5:6]
	v_add_co_u32_e64 v1, s[0:1], s34, v1
	v_addc_co_u32_e64 v2, s[0:1], v12, v2, s[0:1]
	s_or_b64 s[6:7], vcc, s[6:7]
	global_store_dword v[1:2], v7, off
	s_andn2_b64 exec, exec, s[6:7]
	s_cbranch_execz .LBB51_92
.LBB51_86:                              ; =>This Loop Header: Depth=1
                                        ;     Child Loop BB51_88 Depth 2
	v_lshlrev_b64 v[1:2], 3, v[5:6]
	v_mov_b32_e32 v7, 0
	v_add_co_u32_e32 v1, vcc, s24, v1
	v_addc_co_u32_e32 v2, vcc, v11, v2, vcc
	global_load_dwordx4 v[1:4], v[1:2], off
	s_waitcnt vmcnt(0)
	v_cmp_lt_i64_e32 vcc, v[1:2], v[3:4]
	s_and_saveexec_b64 s[0:1], vcc
	s_cbranch_execz .LBB51_90
; %bb.87:                               ;   in Loop: Header=BB51_86 Depth=1
	v_mov_b32_e32 v7, s43
	v_subrev_co_u32_e32 v3, vcc, s42, v3
	v_subb_co_u32_e32 v4, vcc, v4, v7, vcc
	v_subrev_co_u32_e32 v8, vcc, s42, v1
	v_subb_co_u32_e32 v9, vcc, v2, v7, vcc
	v_lshl_add_u32 v1, v1, 2, s10
	v_mov_b32_e32 v7, 0
	s_mov_b64 s[8:9], 0
.LBB51_88:                              ;   Parent Loop BB51_86 Depth=1
                                        ; =>  This Inner Loop Header: Depth=2
	ds_read_b32 v2, v1
	v_add_co_u32_e32 v8, vcc, 1, v8
	v_addc_co_u32_e32 v9, vcc, 0, v9, vcc
	v_cmp_ge_i64_e32 vcc, v[8:9], v[3:4]
	v_add_u32_e32 v1, 4, v1
	s_or_b64 s[8:9], vcc, s[8:9]
	s_waitcnt lgkmcnt(0)
	v_add_u32_e32 v7, v2, v7
	s_andn2_b64 exec, exec, s[8:9]
	s_cbranch_execnz .LBB51_88
; %bb.89:                               ;   in Loop: Header=BB51_86 Depth=1
	s_or_b64 exec, exec, s[8:9]
.LBB51_90:                              ;   in Loop: Header=BB51_86 Depth=1
	s_or_b64 exec, exec, s[0:1]
	v_lshlrev_b64 v[1:2], 2, v[5:6]
	s_and_b64 vcc, exec, s[4:5]
	s_cbranch_vccz .LBB51_85
; %bb.91:                               ;   in Loop: Header=BB51_86 Depth=1
	v_mov_b32_e32 v4, s35
	v_add_co_u32_e32 v3, vcc, s34, v1
	v_addc_co_u32_e32 v4, vcc, v4, v2, vcc
	global_load_dword v3, v[3:4], off
	s_waitcnt vmcnt(0)
	v_mad_u64_u32 v[7:8], s[0:1], v3, s33, v[7:8]
	s_branch .LBB51_85
.LBB51_92:
	s_or_b64 exec, exec, s[2:3]
	s_mov_b64 s[0:1], 0
.LBB51_93:
	s_andn2_b64 vcc, exec, s[0:1]
	s_cbranch_vccnz .LBB51_118
; %bb.94:
	s_flbit_i32_b32 s0, s40
	s_min_u32 s0, s0, 32
	s_sub_i32 s0, 31, s0
	v_lshrrev_b32_e32 v5, s0, v0
	v_mov_b32_e32 v2, s37
	v_add_co_u32_e32 v1, vcc, s36, v5
	v_addc_co_u32_e32 v2, vcc, 0, v2, vcc
	s_add_i32 s0, s40, -1
	v_mov_b32_e32 v4, 0
	v_and_b32_e32 v3, s0, v0
	v_cmp_le_i64_e64 s[0:1], s[38:39], v[1:2]
	v_cmp_gt_i64_e32 vcc, s[38:39], v[1:2]
	v_mov_b32_e32 v0, v4
	s_and_saveexec_b64 s[2:3], vcc
	s_cbranch_execz .LBB51_100
; %bb.95:
	v_lshlrev_b32_e32 v0, 3, v5
	global_load_dwordx4 v[11:14], v0, s[44:45]
	v_mov_b32_e32 v5, s43
	v_subrev_co_u32_e32 v7, vcc, s42, v3
	v_subb_co_u32_e32 v8, vcc, 0, v5, vcc
	v_mov_b32_e32 v0, s43
	s_waitcnt vmcnt(0)
	v_subrev_co_u32_e32 v5, vcc, s42, v13
	v_subb_co_u32_e32 v6, vcc, v14, v0, vcc
	v_add_co_u32_e32 v7, vcc, v11, v7
	v_addc_co_u32_e32 v8, vcc, v12, v8, vcc
	v_cmp_lt_i64_e32 vcc, v[7:8], v[5:6]
	v_mov_b32_e32 v0, 0
	s_and_saveexec_b64 s[4:5], vcc
	s_cbranch_execz .LBB51_99
; %bb.96:
	v_lshlrev_b32_e32 v9, 2, v7
	s_lshl_b32 s8, s40, 2
	v_mov_b32_e32 v0, 0
	s_mov_b64 s[6:7], 0
	v_mov_b32_e32 v11, s41
.LBB51_97:                              ; =>This Inner Loop Header: Depth=1
	ds_read_b32 v12, v9
	v_add_co_u32_e32 v7, vcc, s40, v7
	v_addc_co_u32_e32 v8, vcc, v8, v11, vcc
	v_cmp_ge_i64_e32 vcc, v[7:8], v[5:6]
	v_add_u32_e32 v9, s8, v9
	s_or_b64 s[6:7], vcc, s[6:7]
	s_waitcnt lgkmcnt(0)
	v_add_u32_e32 v0, v12, v0
	s_andn2_b64 exec, exec, s[6:7]
	s_cbranch_execnz .LBB51_97
; %bb.98:
	s_or_b64 exec, exec, s[6:7]
.LBB51_99:
	s_or_b64 exec, exec, s[4:5]
.LBB51_100:
	s_or_b64 exec, exec, s[2:3]
	v_mov_b32_e32 v5, 0x81
	v_mov_b32_e32 v6, 0
	v_cmp_lt_u64_e32 vcc, s[40:41], v[5:6]
	s_and_b64 vcc, exec, vcc
	s_waitcnt vmcnt(0)
	s_barrier
	ds_write_b32 v10, v0
	s_waitcnt lgkmcnt(0)
	s_barrier
	s_cbranch_vccnz .LBB51_102
; %bb.101:
	ds_read_b32 v5, v10 offset:512
	s_waitcnt lgkmcnt(0)
	s_barrier
	v_add_u32_e32 v0, v5, v0
	ds_write_b32 v10, v0
.LBB51_102:
	v_mov_b32_e32 v5, 0x41
	v_mov_b32_e32 v6, 0
	v_cmp_lt_u64_e32 vcc, s[40:41], v[5:6]
	s_waitcnt lgkmcnt(0)
	s_barrier
	s_cbranch_vccnz .LBB51_104
; %bb.103:
	ds_read_b32 v5, v10 offset:256
	s_waitcnt lgkmcnt(0)
	s_barrier
	v_add_u32_e32 v0, v5, v0
	ds_write_b32 v10, v0
.LBB51_104:
	v_cmp_lt_u64_e64 s[2:3], s[40:41], 33
	s_waitcnt lgkmcnt(0)
	s_and_b64 vcc, exec, s[2:3]
	s_barrier
	s_cbranch_vccnz .LBB51_106
; %bb.105:
	ds_read_b32 v5, v10 offset:128
	s_waitcnt lgkmcnt(0)
	s_barrier
	v_add_u32_e32 v0, v5, v0
	ds_write_b32 v10, v0
.LBB51_106:
	v_cmp_lt_u64_e64 s[2:3], s[40:41], 17
	s_waitcnt lgkmcnt(0)
	s_and_b64 vcc, exec, s[2:3]
	;; [unrolled: 12-line block ×4, first 2 shown]
	s_barrier
	s_cbranch_vccnz .LBB51_112
; %bb.111:
	ds_read_b32 v5, v10 offset:16
	s_waitcnt lgkmcnt(0)
	s_barrier
	v_add_u32_e32 v0, v5, v0
	ds_write_b32 v10, v0
.LBB51_112:
	s_cmp_eq_u64 s[40:41], 2
	s_waitcnt lgkmcnt(0)
	s_barrier
	s_cbranch_scc1 .LBB51_114
; %bb.113:
	ds_read_b32 v5, v10 offset:8
	s_waitcnt lgkmcnt(0)
	s_barrier
	v_add_u32_e32 v0, v5, v0
	ds_write_b32 v10, v0
.LBB51_114:
	s_waitcnt lgkmcnt(0)
	s_barrier
	ds_read_b32 v5, v10 offset:4
	v_cmp_eq_u64_e32 vcc, 0, v[3:4]
	s_xor_b64 s[0:1], s[0:1], -1
	s_and_b64 s[0:1], vcc, s[0:1]
	s_waitcnt lgkmcnt(0)
	v_add_u32_e32 v0, v5, v0
	s_barrier
	ds_write_b32 v10, v0
	s_and_saveexec_b64 s[2:3], s[0:1]
	s_cbranch_execz .LBB51_118
; %bb.115:
	v_lshlrev_b64 v[2:3], 2, v[1:2]
	s_cmp_eq_u32 s33, 0
	s_cbranch_scc1 .LBB51_117
; %bb.116:
	v_mov_b32_e32 v1, s35
	v_add_co_u32_e32 v4, vcc, s34, v2
	v_addc_co_u32_e32 v5, vcc, v1, v3, vcc
	global_load_dword v1, v[4:5], off
	s_waitcnt vmcnt(0)
	v_mad_u64_u32 v[0:1], s[0:1], v1, s33, v[0:1]
.LBB51_117:
	v_mov_b32_e32 v4, s35
	v_add_co_u32_e32 v1, vcc, s34, v2
	v_addc_co_u32_e32 v2, vcc, v4, v3, vcc
	global_store_dword v[1:2], v0, off
.LBB51_118:
	s_endpgm
	.section	.rodata,"a",@progbits
	.p2align	6, 0x0
	.amdhsa_kernel _ZN9rocsparseL22csrmvn_adaptive_kernelIllaaiiEEvbT_PKS1_PjPKT0_NS_24const_host_device_scalarIT4_EES3_S7_PKT1_PKT2_SA_PT3_21rocsparse_index_base_b
		.amdhsa_group_segment_fixed_size 4096
		.amdhsa_private_segment_fixed_size 0
		.amdhsa_kernarg_size 104
		.amdhsa_user_sgpr_count 6
		.amdhsa_user_sgpr_private_segment_buffer 1
		.amdhsa_user_sgpr_dispatch_ptr 0
		.amdhsa_user_sgpr_queue_ptr 0
		.amdhsa_user_sgpr_kernarg_segment_ptr 1
		.amdhsa_user_sgpr_dispatch_id 0
		.amdhsa_user_sgpr_flat_scratch_init 0
		.amdhsa_user_sgpr_private_segment_size 0
		.amdhsa_uses_dynamic_stack 0
		.amdhsa_system_sgpr_private_segment_wavefront_offset 0
		.amdhsa_system_sgpr_workgroup_id_x 1
		.amdhsa_system_sgpr_workgroup_id_y 0
		.amdhsa_system_sgpr_workgroup_id_z 0
		.amdhsa_system_sgpr_workgroup_info 0
		.amdhsa_system_vgpr_workitem_id 0
		.amdhsa_next_free_vgpr 21
		.amdhsa_next_free_sgpr 56
		.amdhsa_reserve_vcc 1
		.amdhsa_reserve_flat_scratch 0
		.amdhsa_float_round_mode_32 0
		.amdhsa_float_round_mode_16_64 0
		.amdhsa_float_denorm_mode_32 3
		.amdhsa_float_denorm_mode_16_64 3
		.amdhsa_dx10_clamp 1
		.amdhsa_ieee_mode 1
		.amdhsa_fp16_overflow 0
		.amdhsa_exception_fp_ieee_invalid_op 0
		.amdhsa_exception_fp_denorm_src 0
		.amdhsa_exception_fp_ieee_div_zero 0
		.amdhsa_exception_fp_ieee_overflow 0
		.amdhsa_exception_fp_ieee_underflow 0
		.amdhsa_exception_fp_ieee_inexact 0
		.amdhsa_exception_int_div_zero 0
	.end_amdhsa_kernel
	.section	.text._ZN9rocsparseL22csrmvn_adaptive_kernelIllaaiiEEvbT_PKS1_PjPKT0_NS_24const_host_device_scalarIT4_EES3_S7_PKT1_PKT2_SA_PT3_21rocsparse_index_base_b,"axG",@progbits,_ZN9rocsparseL22csrmvn_adaptive_kernelIllaaiiEEvbT_PKS1_PjPKT0_NS_24const_host_device_scalarIT4_EES3_S7_PKT1_PKT2_SA_PT3_21rocsparse_index_base_b,comdat
.Lfunc_end51:
	.size	_ZN9rocsparseL22csrmvn_adaptive_kernelIllaaiiEEvbT_PKS1_PjPKT0_NS_24const_host_device_scalarIT4_EES3_S7_PKT1_PKT2_SA_PT3_21rocsparse_index_base_b, .Lfunc_end51-_ZN9rocsparseL22csrmvn_adaptive_kernelIllaaiiEEvbT_PKS1_PjPKT0_NS_24const_host_device_scalarIT4_EES3_S7_PKT1_PKT2_SA_PT3_21rocsparse_index_base_b
                                        ; -- End function
	.set _ZN9rocsparseL22csrmvn_adaptive_kernelIllaaiiEEvbT_PKS1_PjPKT0_NS_24const_host_device_scalarIT4_EES3_S7_PKT1_PKT2_SA_PT3_21rocsparse_index_base_b.num_vgpr, 21
	.set _ZN9rocsparseL22csrmvn_adaptive_kernelIllaaiiEEvbT_PKS1_PjPKT0_NS_24const_host_device_scalarIT4_EES3_S7_PKT1_PKT2_SA_PT3_21rocsparse_index_base_b.num_agpr, 0
	.set _ZN9rocsparseL22csrmvn_adaptive_kernelIllaaiiEEvbT_PKS1_PjPKT0_NS_24const_host_device_scalarIT4_EES3_S7_PKT1_PKT2_SA_PT3_21rocsparse_index_base_b.numbered_sgpr, 56
	.set _ZN9rocsparseL22csrmvn_adaptive_kernelIllaaiiEEvbT_PKS1_PjPKT0_NS_24const_host_device_scalarIT4_EES3_S7_PKT1_PKT2_SA_PT3_21rocsparse_index_base_b.num_named_barrier, 0
	.set _ZN9rocsparseL22csrmvn_adaptive_kernelIllaaiiEEvbT_PKS1_PjPKT0_NS_24const_host_device_scalarIT4_EES3_S7_PKT1_PKT2_SA_PT3_21rocsparse_index_base_b.private_seg_size, 0
	.set _ZN9rocsparseL22csrmvn_adaptive_kernelIllaaiiEEvbT_PKS1_PjPKT0_NS_24const_host_device_scalarIT4_EES3_S7_PKT1_PKT2_SA_PT3_21rocsparse_index_base_b.uses_vcc, 1
	.set _ZN9rocsparseL22csrmvn_adaptive_kernelIllaaiiEEvbT_PKS1_PjPKT0_NS_24const_host_device_scalarIT4_EES3_S7_PKT1_PKT2_SA_PT3_21rocsparse_index_base_b.uses_flat_scratch, 0
	.set _ZN9rocsparseL22csrmvn_adaptive_kernelIllaaiiEEvbT_PKS1_PjPKT0_NS_24const_host_device_scalarIT4_EES3_S7_PKT1_PKT2_SA_PT3_21rocsparse_index_base_b.has_dyn_sized_stack, 0
	.set _ZN9rocsparseL22csrmvn_adaptive_kernelIllaaiiEEvbT_PKS1_PjPKT0_NS_24const_host_device_scalarIT4_EES3_S7_PKT1_PKT2_SA_PT3_21rocsparse_index_base_b.has_recursion, 0
	.set _ZN9rocsparseL22csrmvn_adaptive_kernelIllaaiiEEvbT_PKS1_PjPKT0_NS_24const_host_device_scalarIT4_EES3_S7_PKT1_PKT2_SA_PT3_21rocsparse_index_base_b.has_indirect_call, 0
	.section	.AMDGPU.csdata,"",@progbits
; Kernel info:
; codeLenInByte = 3984
; TotalNumSgprs: 60
; NumVgprs: 21
; ScratchSize: 0
; MemoryBound: 0
; FloatMode: 240
; IeeeMode: 1
; LDSByteSize: 4096 bytes/workgroup (compile time only)
; SGPRBlocks: 7
; VGPRBlocks: 5
; NumSGPRsForWavesPerEU: 60
; NumVGPRsForWavesPerEU: 21
; Occupancy: 10
; WaveLimiterHint : 1
; COMPUTE_PGM_RSRC2:SCRATCH_EN: 0
; COMPUTE_PGM_RSRC2:USER_SGPR: 6
; COMPUTE_PGM_RSRC2:TRAP_HANDLER: 0
; COMPUTE_PGM_RSRC2:TGID_X_EN: 1
; COMPUTE_PGM_RSRC2:TGID_Y_EN: 0
; COMPUTE_PGM_RSRC2:TGID_Z_EN: 0
; COMPUTE_PGM_RSRC2:TIDIG_COMP_CNT: 0
	.section	.text._ZN9rocsparseL22partial_scale_y_kernelIliiEEvT_S1_S1_NS_24const_host_device_scalarIT1_EEPT0_b,"axG",@progbits,_ZN9rocsparseL22partial_scale_y_kernelIliiEEvT_S1_S1_NS_24const_host_device_scalarIT1_EEPT0_b,comdat
	.globl	_ZN9rocsparseL22partial_scale_y_kernelIliiEEvT_S1_S1_NS_24const_host_device_scalarIT1_EEPT0_b ; -- Begin function _ZN9rocsparseL22partial_scale_y_kernelIliiEEvT_S1_S1_NS_24const_host_device_scalarIT1_EEPT0_b
	.p2align	8
	.type	_ZN9rocsparseL22partial_scale_y_kernelIliiEEvT_S1_S1_NS_24const_host_device_scalarIT1_EEPT0_b,@function
_ZN9rocsparseL22partial_scale_y_kernelIliiEEvT_S1_S1_NS_24const_host_device_scalarIT1_EEPT0_b: ; @_ZN9rocsparseL22partial_scale_y_kernelIliiEEvT_S1_S1_NS_24const_host_device_scalarIT1_EEPT0_b
; %bb.0:
	s_load_dword s0, s[4:5], 0x28
	s_load_dwordx8 s[8:15], s[4:5], 0x0
	s_waitcnt lgkmcnt(0)
	s_bitcmp0_b32 s0, 0
	s_cbranch_scc0 .LBB52_2
; %bb.1:
	s_load_dword s15, s[14:15], 0x0
	s_cbranch_execz .LBB52_3
	s_branch .LBB52_4
.LBB52_2:
                                        ; implicit-def: $sgpr15
.LBB52_3:
	s_waitcnt lgkmcnt(0)
	s_mov_b32 s15, s14
.LBB52_4:
	s_waitcnt lgkmcnt(0)
	s_cmp_eq_u32 s15, 1
	s_cbranch_scc1 .LBB52_14
; %bb.5:
	s_add_u32 s0, s10, s8
	s_addc_u32 s1, s11, s9
	s_sub_u32 s0, s0, s12
	v_lshl_or_b32 v0, s6, 8, v0
	v_mov_b32_e32 v1, 0
	s_subb_u32 s1, s1, s13
	v_cmp_gt_i64_e32 vcc, s[0:1], v[0:1]
	s_and_saveexec_b64 s[0:1], vcc
	s_cbranch_execz .LBB52_14
; %bb.6:
	s_load_dwordx2 s[2:3], s[4:5], 0x20
	v_cmp_le_i64_e32 vcc, s[10:11], v[0:1]
	s_cmp_lg_u32 s15, 0
	s_cselect_b64 s[0:1], -1, 0
	s_and_saveexec_b64 s[4:5], vcc
	s_xor_b64 s[4:5], exec, s[4:5]
	s_cbranch_execz .LBB52_10
; %bb.7:
	v_mov_b32_e32 v1, s11
	v_subrev_co_u32_e32 v0, vcc, s10, v0
	v_subb_co_u32_e32 v1, vcc, 0, v1, vcc
	s_lshl_b64 s[6:7], s[12:13], 2
	s_waitcnt lgkmcnt(0)
	s_add_u32 s6, s2, s6
	v_lshlrev_b64 v[0:1], 2, v[0:1]
	s_addc_u32 s7, s3, s7
	v_mov_b32_e32 v3, s7
	v_add_co_u32_e32 v2, vcc, s6, v0
	v_addc_co_u32_e32 v3, vcc, v3, v1, vcc
	s_and_b64 vcc, exec, s[0:1]
	s_cbranch_vccz .LBB52_15
; %bb.8:
	global_load_dword v0, v[2:3], off
	s_waitcnt vmcnt(0)
	v_mul_lo_u32 v0, v0, s15
	global_store_dword v[2:3], v0, off
                                        ; implicit-def: $vgpr0_vgpr1
	s_cbranch_execnz .LBB52_10
.LBB52_9:
	v_mov_b32_e32 v0, 0
	global_store_dword v[2:3], v0, off
                                        ; implicit-def: $vgpr0_vgpr1
.LBB52_10:
	s_andn2_saveexec_b64 s[4:5], s[4:5]
	s_cbranch_execz .LBB52_14
; %bb.11:
	v_lshlrev_b64 v[0:1], 2, v[0:1]
	s_waitcnt lgkmcnt(0)
	v_mov_b32_e32 v2, s3
	v_add_co_u32_e32 v0, vcc, s2, v0
	v_addc_co_u32_e32 v1, vcc, v2, v1, vcc
	s_and_b64 vcc, exec, s[0:1]
	s_cbranch_vccz .LBB52_16
; %bb.12:
	global_load_dword v2, v[0:1], off
	s_waitcnt vmcnt(0)
	v_mul_lo_u32 v2, v2, s15
	global_store_dword v[0:1], v2, off
	s_cbranch_execnz .LBB52_14
.LBB52_13:
	v_mov_b32_e32 v2, 0
	global_store_dword v[0:1], v2, off
.LBB52_14:
	s_endpgm
.LBB52_15:
                                        ; implicit-def: $vgpr0_vgpr1
	s_branch .LBB52_9
.LBB52_16:
	s_branch .LBB52_13
	.section	.rodata,"a",@progbits
	.p2align	6, 0x0
	.amdhsa_kernel _ZN9rocsparseL22partial_scale_y_kernelIliiEEvT_S1_S1_NS_24const_host_device_scalarIT1_EEPT0_b
		.amdhsa_group_segment_fixed_size 0
		.amdhsa_private_segment_fixed_size 0
		.amdhsa_kernarg_size 44
		.amdhsa_user_sgpr_count 6
		.amdhsa_user_sgpr_private_segment_buffer 1
		.amdhsa_user_sgpr_dispatch_ptr 0
		.amdhsa_user_sgpr_queue_ptr 0
		.amdhsa_user_sgpr_kernarg_segment_ptr 1
		.amdhsa_user_sgpr_dispatch_id 0
		.amdhsa_user_sgpr_flat_scratch_init 0
		.amdhsa_user_sgpr_private_segment_size 0
		.amdhsa_uses_dynamic_stack 0
		.amdhsa_system_sgpr_private_segment_wavefront_offset 0
		.amdhsa_system_sgpr_workgroup_id_x 1
		.amdhsa_system_sgpr_workgroup_id_y 0
		.amdhsa_system_sgpr_workgroup_id_z 0
		.amdhsa_system_sgpr_workgroup_info 0
		.amdhsa_system_vgpr_workitem_id 0
		.amdhsa_next_free_vgpr 4
		.amdhsa_next_free_sgpr 16
		.amdhsa_reserve_vcc 1
		.amdhsa_reserve_flat_scratch 0
		.amdhsa_float_round_mode_32 0
		.amdhsa_float_round_mode_16_64 0
		.amdhsa_float_denorm_mode_32 3
		.amdhsa_float_denorm_mode_16_64 3
		.amdhsa_dx10_clamp 1
		.amdhsa_ieee_mode 1
		.amdhsa_fp16_overflow 0
		.amdhsa_exception_fp_ieee_invalid_op 0
		.amdhsa_exception_fp_denorm_src 0
		.amdhsa_exception_fp_ieee_div_zero 0
		.amdhsa_exception_fp_ieee_overflow 0
		.amdhsa_exception_fp_ieee_underflow 0
		.amdhsa_exception_fp_ieee_inexact 0
		.amdhsa_exception_int_div_zero 0
	.end_amdhsa_kernel
	.section	.text._ZN9rocsparseL22partial_scale_y_kernelIliiEEvT_S1_S1_NS_24const_host_device_scalarIT1_EEPT0_b,"axG",@progbits,_ZN9rocsparseL22partial_scale_y_kernelIliiEEvT_S1_S1_NS_24const_host_device_scalarIT1_EEPT0_b,comdat
.Lfunc_end52:
	.size	_ZN9rocsparseL22partial_scale_y_kernelIliiEEvT_S1_S1_NS_24const_host_device_scalarIT1_EEPT0_b, .Lfunc_end52-_ZN9rocsparseL22partial_scale_y_kernelIliiEEvT_S1_S1_NS_24const_host_device_scalarIT1_EEPT0_b
                                        ; -- End function
	.set _ZN9rocsparseL22partial_scale_y_kernelIliiEEvT_S1_S1_NS_24const_host_device_scalarIT1_EEPT0_b.num_vgpr, 4
	.set _ZN9rocsparseL22partial_scale_y_kernelIliiEEvT_S1_S1_NS_24const_host_device_scalarIT1_EEPT0_b.num_agpr, 0
	.set _ZN9rocsparseL22partial_scale_y_kernelIliiEEvT_S1_S1_NS_24const_host_device_scalarIT1_EEPT0_b.numbered_sgpr, 16
	.set _ZN9rocsparseL22partial_scale_y_kernelIliiEEvT_S1_S1_NS_24const_host_device_scalarIT1_EEPT0_b.num_named_barrier, 0
	.set _ZN9rocsparseL22partial_scale_y_kernelIliiEEvT_S1_S1_NS_24const_host_device_scalarIT1_EEPT0_b.private_seg_size, 0
	.set _ZN9rocsparseL22partial_scale_y_kernelIliiEEvT_S1_S1_NS_24const_host_device_scalarIT1_EEPT0_b.uses_vcc, 1
	.set _ZN9rocsparseL22partial_scale_y_kernelIliiEEvT_S1_S1_NS_24const_host_device_scalarIT1_EEPT0_b.uses_flat_scratch, 0
	.set _ZN9rocsparseL22partial_scale_y_kernelIliiEEvT_S1_S1_NS_24const_host_device_scalarIT1_EEPT0_b.has_dyn_sized_stack, 0
	.set _ZN9rocsparseL22partial_scale_y_kernelIliiEEvT_S1_S1_NS_24const_host_device_scalarIT1_EEPT0_b.has_recursion, 0
	.set _ZN9rocsparseL22partial_scale_y_kernelIliiEEvT_S1_S1_NS_24const_host_device_scalarIT1_EEPT0_b.has_indirect_call, 0
	.section	.AMDGPU.csdata,"",@progbits
; Kernel info:
; codeLenInByte = 332
; TotalNumSgprs: 20
; NumVgprs: 4
; ScratchSize: 0
; MemoryBound: 0
; FloatMode: 240
; IeeeMode: 1
; LDSByteSize: 0 bytes/workgroup (compile time only)
; SGPRBlocks: 2
; VGPRBlocks: 0
; NumSGPRsForWavesPerEU: 20
; NumVGPRsForWavesPerEU: 4
; Occupancy: 10
; WaveLimiterHint : 0
; COMPUTE_PGM_RSRC2:SCRATCH_EN: 0
; COMPUTE_PGM_RSRC2:USER_SGPR: 6
; COMPUTE_PGM_RSRC2:TRAP_HANDLER: 0
; COMPUTE_PGM_RSRC2:TGID_X_EN: 1
; COMPUTE_PGM_RSRC2:TGID_Y_EN: 0
; COMPUTE_PGM_RSRC2:TGID_Z_EN: 0
; COMPUTE_PGM_RSRC2:TIDIG_COMP_CNT: 0
	.section	.text._ZN9rocsparseL27csrmvn_symm_adaptive_kernelIllaaiiEEvbT_S1_PKS1_NS_24const_host_device_scalarIT4_EES3_PKT0_PKT1_PKT2_S6_PT3_21rocsparse_index_base_b,"axG",@progbits,_ZN9rocsparseL27csrmvn_symm_adaptive_kernelIllaaiiEEvbT_S1_PKS1_NS_24const_host_device_scalarIT4_EES3_PKT0_PKT1_PKT2_S6_PT3_21rocsparse_index_base_b,comdat
	.globl	_ZN9rocsparseL27csrmvn_symm_adaptive_kernelIllaaiiEEvbT_S1_PKS1_NS_24const_host_device_scalarIT4_EES3_PKT0_PKT1_PKT2_S6_PT3_21rocsparse_index_base_b ; -- Begin function _ZN9rocsparseL27csrmvn_symm_adaptive_kernelIllaaiiEEvbT_S1_PKS1_NS_24const_host_device_scalarIT4_EES3_PKT0_PKT1_PKT2_S6_PT3_21rocsparse_index_base_b
	.p2align	8
	.type	_ZN9rocsparseL27csrmvn_symm_adaptive_kernelIllaaiiEEvbT_S1_PKS1_NS_24const_host_device_scalarIT4_EES3_PKT0_PKT1_PKT2_S6_PT3_21rocsparse_index_base_b,@function
_ZN9rocsparseL27csrmvn_symm_adaptive_kernelIllaaiiEEvbT_S1_PKS1_NS_24const_host_device_scalarIT4_EES3_PKT0_PKT1_PKT2_S6_PT3_21rocsparse_index_base_b: ; @_ZN9rocsparseL27csrmvn_symm_adaptive_kernelIllaaiiEEvbT_S1_PKS1_NS_24const_host_device_scalarIT4_EES3_PKT0_PKT1_PKT2_S6_PT3_21rocsparse_index_base_b
; %bb.0:
	s_load_dwordx2 s[30:31], s[4:5], 0x58
	s_load_dwordx2 s[8:9], s[4:5], 0x20
	s_mov_b64 s[10:11], -1
	s_waitcnt lgkmcnt(0)
	s_bitcmp1_b32 s31, 0
	s_cselect_b64 s[0:1], -1, 0
	s_xor_b64 s[2:3], s[0:1], -1
	s_and_b64 vcc, exec, s[2:3]
                                        ; implicit-def: $sgpr31
	s_cbranch_vccnz .LBB53_4
; %bb.1:
	s_load_dwordx2 s[0:1], s[4:5], 0x48
	s_andn2_b64 vcc, exec, s[10:11]
	s_cbranch_vccz .LBB53_5
.LBB53_2:
	s_and_b64 vcc, exec, s[2:3]
	s_cbranch_vccz .LBB53_6
.LBB53_3:
	s_waitcnt lgkmcnt(0)
	s_load_dword s1, s[0:1], 0x0
	s_cbranch_execz .LBB53_7
	s_branch .LBB53_8
.LBB53_4:
	s_load_dword s31, s[8:9], 0x0
	s_load_dwordx2 s[0:1], s[4:5], 0x48
	s_cbranch_execnz .LBB53_2
.LBB53_5:
	s_waitcnt lgkmcnt(0)
	s_mov_b32 s31, s8
	s_and_b64 vcc, exec, s[2:3]
	s_cbranch_vccnz .LBB53_3
.LBB53_6:
                                        ; implicit-def: $sgpr1
.LBB53_7:
	s_waitcnt lgkmcnt(0)
	s_mov_b32 s1, s0
.LBB53_8:
	s_waitcnt lgkmcnt(0)
	s_cmp_lg_u32 s31, 0
	s_cselect_b64 s[2:3], -1, 0
	s_cmp_lg_u32 s1, 1
	s_cselect_b64 s[0:1], -1, 0
	s_or_b64 s[0:1], s[2:3], s[0:1]
	s_andn2_b64 vcc, exec, s[0:1]
	s_cbranch_vccnz .LBB53_141
; %bb.9:
	s_load_dwordx2 s[0:1], s[4:5], 0x18
	s_ashr_i32 s7, s6, 31
	s_lshl_b64 s[2:3], s[6:7], 3
	v_lshlrev_b32_e32 v14, 2, v0
	v_mov_b32_e32 v1, 0
	s_waitcnt lgkmcnt(0)
	s_add_u32 s0, s0, s2
	s_addc_u32 s1, s1, s3
	ds_write2st64_b32 v14, v1, v1 offset1:4
	ds_write2st64_b32 v14, v1, v1 offset0:8 offset1:12
	s_waitcnt lgkmcnt(0)
	s_barrier
	s_load_dwordx4 s[24:27], s[0:1], 0x0
	s_load_dwordx8 s[16:23], s[4:5], 0x28
	s_load_dwordx2 s[14:15], s[4:5], 0x50
	s_mov_b64 s[0:1], -1
	s_waitcnt lgkmcnt(0)
	s_sub_u32 s28, s26, s24
	s_subb_u32 s29, s27, s25
	v_cmp_gt_i64_e64 s[2:3], s[28:29], 2
	s_and_b64 vcc, exec, s[2:3]
	s_cbranch_vccnz .LBB53_40
; %bb.10:
	v_mov_b32_e32 v1, s24
	v_mov_b32_e32 v2, s25
	v_cmp_le_i64_e32 vcc, s[26:27], v[1:2]
	v_subrev_co_u32_e64 v7, s[0:1], s30, v0
	v_subb_co_u32_e64 v8, s[0:1], 0, 0, s[0:1]
	s_cbranch_vccnz .LBB53_30
; %bb.11:
	s_movk_i32 s0, 0x100
	v_mov_b32_e32 v1, s26
	v_cmp_gt_u32_e64 s[0:1], s0, v0
	v_cmp_gt_u32_e64 s[2:3], 64, v0
	;; [unrolled: 1-line block ×4, first 2 shown]
	v_cmp_eq_u32_e64 s[10:11], 0, v0
	v_mov_b32_e32 v9, 0
	v_mov_b32_e32 v2, s27
	s_mov_b64 s[34:35], s[24:25]
	s_branch .LBB53_13
.LBB53_12:                              ;   in Loop: Header=BB53_13 Depth=1
	s_or_b64 exec, exec, s[12:13]
	s_add_u32 s34, s34, 1
	s_addc_u32 s35, s35, 0
	v_cmp_ge_i64_e32 vcc, s[34:35], v[1:2]
	s_cbranch_vccnz .LBB53_30
.LBB53_13:                              ; =>This Loop Header: Depth=1
                                        ;     Child Loop BB53_15 Depth 2
	s_lshl_b64 s[12:13], s[34:35], 3
	s_add_u32 s12, s16, s12
	s_addc_u32 s13, s17, s13
	s_load_dwordx4 s[40:43], s[12:13], 0x0
	v_mov_b32_e32 v10, 0
	s_waitcnt lgkmcnt(0)
	s_sub_u32 s36, s42, s30
	v_mov_b32_e32 v4, s41
	v_add_co_u32_e32 v3, vcc, s40, v7
	s_subb_u32 s37, s43, 0
	v_addc_co_u32_e32 v4, vcc, v4, v8, vcc
	v_cmp_gt_i64_e32 vcc, s[36:37], v[3:4]
	s_and_saveexec_b64 s[38:39], vcc
	s_cbranch_execz .LBB53_17
; %bb.14:                               ;   in Loop: Header=BB53_13 Depth=1
	v_lshlrev_b64 v[5:6], 3, v[3:4]
	v_mov_b32_e32 v10, s19
	v_add_co_u32_e32 v5, vcc, s18, v5
	v_addc_co_u32_e32 v6, vcc, v10, v6, vcc
	v_mov_b32_e32 v10, 0
	s_mov_b64 s[40:41], 0
.LBB53_15:                              ;   Parent Loop BB53_13 Depth=1
                                        ; =>  This Inner Loop Header: Depth=2
	global_load_dwordx2 v[11:12], v[5:6], off
	v_mov_b32_e32 v13, s21
	v_add_co_u32_e32 v15, vcc, s20, v3
	v_addc_co_u32_e32 v16, vcc, v13, v4, vcc
	v_mov_b32_e32 v17, s23
	global_load_sbyte v13, v[15:16], off
	s_waitcnt vmcnt(1)
	v_subrev_co_u32_e32 v11, vcc, s30, v11
	v_subbrev_co_u32_e32 v12, vcc, 0, v12, vcc
	v_add_co_u32_e32 v11, vcc, s22, v11
	v_addc_co_u32_e32 v12, vcc, v17, v12, vcc
	global_load_sbyte v11, v[11:12], off
	v_add_co_u32_e32 v3, vcc, 0x100, v3
	v_addc_co_u32_e32 v4, vcc, 0, v4, vcc
	v_cmp_le_i64_e64 s[12:13], s[36:37], v[3:4]
	v_add_co_u32_e32 v5, vcc, 0x800, v5
	v_addc_co_u32_e32 v6, vcc, 0, v6, vcc
	s_or_b64 s[40:41], s[12:13], s[40:41]
	s_waitcnt vmcnt(0)
	v_mad_i32_i24 v10, v11, v13, v10
	s_andn2_b64 exec, exec, s[40:41]
	s_cbranch_execnz .LBB53_15
; %bb.16:                               ;   in Loop: Header=BB53_13 Depth=1
	s_or_b64 exec, exec, s[40:41]
.LBB53_17:                              ;   in Loop: Header=BB53_13 Depth=1
	s_or_b64 exec, exec, s[38:39]
	ds_write_b32 v14, v10
	s_waitcnt vmcnt(0) lgkmcnt(0)
	s_barrier
	s_and_saveexec_b64 s[12:13], s[0:1]
	s_cbranch_execz .LBB53_19
; %bb.18:                               ;   in Loop: Header=BB53_13 Depth=1
	ds_read2st64_b32 v[3:4], v14 offset1:4
	ds_read2st64_b32 v[5:6], v14 offset0:8 offset1:12
	s_waitcnt lgkmcnt(0)
	v_add_u32_e32 v4, v5, v4
	v_add3_u32 v3, v4, v6, v3
	ds_write_b32 v14, v3
.LBB53_19:                              ;   in Loop: Header=BB53_13 Depth=1
	s_or_b64 exec, exec, s[12:13]
	s_waitcnt lgkmcnt(0)
	s_barrier
	s_and_saveexec_b64 s[12:13], s[2:3]
	s_cbranch_execz .LBB53_21
; %bb.20:                               ;   in Loop: Header=BB53_13 Depth=1
	ds_read2st64_b32 v[3:4], v14 offset1:1
	ds_read2st64_b32 v[5:6], v14 offset0:2 offset1:3
	s_waitcnt lgkmcnt(0)
	v_add_u32_e32 v4, v5, v4
	v_add3_u32 v3, v4, v6, v3
	ds_write_b32 v14, v3
.LBB53_21:                              ;   in Loop: Header=BB53_13 Depth=1
	s_or_b64 exec, exec, s[12:13]
	s_waitcnt lgkmcnt(0)
	s_barrier
	s_and_saveexec_b64 s[12:13], s[6:7]
	s_cbranch_execz .LBB53_23
; %bb.22:                               ;   in Loop: Header=BB53_13 Depth=1
	ds_read2_b32 v[3:4], v14 offset1:16
	ds_read2_b32 v[5:6], v14 offset0:32 offset1:48
	s_waitcnt lgkmcnt(0)
	v_add_u32_e32 v4, v5, v4
	v_add3_u32 v3, v4, v6, v3
	ds_write_b32 v14, v3
.LBB53_23:                              ;   in Loop: Header=BB53_13 Depth=1
	s_or_b64 exec, exec, s[12:13]
	s_waitcnt lgkmcnt(0)
	s_barrier
	s_and_saveexec_b64 s[12:13], s[8:9]
	s_cbranch_execz .LBB53_25
; %bb.24:                               ;   in Loop: Header=BB53_13 Depth=1
	ds_read2_b32 v[3:4], v14 offset1:4
	ds_read2_b32 v[5:6], v14 offset0:8 offset1:12
	s_waitcnt lgkmcnt(0)
	v_add_u32_e32 v4, v5, v4
	v_add3_u32 v3, v4, v6, v3
	ds_write_b32 v14, v3
.LBB53_25:                              ;   in Loop: Header=BB53_13 Depth=1
	s_or_b64 exec, exec, s[12:13]
	s_waitcnt lgkmcnt(0)
	s_barrier
	s_and_saveexec_b64 s[12:13], s[10:11]
	s_cbranch_execz .LBB53_27
; %bb.26:                               ;   in Loop: Header=BB53_13 Depth=1
	ds_read2_b32 v[3:4], v9 offset0:1 offset1:2
	ds_read_b32 v5, v9 offset:12
	ds_read_b32 v6, v14
	s_waitcnt lgkmcnt(2)
	v_add_u32_e32 v3, v4, v3
	s_waitcnt lgkmcnt(1)
	v_add_u32_e32 v3, v3, v5
	;; [unrolled: 2-line block ×3, first 2 shown]
	ds_write_b32 v14, v3
.LBB53_27:                              ;   in Loop: Header=BB53_13 Depth=1
	s_or_b64 exec, exec, s[12:13]
	s_waitcnt lgkmcnt(0)
	s_barrier
	s_and_saveexec_b64 s[12:13], s[10:11]
	s_cbranch_execz .LBB53_12
; %bb.28:                               ;   in Loop: Header=BB53_13 Depth=1
	s_mov_b64 s[36:37], exec
	v_mbcnt_lo_u32_b32 v3, s36, 0
	v_mbcnt_hi_u32_b32 v3, s37, v3
	v_cmp_eq_u32_e32 vcc, 0, v3
	s_and_b64 s[38:39], exec, vcc
	s_mov_b64 exec, s[38:39]
	s_cbranch_execz .LBB53_12
; %bb.29:                               ;   in Loop: Header=BB53_13 Depth=1
	ds_read_b32 v3, v9
	s_lshl_b64 s[38:39], s[34:35], 2
	s_add_u32 s38, s14, s38
	s_addc_u32 s39, s15, s39
	s_bcnt1_i32_b64 s33, s[36:37]
	s_waitcnt lgkmcnt(0)
	v_mul_lo_u32 v3, v3, s31
	v_mul_lo_u32 v3, v3, s33
	global_atomic_add v9, v3, s[38:39]
	s_branch .LBB53_12
.LBB53_30:
	s_lshl_b64 s[0:1], s[24:25], 3
	s_add_u32 s0, s16, s0
	s_addc_u32 s1, s17, s1
	s_lshl_b64 s[2:3], s[26:27], 3
	s_add_u32 s2, s16, s2
	s_addc_u32 s3, s17, s3
	s_load_dwordx2 s[8:9], s[0:1], 0x0
	s_load_dwordx2 s[6:7], s[2:3], 0x0
	s_waitcnt lgkmcnt(0)
	v_mov_b32_e32 v2, s9
	s_sub_u32 s6, s6, s30
	v_add_co_u32_e32 v1, vcc, s8, v7
	s_subb_u32 s7, s7, 0
	v_addc_co_u32_e32 v2, vcc, v2, v8, vcc
	v_cmp_gt_i64_e32 vcc, s[6:7], v[1:2]
	s_and_saveexec_b64 s[8:9], vcc
	s_cbranch_execz .LBB53_39
; %bb.31:
	s_add_u32 s10, s26, -1
	s_addc_u32 s11, s27, -1
	v_mov_b32_e32 v3, s10
	s_add_u32 s0, s26, -2
	v_mov_b32_e32 v4, s11
	s_addc_u32 s1, s27, -1
	v_cmp_lt_i64_e32 vcc, s[24:25], v[3:4]
	s_cmp_lg_u64 s[24:25], s[0:1]
	s_cselect_b64 s[0:1], -1, 0
	s_and_b64 s[0:1], vcc, s[0:1]
	v_cndmask_b32_e64 v3, 0, 1, s[0:1]
	s_mov_b64 s[12:13], 0
	v_cmp_ne_u32_e64 s[0:1], 1, v3
	v_mov_b32_e32 v7, s17
	v_mov_b32_e32 v8, s19
	s_branch .LBB53_33
.LBB53_32:                              ;   in Loop: Header=BB53_33 Depth=1
	s_or_b64 exec, exec, s[2:3]
	v_add_co_u32_e32 v1, vcc, 0x100, v1
	v_addc_co_u32_e32 v2, vcc, 0, v2, vcc
	v_cmp_le_i64_e32 vcc, s[6:7], v[1:2]
	s_or_b64 s[12:13], vcc, s[12:13]
	s_andn2_b64 exec, exec, s[12:13]
	s_cbranch_execz .LBB53_39
.LBB53_33:                              ; =>This Loop Header: Depth=1
                                        ;     Child Loop BB53_35 Depth 2
	v_mov_b32_e32 v3, s24
	v_mov_b32_e32 v5, s10
	s_and_b64 vcc, exec, s[0:1]
	v_mov_b32_e32 v4, s25
	v_mov_b32_e32 v6, s11
	s_cbranch_vccnz .LBB53_37
; %bb.34:                               ;   in Loop: Header=BB53_33 Depth=1
	v_mov_b32_e32 v3, s24
	v_mov_b32_e32 v5, s10
	s_mov_b64 s[34:35], 0
	v_mov_b32_e32 v4, s25
	v_mov_b32_e32 v6, s11
.LBB53_35:                              ;   Parent Loop BB53_33 Depth=1
                                        ; =>  This Inner Loop Header: Depth=2
	v_add_co_u32_e32 v9, vcc, v5, v3
	v_addc_co_u32_e32 v10, vcc, v6, v4, vcc
	v_lshrrev_b32_e32 v11, 31, v10
	v_add_co_u32_e32 v9, vcc, v9, v11
	v_addc_co_u32_e32 v10, vcc, 0, v10, vcc
	v_ashrrev_i64 v[9:10], 1, v[9:10]
	v_mov_b32_e32 v13, s17
	v_lshlrev_b64 v[11:12], 3, v[9:10]
	v_add_co_u32_e32 v11, vcc, s16, v11
	v_addc_co_u32_e32 v12, vcc, v13, v12, vcc
	global_load_dwordx2 v[11:12], v[11:12], off
	s_waitcnt vmcnt(0)
	v_subrev_co_u32_e32 v11, vcc, s30, v11
	v_subbrev_co_u32_e32 v12, vcc, 0, v12, vcc
	v_cmp_lt_i64_e32 vcc, v[1:2], v[11:12]
	v_cndmask_b32_e32 v5, v5, v9, vcc
	v_cndmask_b32_e32 v6, v6, v10, vcc
	;; [unrolled: 1-line block ×3, first 2 shown]
	v_add_co_u32_e64 v9, s[2:3], -1, v5
	v_cndmask_b32_e32 v4, v10, v4, vcc
	v_addc_co_u32_e64 v10, s[2:3], -1, v6, s[2:3]
	v_cmp_ge_i64_e32 vcc, v[3:4], v[5:6]
	v_cmp_eq_u64_e64 s[2:3], v[3:4], v[9:10]
	s_or_b64 s[2:3], vcc, s[2:3]
	s_and_b64 s[2:3], exec, s[2:3]
	s_or_b64 s[34:35], s[2:3], s[34:35]
	s_andn2_b64 exec, exec, s[34:35]
	s_cbranch_execnz .LBB53_35
; %bb.36:                               ;   in Loop: Header=BB53_33 Depth=1
	s_or_b64 exec, exec, s[34:35]
.LBB53_37:                              ;   in Loop: Header=BB53_33 Depth=1
	v_lshlrev_b64 v[9:10], 3, v[5:6]
	v_lshlrev_b64 v[11:12], 3, v[1:2]
	v_add_co_u32_e32 v9, vcc, s16, v9
	v_addc_co_u32_e32 v10, vcc, v7, v10, vcc
	global_load_dwordx2 v[9:10], v[9:10], off
	v_add_co_u32_e32 v11, vcc, s18, v11
	v_addc_co_u32_e32 v12, vcc, v8, v12, vcc
	global_load_dwordx2 v[11:12], v[11:12], off
	s_waitcnt vmcnt(1)
	v_subrev_co_u32_e32 v9, vcc, s30, v9
	v_subbrev_co_u32_e32 v10, vcc, 0, v10, vcc
	v_cmp_lt_i64_e32 vcc, v[1:2], v[9:10]
	v_cndmask_b32_e32 v6, v6, v4, vcc
	v_cndmask_b32_e32 v5, v5, v3, vcc
	s_waitcnt vmcnt(0)
	v_subrev_co_u32_e32 v3, vcc, s30, v11
	v_subbrev_co_u32_e32 v4, vcc, 0, v12, vcc
	v_cmp_ne_u64_e32 vcc, v[3:4], v[5:6]
	s_and_saveexec_b64 s[2:3], vcc
	s_cbranch_execz .LBB53_32
; %bb.38:                               ;   in Loop: Header=BB53_33 Depth=1
	v_mov_b32_e32 v10, s21
	v_add_co_u32_e32 v9, vcc, s20, v1
	v_addc_co_u32_e32 v10, vcc, v10, v2, vcc
	global_load_sbyte v9, v[9:10], off
	v_mov_b32_e32 v10, s23
	v_add_co_u32_e32 v5, vcc, s22, v5
	v_addc_co_u32_e32 v6, vcc, v10, v6, vcc
	global_load_sbyte v5, v[5:6], off
	v_lshlrev_b64 v[3:4], 2, v[3:4]
	v_add_co_u32_e32 v3, vcc, s14, v3
	s_waitcnt vmcnt(1)
	v_mul_lo_u32 v6, s31, v9
	v_mov_b32_e32 v9, s15
	v_addc_co_u32_e32 v4, vcc, v9, v4, vcc
	s_waitcnt vmcnt(0)
	v_mul_lo_u32 v5, v6, v5
	global_atomic_add v[3:4], v5, off
	s_branch .LBB53_32
.LBB53_39:
	s_or_b64 exec, exec, s[8:9]
	s_mov_b64 s[0:1], 0
.LBB53_40:
	s_and_b64 vcc, exec, s[0:1]
	s_cbranch_vccz .LBB53_141
; %bb.41:
	s_load_dword s0, s[4:5], 0x6c
	v_mov_b32_e32 v1, s28
	s_mov_b32 s13, 0
	v_mov_b32_e32 v2, s29
	s_mov_b64 s[36:37], 0
	s_waitcnt lgkmcnt(0)
	s_and_b32 s12, s0, 0xffff
	v_cmp_lt_u64_e32 vcc, s[12:13], v[1:2]
	s_cbranch_vccnz .LBB53_43
; %bb.42:
	v_cvt_f32_u32_e32 v1, s28
	s_sub_i32 s0, 0, s28
	v_rcp_iflag_f32_e32 v1, v1
	v_mul_f32_e32 v1, 0x4f7ffffe, v1
	v_cvt_u32_f32_e32 v1, v1
	v_readfirstlane_b32 s1, v1
	s_mul_i32 s0, s0, s1
	s_mul_hi_u32 s0, s1, s0
	s_add_i32 s1, s1, s0
	s_mul_hi_u32 s0, s12, s1
	s_mul_i32 s2, s0, s28
	s_sub_i32 s2, s12, s2
	s_add_i32 s1, s0, 1
	s_sub_i32 s3, s2, s28
	s_cmp_ge_u32 s2, s28
	s_cselect_b32 s0, s1, s0
	s_cselect_b32 s2, s3, s2
	s_add_i32 s1, s0, 1
	s_cmp_ge_u32 s2, s28
	s_cselect_b32 s36, s1, s0
.LBB53_43:
	s_lshl_b64 s[0:1], s[24:25], 3
	s_add_u32 s34, s16, s0
	s_addc_u32 s35, s17, s1
	s_load_dwordx2 s[6:7], s[34:35], 0x0
	s_load_dwordx4 s[8:11], s[4:5], 0x8
	v_subrev_co_u32_e32 v1, vcc, s30, v0
	v_subb_co_u32_e64 v3, s[0:1], 0, 0, vcc
	s_waitcnt lgkmcnt(0)
	v_mov_b32_e32 v4, s7
	v_add_co_u32_e32 v2, vcc, s6, v1
	v_addc_co_u32_e32 v3, vcc, v4, v3, vcc
	v_add_co_u32_e32 v4, vcc, 0x300, v2
	v_addc_co_u32_e32 v5, vcc, 0, v3, vcc
	v_cmp_le_i64_e64 s[0:1], s[8:9], v[4:5]
	v_mov_b32_e32 v1, 0
	s_and_saveexec_b64 s[2:3], s[0:1]
	s_xor_b64 s[2:3], exec, s[2:3]
	s_cbranch_execnz .LBB53_46
; %bb.44:
	s_andn2_saveexec_b64 s[2:3], s[2:3]
	s_cbranch_execnz .LBB53_50
.LBB53_45:
	s_or_b64 exec, exec, s[2:3]
	v_cmp_gt_i64_e32 vcc, s[10:11], v[0:1]
	s_and_saveexec_b64 s[2:3], vcc
	s_cbranch_execnz .LBB53_51
	s_branch .LBB53_53
.LBB53_46:
	s_lshl_b64 s[4:5], s[26:27], 3
	s_add_u32 s4, s16, s4
	s_addc_u32 s5, s17, s5
	s_load_dwordx2 s[4:5], s[4:5], 0x0
	s_waitcnt lgkmcnt(0)
	s_sub_u32 s4, s4, s6
	s_subb_u32 s5, s5, s7
	v_cmp_gt_i64_e32 vcc, s[4:5], v[0:1]
	s_and_saveexec_b64 s[8:9], vcc
	s_cbranch_execz .LBB53_49
; %bb.47:
	s_sub_u32 s13, s6, s30
	s_subb_u32 s33, s7, 0
	s_add_u32 s13, s20, s13
	s_addc_u32 s33, s21, s33
	v_mov_b32_e32 v7, v1
	s_mov_b64 s[38:39], 0
	v_mov_b32_e32 v8, s33
	v_mov_b32_e32 v9, v14
	;; [unrolled: 1-line block ×3, first 2 shown]
.LBB53_48:                              ; =>This Inner Loop Header: Depth=1
	v_add_co_u32_e32 v10, vcc, s13, v6
	v_addc_co_u32_e32 v11, vcc, v8, v7, vcc
	global_load_sbyte v10, v[10:11], off
	v_add_co_u32_e32 v6, vcc, 0x100, v6
	v_addc_co_u32_e32 v7, vcc, 0, v7, vcc
	v_cmp_le_i64_e32 vcc, s[4:5], v[6:7]
	s_or_b64 s[38:39], vcc, s[38:39]
	s_waitcnt vmcnt(0)
	v_mul_lo_u32 v10, s31, v10
	ds_write_b32 v9, v10
	v_add_u32_e32 v9, 0x400, v9
	s_andn2_b64 exec, exec, s[38:39]
	s_cbranch_execnz .LBB53_48
.LBB53_49:
	s_or_b64 exec, exec, s[8:9]
	s_andn2_saveexec_b64 s[2:3], s[2:3]
	s_cbranch_execz .LBB53_45
.LBB53_50:
	v_mov_b32_e32 v7, s21
	v_add_co_u32_e32 v6, vcc, s20, v2
	v_addc_co_u32_e32 v7, vcc, v7, v3, vcc
	global_load_sbyte v8, v[6:7], off
	global_load_sbyte v9, v[6:7], off offset:256
	global_load_sbyte v10, v[6:7], off offset:512
	;; [unrolled: 1-line block ×3, first 2 shown]
	s_waitcnt vmcnt(3)
	v_mul_lo_u32 v6, s31, v8
	s_waitcnt vmcnt(2)
	v_mul_lo_u32 v7, s31, v9
	;; [unrolled: 2-line block ×4, first 2 shown]
	ds_write2st64_b32 v14, v6, v7 offset1:4
	ds_write2st64_b32 v14, v8, v9 offset0:8 offset1:12
	s_or_b64 exec, exec, s[2:3]
	v_cmp_gt_i64_e32 vcc, s[10:11], v[0:1]
	s_and_saveexec_b64 s[2:3], vcc
	s_cbranch_execz .LBB53_53
.LBB53_51:
	v_mov_b32_e32 v6, 0x1000
	v_lshl_add_u32 v8, v0, 2, v6
	v_mov_b32_e32 v7, v1
	s_mov_b64 s[4:5], 0
	v_mov_b32_e32 v9, 0
	v_mov_b32_e32 v6, v0
.LBB53_52:                              ; =>This Inner Loop Header: Depth=1
	v_add_co_u32_e32 v6, vcc, 0x100, v6
	v_addc_co_u32_e32 v7, vcc, 0, v7, vcc
	v_cmp_le_i64_e32 vcc, s[10:11], v[6:7]
	ds_write_b32 v8, v9
	s_or_b64 s[4:5], vcc, s[4:5]
	v_add_u32_e32 v8, 0x400, v8
	s_andn2_b64 exec, exec, s[4:5]
	s_cbranch_execnz .LBB53_52
.LBB53_53:
	s_or_b64 exec, exec, s[2:3]
	v_mov_b32_e32 v6, s10
	v_mov_b32_e32 v7, s11
	s_sub_u32 s4, s26, s10
	v_cmp_ge_i64_e32 vcc, s[26:27], v[6:7]
	s_subb_u32 s5, s27, s11
	s_and_b64 s[2:3], vcc, exec
	s_cselect_b32 s9, s5, 0
	s_cselect_b32 s8, s4, 0
	s_waitcnt vmcnt(0) lgkmcnt(0)
	s_barrier
	s_and_saveexec_b64 s[2:3], s[0:1]
	s_xor_b64 s[20:21], exec, s[2:3]
	s_cbranch_execz .LBB53_70
; %bb.54:
	s_lshl_b64 s[0:1], s[26:27], 3
	s_add_u32 s0, s16, s0
	s_addc_u32 s1, s17, s1
	s_load_dwordx2 s[0:1], s[0:1], 0x0
	s_waitcnt lgkmcnt(0)
	s_sub_u32 s38, s0, s6
	s_subb_u32 s39, s1, s7
	v_cmp_gt_i64_e32 vcc, s[38:39], v[0:1]
	s_and_saveexec_b64 s[40:41], vcc
	s_cbranch_execz .LBB53_69
; %bb.55:
	s_add_u32 s42, s26, -1
	s_addc_u32 s43, s27, -1
	s_add_u32 s2, s26, -2
	s_addc_u32 s3, s27, -1
	s_cmp_lg_u64 s[24:25], s[2:3]
	s_cselect_b64 s[2:3], -1, 0
	s_sub_u32 s44, s0, s30
	v_cndmask_b32_e64 v4, 0, 1, s[2:3]
	s_subb_u32 s45, s1, 0
	s_mov_b64 s[46:47], 0
	v_cmp_ne_u32_e64 s[0:1], 1, v4
	v_mov_b32_e32 v12, s17
	v_mov_b32_e32 v13, s19
	;; [unrolled: 1-line block ×3, first 2 shown]
	s_mov_b64 s[48:49], 0
	s_branch .LBB53_58
.LBB53_56:                              ;   in Loop: Header=BB53_58 Depth=1
	s_or_b64 exec, exec, s[2:3]
.LBB53_57:                              ;   in Loop: Header=BB53_58 Depth=1
	s_or_b64 exec, exec, s[4:5]
	v_mov_b32_e32 v6, s23
	v_add_co_u32_e32 v4, vcc, s22, v4
	v_addc_co_u32_e32 v5, vcc, v6, v5, vcc
	global_load_sbyte v4, v[4:5], off
	s_add_u32 s48, s48, 0x100
	s_addc_u32 s49, s49, 0
	v_mov_b32_e32 v5, s49
	s_waitcnt vmcnt(0) lgkmcnt(0)
	v_mul_lo_u32 v6, v9, v4
	v_add_co_u32_e32 v4, vcc, s48, v0
	v_addc_co_u32_e32 v5, vcc, 0, v5, vcc
	v_cmp_le_i64_e32 vcc, s[38:39], v[4:5]
	v_lshlrev_b32_e32 v4, 2, v8
	s_or_b64 s[46:47], vcc, s[46:47]
	ds_write_b32 v4, v6
	s_andn2_b64 exec, exec, s[46:47]
	s_cbranch_execz .LBB53_69
.LBB53_58:                              ; =>This Loop Header: Depth=1
                                        ;     Child Loop BB53_60 Depth 2
	v_mov_b32_e32 v4, s49
	v_add_co_u32_e32 v6, vcc, s48, v2
	v_addc_co_u32_e32 v7, vcc, v4, v3, vcc
	v_mov_b32_e32 v8, s24
	v_mov_b32_e32 v10, s42
	s_and_b64 vcc, exec, s[0:1]
	v_mov_b32_e32 v9, s25
	v_mov_b32_e32 v11, s43
	s_cbranch_vccnz .LBB53_62
; %bb.59:                               ;   in Loop: Header=BB53_58 Depth=1
	v_mov_b32_e32 v8, s24
	v_mov_b32_e32 v10, s42
	s_mov_b64 s[4:5], 0
	v_mov_b32_e32 v9, s25
	v_mov_b32_e32 v11, s43
.LBB53_60:                              ;   Parent Loop BB53_58 Depth=1
                                        ; =>  This Inner Loop Header: Depth=2
	v_add_co_u32_e32 v4, vcc, v10, v8
	v_addc_co_u32_e32 v5, vcc, v11, v9, vcc
	v_lshrrev_b32_e32 v16, 31, v5
	v_add_co_u32_e32 v4, vcc, v4, v16
	v_addc_co_u32_e32 v5, vcc, 0, v5, vcc
	v_ashrrev_i64 v[4:5], 1, v[4:5]
	v_mov_b32_e32 v18, s17
	v_lshlrev_b64 v[16:17], 3, v[4:5]
	v_add_co_u32_e32 v16, vcc, s16, v16
	v_addc_co_u32_e32 v17, vcc, v18, v17, vcc
	global_load_dwordx2 v[16:17], v[16:17], off
	s_waitcnt vmcnt(0)
	v_subrev_co_u32_e32 v16, vcc, s30, v16
	v_subbrev_co_u32_e32 v17, vcc, 0, v17, vcc
	v_cmp_lt_i64_e32 vcc, v[6:7], v[16:17]
	v_cndmask_b32_e32 v10, v10, v4, vcc
	v_cndmask_b32_e32 v11, v11, v5, vcc
	;; [unrolled: 1-line block ×3, first 2 shown]
	v_add_co_u32_e64 v4, s[2:3], -1, v10
	v_cndmask_b32_e32 v9, v5, v9, vcc
	v_addc_co_u32_e64 v5, s[2:3], -1, v11, s[2:3]
	v_cmp_ge_i64_e32 vcc, v[8:9], v[10:11]
	v_cmp_eq_u64_e64 s[2:3], v[8:9], v[4:5]
	s_or_b64 s[2:3], vcc, s[2:3]
	s_and_b64 s[2:3], exec, s[2:3]
	s_or_b64 s[4:5], s[2:3], s[4:5]
	s_andn2_b64 exec, exec, s[4:5]
	s_cbranch_execnz .LBB53_60
; %bb.61:                               ;   in Loop: Header=BB53_58 Depth=1
	s_or_b64 exec, exec, s[4:5]
.LBB53_62:                              ;   in Loop: Header=BB53_58 Depth=1
	v_lshlrev_b64 v[4:5], 3, v[10:11]
	v_lshlrev_b64 v[16:17], 3, v[6:7]
	v_add_co_u32_e32 v4, vcc, s16, v4
	v_addc_co_u32_e32 v5, vcc, v12, v5, vcc
	global_load_dwordx2 v[4:5], v[4:5], off
	v_add_co_u32_e32 v16, vcc, s18, v16
	v_addc_co_u32_e32 v17, vcc, v13, v17, vcc
	global_load_dwordx2 v[16:17], v[16:17], off
	v_cmp_le_i64_e32 vcc, s[44:45], v[6:7]
	s_waitcnt vmcnt(1)
	v_subrev_co_u32_e64 v18, s[2:3], s30, v4
	v_subbrev_co_u32_e64 v19, s[2:3], 0, v5, s[2:3]
	s_waitcnt vmcnt(0)
	v_subrev_co_u32_e64 v4, s[2:3], s30, v16
	v_subbrev_co_u32_e64 v5, s[2:3], 0, v17, s[2:3]
	v_cmp_lt_i64_e64 s[2:3], v[6:7], v[18:19]
	v_cndmask_b32_e64 v7, v11, v9, s[2:3]
	v_cndmask_b32_e64 v6, v10, v8, s[2:3]
	v_cmp_eq_u64_e64 s[2:3], v[4:5], v[6:7]
	v_add_co_u32_e64 v8, s[4:5], s48, v0
	s_or_b64 s[2:3], s[2:3], vcc
	v_lshlrev_b32_e32 v10, 2, v8
                                        ; implicit-def: $vgpr9
	s_and_saveexec_b64 s[4:5], s[2:3]
	s_xor_b64 s[2:3], exec, s[4:5]
; %bb.63:                               ;   in Loop: Header=BB53_58 Depth=1
	ds_read_b32 v9, v10
                                        ; implicit-def: $vgpr10
                                        ; implicit-def: $vgpr6_vgpr7
; %bb.64:                               ;   in Loop: Header=BB53_58 Depth=1
	s_andn2_saveexec_b64 s[4:5], s[2:3]
	s_cbranch_execz .LBB53_57
; %bb.65:                               ;   in Loop: Header=BB53_58 Depth=1
	v_cmp_gt_i64_e32 vcc, s[8:9], v[4:5]
	v_cmp_le_i64_e64 s[2:3], s[26:27], v[4:5]
                                        ; implicit-def: $vgpr9
	s_or_b64 s[2:3], vcc, s[2:3]
	s_and_saveexec_b64 s[50:51], s[2:3]
	s_xor_b64 s[2:3], exec, s[50:51]
	s_cbranch_execz .LBB53_67
; %bb.66:                               ;   in Loop: Header=BB53_58 Depth=1
	s_waitcnt lgkmcnt(0)
	v_mov_b32_e32 v9, s23
	v_add_co_u32_e32 v6, vcc, s22, v6
	v_addc_co_u32_e32 v7, vcc, v9, v7, vcc
	global_load_sbyte v11, v[6:7], off
	ds_read_b32 v9, v10
	v_lshlrev_b64 v[6:7], 2, v[4:5]
	v_mov_b32_e32 v10, s15
	v_add_co_u32_e32 v6, vcc, s14, v6
	v_addc_co_u32_e32 v7, vcc, v10, v7, vcc
                                        ; implicit-def: $vgpr10
	s_waitcnt vmcnt(0) lgkmcnt(0)
	v_mul_lo_u32 v11, v9, v11
	global_atomic_add v[6:7], v11, off
                                        ; implicit-def: $vgpr6_vgpr7
.LBB53_67:                              ;   in Loop: Header=BB53_58 Depth=1
	s_andn2_saveexec_b64 s[2:3], s[2:3]
	s_cbranch_execz .LBB53_56
; %bb.68:                               ;   in Loop: Header=BB53_58 Depth=1
	s_waitcnt lgkmcnt(0)
	v_mov_b32_e32 v9, s23
	v_add_co_u32_e32 v6, vcc, s22, v6
	v_addc_co_u32_e32 v7, vcc, v9, v7, vcc
	global_load_sbyte v6, v[6:7], off
	ds_read_b32 v9, v10
	v_subrev_u32_e32 v7, s8, v4
	v_lshl_add_u32 v7, v7, 2, v15
	s_waitcnt vmcnt(0) lgkmcnt(0)
	v_mul_lo_u32 v6, v9, v6
	ds_add_u32 v7, v6
	s_branch .LBB53_56
.LBB53_69:
	s_or_b64 exec, exec, s[40:41]
                                        ; implicit-def: $vgpr4_vgpr5
                                        ; implicit-def: $vgpr2
.LBB53_70:
	s_andn2_saveexec_b64 s[4:5], s[20:21]
	s_cbranch_execz .LBB53_112
; %bb.71:
	s_add_u32 s20, s26, -1
	s_addc_u32 s21, s27, -1
	s_add_u32 s0, s26, -2
	s_addc_u32 s1, s27, -1
	s_cmp_lg_u64 s[24:25], s[0:1]
	v_mov_b32_e32 v8, s24
	v_mov_b32_e32 v10, s20
	s_cselect_b64 s[2:3], -1, 0
	s_cmp_eq_u64 s[24:25], s[0:1]
	v_mov_b32_e32 v9, s25
	v_mov_b32_e32 v11, s21
	s_cbranch_scc1 .LBB53_75
; %bb.72:
	v_mov_b32_e32 v8, s24
	v_mov_b32_e32 v10, s20
	s_mov_b64 s[38:39], 0
	v_mov_b32_e32 v9, s25
	v_mov_b32_e32 v11, s21
	;; [unrolled: 1-line block ×3, first 2 shown]
.LBB53_73:                              ; =>This Inner Loop Header: Depth=1
	v_add_co_u32_e32 v7, vcc, v10, v8
	v_addc_co_u32_e32 v13, vcc, v11, v9, vcc
	v_lshrrev_b32_e32 v12, 31, v13
	v_add_co_u32_e32 v12, vcc, v7, v12
	v_addc_co_u32_e32 v13, vcc, 0, v13, vcc
	v_ashrrev_i64 v[12:13], 1, v[12:13]
	v_lshlrev_b64 v[15:16], 3, v[12:13]
	v_add_co_u32_e32 v15, vcc, s16, v15
	v_addc_co_u32_e32 v16, vcc, v6, v16, vcc
	global_load_dwordx2 v[15:16], v[15:16], off
	s_waitcnt vmcnt(0)
	v_subrev_co_u32_e32 v15, vcc, s30, v15
	v_subbrev_co_u32_e32 v16, vcc, 0, v16, vcc
	v_cmp_lt_i64_e32 vcc, v[2:3], v[15:16]
	v_cndmask_b32_e32 v10, v10, v12, vcc
	v_cndmask_b32_e32 v11, v11, v13, vcc
	;; [unrolled: 1-line block ×3, first 2 shown]
	v_add_co_u32_e64 v12, s[0:1], -1, v10
	v_cndmask_b32_e32 v9, v13, v9, vcc
	v_addc_co_u32_e64 v13, s[0:1], -1, v11, s[0:1]
	v_cmp_ge_i64_e32 vcc, v[8:9], v[10:11]
	v_cmp_eq_u64_e64 s[0:1], v[8:9], v[12:13]
	s_or_b64 s[0:1], vcc, s[0:1]
	s_and_b64 s[0:1], exec, s[0:1]
	s_or_b64 s[38:39], s[0:1], s[38:39]
	s_andn2_b64 exec, exec, s[38:39]
	s_cbranch_execnz .LBB53_73
; %bb.74:
	s_or_b64 exec, exec, s[38:39]
.LBB53_75:
	v_lshlrev_b64 v[6:7], 3, v[10:11]
	v_mov_b32_e32 v12, s17
	v_add_co_u32_e32 v6, vcc, s16, v6
	v_addc_co_u32_e32 v7, vcc, v12, v7, vcc
	global_load_dwordx2 v[12:13], v[6:7], off
	v_lshlrev_b64 v[6:7], 3, v[2:3]
	v_mov_b32_e32 v15, s19
	v_add_co_u32_e32 v6, vcc, s18, v6
	v_addc_co_u32_e32 v7, vcc, v15, v7, vcc
	global_load_dwordx2 v[15:16], v[6:7], off
	s_lshl_b64 s[0:1], s[26:27], 3
	s_add_u32 s18, s16, s0
	s_addc_u32 s19, s17, s1
	s_waitcnt vmcnt(1)
	v_subrev_co_u32_e32 v12, vcc, s30, v12
	v_subbrev_co_u32_e32 v13, vcc, 0, v13, vcc
	v_cmp_lt_i64_e32 vcc, v[2:3], v[12:13]
	v_cndmask_b32_e32 v11, v11, v9, vcc
	v_cndmask_b32_e32 v10, v10, v8, vcc
	s_waitcnt vmcnt(0)
	v_subrev_co_u32_e32 v8, vcc, s30, v15
	v_subbrev_co_u32_e32 v9, vcc, 0, v16, vcc
	v_cmp_ne_u64_e32 vcc, v[8:9], v[10:11]
	s_and_saveexec_b64 s[38:39], vcc
	s_cbranch_execz .LBB53_81
; %bb.76:
	s_load_dwordx2 s[0:1], s[18:19], 0x0
	s_waitcnt lgkmcnt(0)
	s_sub_u32 s0, s0, s30
	s_subb_u32 s1, s1, 0
	v_cmp_gt_i64_e32 vcc, s[0:1], v[2:3]
	s_and_b64 exec, exec, vcc
	s_cbranch_execz .LBB53_81
; %bb.77:
	v_cmp_gt_i64_e32 vcc, s[8:9], v[8:9]
	v_cmp_le_i64_e64 s[0:1], s[26:27], v[8:9]
	s_or_b64 s[0:1], vcc, s[0:1]
	s_and_saveexec_b64 s[40:41], s[0:1]
	s_xor_b64 s[0:1], exec, s[40:41]
	s_cbranch_execz .LBB53_79
; %bb.78:
	v_mov_b32_e32 v12, s23
	v_add_co_u32_e32 v10, vcc, s22, v10
	v_addc_co_u32_e32 v11, vcc, v12, v11, vcc
	global_load_sbyte v12, v[10:11], off
	ds_read_b32 v13, v14
	v_lshlrev_b64 v[10:11], 2, v[8:9]
	v_mov_b32_e32 v15, s15
	v_add_co_u32_e32 v10, vcc, s14, v10
	v_addc_co_u32_e32 v11, vcc, v15, v11, vcc
	s_waitcnt vmcnt(0) lgkmcnt(0)
	v_mul_lo_u32 v12, v13, v12
	global_atomic_add v[10:11], v12, off
                                        ; implicit-def: $vgpr10_vgpr11
.LBB53_79:
	s_andn2_saveexec_b64 s[0:1], s[0:1]
	s_cbranch_execz .LBB53_81
; %bb.80:
	v_mov_b32_e32 v12, s23
	v_add_co_u32_e32 v10, vcc, s22, v10
	v_addc_co_u32_e32 v11, vcc, v12, v11, vcc
	global_load_sbyte v10, v[10:11], off
	ds_read_b32 v11, v14
	v_mov_b32_e32 v12, 0x1000
	s_waitcnt vmcnt(0) lgkmcnt(0)
	v_mul_lo_u32 v10, v11, v10
	v_subrev_u32_e32 v11, s8, v8
	v_lshl_add_u32 v11, v11, 2, v12
	ds_add_u32 v11, v10
.LBB53_81:
	s_or_b64 exec, exec, s[38:39]
	v_mov_b32_e32 v10, s23
	v_add_co_u32_e32 v8, vcc, s22, v8
	v_addc_co_u32_e32 v9, vcc, v10, v9, vcc
	global_load_sbyte v9, v[8:9], off
	ds_read_b32 v12, v14
	v_add_co_u32_e32 v8, vcc, 0x100, v2
	v_cndmask_b32_e64 v13, 0, 1, s[2:3]
	v_mov_b32_e32 v10, s24
	v_cmp_ne_u32_e64 s[0:1], 1, v13
	v_mov_b32_e32 v11, s25
	s_waitcnt vmcnt(0) lgkmcnt(0)
	v_mul_lo_u32 v12, v12, v9
	v_addc_co_u32_e32 v9, vcc, 0, v3, vcc
	s_andn2_b64 vcc, exec, s[2:3]
	ds_write_b32 v14, v12
	v_mov_b32_e32 v12, s20
	v_mov_b32_e32 v13, s21
	s_cbranch_vccnz .LBB53_85
; %bb.82:
	v_mov_b32_e32 v10, s24
	v_mov_b32_e32 v12, s20
	s_mov_b64 s[38:39], 0
	v_mov_b32_e32 v11, s25
	v_mov_b32_e32 v13, s21
	;; [unrolled: 1-line block ×3, first 2 shown]
.LBB53_83:                              ; =>This Inner Loop Header: Depth=1
	v_add_co_u32_e32 v16, vcc, v12, v10
	v_addc_co_u32_e32 v17, vcc, v13, v11, vcc
	v_lshrrev_b32_e32 v18, 31, v17
	v_add_co_u32_e32 v16, vcc, v16, v18
	v_addc_co_u32_e32 v17, vcc, 0, v17, vcc
	v_ashrrev_i64 v[16:17], 1, v[16:17]
	v_lshlrev_b64 v[18:19], 3, v[16:17]
	v_add_co_u32_e32 v18, vcc, s16, v18
	v_addc_co_u32_e32 v19, vcc, v15, v19, vcc
	global_load_dwordx2 v[18:19], v[18:19], off
	s_waitcnt vmcnt(0)
	v_subrev_co_u32_e32 v18, vcc, s30, v18
	v_subbrev_co_u32_e32 v19, vcc, 0, v19, vcc
	v_cmp_lt_i64_e32 vcc, v[8:9], v[18:19]
	v_cndmask_b32_e32 v12, v12, v16, vcc
	v_cndmask_b32_e32 v13, v13, v17, vcc
	;; [unrolled: 1-line block ×3, first 2 shown]
	v_add_co_u32_e64 v16, s[2:3], -1, v12
	v_cndmask_b32_e32 v11, v17, v11, vcc
	v_addc_co_u32_e64 v17, s[2:3], -1, v13, s[2:3]
	v_cmp_ge_i64_e32 vcc, v[10:11], v[12:13]
	v_cmp_eq_u64_e64 s[2:3], v[10:11], v[16:17]
	s_or_b64 s[2:3], vcc, s[2:3]
	s_and_b64 s[2:3], exec, s[2:3]
	s_or_b64 s[38:39], s[2:3], s[38:39]
	s_andn2_b64 exec, exec, s[38:39]
	s_cbranch_execnz .LBB53_83
; %bb.84:
	s_or_b64 exec, exec, s[38:39]
.LBB53_85:
	v_lshlrev_b64 v[15:16], 3, v[12:13]
	v_mov_b32_e32 v17, s17
	v_add_co_u32_e32 v15, vcc, s16, v15
	v_addc_co_u32_e32 v16, vcc, v17, v16, vcc
	global_load_dwordx2 v[17:18], v[15:16], off
	global_load_dwordx2 v[19:20], v[6:7], off offset:2048
	s_waitcnt vmcnt(1)
	v_subrev_co_u32_e32 v15, vcc, s30, v17
	v_subbrev_co_u32_e32 v16, vcc, 0, v18, vcc
	v_cmp_lt_i64_e32 vcc, v[8:9], v[15:16]
	v_cndmask_b32_e32 v13, v13, v11, vcc
	v_cndmask_b32_e32 v12, v12, v10, vcc
	s_waitcnt vmcnt(0)
	v_subrev_co_u32_e32 v10, vcc, s30, v19
	v_subbrev_co_u32_e32 v11, vcc, 0, v20, vcc
	v_cmp_ne_u64_e32 vcc, v[10:11], v[12:13]
	s_and_saveexec_b64 s[38:39], vcc
	s_cbranch_execz .LBB53_91
; %bb.86:
	s_load_dwordx2 s[2:3], s[18:19], 0x0
	s_waitcnt lgkmcnt(0)
	s_sub_u32 s2, s2, s30
	s_subb_u32 s3, s3, 0
	v_cmp_gt_i64_e32 vcc, s[2:3], v[8:9]
	s_and_b64 exec, exec, vcc
	s_cbranch_execz .LBB53_91
; %bb.87:
	v_cmp_gt_i64_e32 vcc, s[8:9], v[10:11]
	v_cmp_le_i64_e64 s[2:3], s[26:27], v[10:11]
	s_or_b64 s[2:3], vcc, s[2:3]
	s_and_saveexec_b64 s[40:41], s[2:3]
	s_xor_b64 s[2:3], exec, s[40:41]
	s_cbranch_execz .LBB53_89
; %bb.88:
	v_mov_b32_e32 v9, s23
	v_add_co_u32_e32 v8, vcc, s22, v12
	v_addc_co_u32_e32 v9, vcc, v9, v13, vcc
	global_load_sbyte v12, v[8:9], off
	ds_read_b32 v13, v14 offset:1024
	v_lshlrev_b64 v[8:9], 2, v[10:11]
	v_mov_b32_e32 v15, s15
	v_add_co_u32_e32 v8, vcc, s14, v8
	v_addc_co_u32_e32 v9, vcc, v15, v9, vcc
	s_waitcnt vmcnt(0) lgkmcnt(0)
	v_mul_lo_u32 v12, v13, v12
	global_atomic_add v[8:9], v12, off
                                        ; implicit-def: $vgpr12_vgpr13
.LBB53_89:
	s_andn2_saveexec_b64 s[2:3], s[2:3]
	s_cbranch_execz .LBB53_91
; %bb.90:
	v_mov_b32_e32 v9, s23
	v_add_co_u32_e32 v8, vcc, s22, v12
	v_addc_co_u32_e32 v9, vcc, v9, v13, vcc
	global_load_sbyte v8, v[8:9], off
	ds_read_b32 v9, v14 offset:1024
	v_mov_b32_e32 v12, 0x1000
	s_waitcnt vmcnt(0) lgkmcnt(0)
	v_mul_lo_u32 v8, v9, v8
	v_subrev_u32_e32 v9, s8, v10
	v_lshl_add_u32 v9, v9, 2, v12
	ds_add_u32 v9, v8
.LBB53_91:
	s_or_b64 exec, exec, s[38:39]
	v_mov_b32_e32 v9, s23
	v_add_co_u32_e32 v8, vcc, s22, v10
	v_addc_co_u32_e32 v9, vcc, v9, v11, vcc
	global_load_sbyte v10, v[8:9], off
	ds_read_b32 v11, v14 offset:1024
	v_add_co_u32_e32 v2, vcc, 0x200, v2
	v_mov_b32_e32 v8, s24
	v_addc_co_u32_e32 v3, vcc, 0, v3, vcc
	v_mov_b32_e32 v9, s25
	s_and_b64 vcc, exec, s[0:1]
	s_waitcnt vmcnt(0) lgkmcnt(0)
	v_mul_lo_u32 v10, v11, v10
	ds_write_b32 v14, v10 offset:1024
	v_mov_b32_e32 v10, s20
	v_mov_b32_e32 v11, s21
	s_cbranch_vccnz .LBB53_95
; %bb.92:
	v_mov_b32_e32 v8, s24
	v_mov_b32_e32 v10, s20
	s_mov_b64 s[38:39], 0
	v_mov_b32_e32 v9, s25
	v_mov_b32_e32 v11, s21
	;; [unrolled: 1-line block ×3, first 2 shown]
.LBB53_93:                              ; =>This Inner Loop Header: Depth=1
	v_add_co_u32_e32 v13, vcc, v10, v8
	v_addc_co_u32_e32 v16, vcc, v11, v9, vcc
	v_lshrrev_b32_e32 v15, 31, v16
	v_add_co_u32_e32 v15, vcc, v13, v15
	v_addc_co_u32_e32 v16, vcc, 0, v16, vcc
	v_ashrrev_i64 v[15:16], 1, v[15:16]
	v_lshlrev_b64 v[17:18], 3, v[15:16]
	v_add_co_u32_e32 v17, vcc, s16, v17
	v_addc_co_u32_e32 v18, vcc, v12, v18, vcc
	global_load_dwordx2 v[17:18], v[17:18], off
	s_waitcnt vmcnt(0)
	v_subrev_co_u32_e32 v17, vcc, s30, v17
	v_subbrev_co_u32_e32 v18, vcc, 0, v18, vcc
	v_cmp_lt_i64_e32 vcc, v[2:3], v[17:18]
	v_cndmask_b32_e32 v10, v10, v15, vcc
	v_cndmask_b32_e32 v11, v11, v16, vcc
	;; [unrolled: 1-line block ×3, first 2 shown]
	v_add_co_u32_e64 v15, s[2:3], -1, v10
	v_cndmask_b32_e32 v9, v16, v9, vcc
	v_addc_co_u32_e64 v16, s[2:3], -1, v11, s[2:3]
	v_cmp_ge_i64_e32 vcc, v[8:9], v[10:11]
	v_cmp_eq_u64_e64 s[2:3], v[8:9], v[15:16]
	s_or_b64 s[2:3], vcc, s[2:3]
	s_and_b64 s[2:3], exec, s[2:3]
	s_or_b64 s[38:39], s[2:3], s[38:39]
	s_andn2_b64 exec, exec, s[38:39]
	s_cbranch_execnz .LBB53_93
; %bb.94:
	s_or_b64 exec, exec, s[38:39]
.LBB53_95:
	v_lshlrev_b64 v[12:13], 3, v[10:11]
	v_mov_b32_e32 v15, s17
	v_add_co_u32_e32 v12, vcc, s16, v12
	v_addc_co_u32_e32 v13, vcc, v15, v13, vcc
	global_load_dwordx2 v[12:13], v[12:13], off
	v_add_co_u32_e32 v15, vcc, 0x1000, v6
	v_addc_co_u32_e32 v16, vcc, 0, v7, vcc
	global_load_dwordx2 v[15:16], v[15:16], off
	s_waitcnt vmcnt(1)
	v_subrev_co_u32_e32 v12, vcc, s30, v12
	v_subbrev_co_u32_e32 v13, vcc, 0, v13, vcc
	v_cmp_lt_i64_e32 vcc, v[2:3], v[12:13]
	v_cndmask_b32_e32 v11, v11, v9, vcc
	v_cndmask_b32_e32 v10, v10, v8, vcc
	s_waitcnt vmcnt(0)
	v_subrev_co_u32_e32 v8, vcc, s30, v15
	v_subbrev_co_u32_e32 v9, vcc, 0, v16, vcc
	v_cmp_ne_u64_e32 vcc, v[8:9], v[10:11]
	s_and_saveexec_b64 s[38:39], vcc
	s_cbranch_execz .LBB53_101
; %bb.96:
	s_load_dwordx2 s[2:3], s[18:19], 0x0
	s_waitcnt lgkmcnt(0)
	s_sub_u32 s2, s2, s30
	s_subb_u32 s3, s3, 0
	v_cmp_gt_i64_e32 vcc, s[2:3], v[2:3]
	s_and_b64 exec, exec, vcc
	s_cbranch_execz .LBB53_101
; %bb.97:
	v_cmp_gt_i64_e32 vcc, s[8:9], v[8:9]
	v_cmp_le_i64_e64 s[2:3], s[26:27], v[8:9]
	s_or_b64 s[2:3], vcc, s[2:3]
	s_and_saveexec_b64 s[40:41], s[2:3]
	s_xor_b64 s[2:3], exec, s[40:41]
	s_cbranch_execz .LBB53_99
; %bb.98:
	v_mov_b32_e32 v3, s23
	v_add_co_u32_e32 v2, vcc, s22, v10
	v_addc_co_u32_e32 v3, vcc, v3, v11, vcc
	global_load_sbyte v10, v[2:3], off
	ds_read_b32 v11, v14 offset:2048
	v_lshlrev_b64 v[2:3], 2, v[8:9]
	v_mov_b32_e32 v12, s15
	v_add_co_u32_e32 v2, vcc, s14, v2
	v_addc_co_u32_e32 v3, vcc, v12, v3, vcc
	s_waitcnt vmcnt(0) lgkmcnt(0)
	v_mul_lo_u32 v10, v11, v10
	global_atomic_add v[2:3], v10, off
                                        ; implicit-def: $vgpr10_vgpr11
.LBB53_99:
	s_andn2_saveexec_b64 s[2:3], s[2:3]
	s_cbranch_execz .LBB53_101
; %bb.100:
	v_mov_b32_e32 v3, s23
	v_add_co_u32_e32 v2, vcc, s22, v10
	v_addc_co_u32_e32 v3, vcc, v3, v11, vcc
	global_load_sbyte v2, v[2:3], off
	ds_read_b32 v3, v14 offset:2048
	v_mov_b32_e32 v10, 0x1000
	s_waitcnt vmcnt(0) lgkmcnt(0)
	v_mul_lo_u32 v2, v3, v2
	v_subrev_u32_e32 v3, s8, v8
	v_lshl_add_u32 v3, v3, 2, v10
	ds_add_u32 v3, v2
.LBB53_101:
	s_or_b64 exec, exec, s[38:39]
	v_mov_b32_e32 v3, s23
	v_add_co_u32_e32 v2, vcc, s22, v8
	v_addc_co_u32_e32 v3, vcc, v3, v9, vcc
	global_load_sbyte v2, v[2:3], off
	ds_read_b32 v3, v14 offset:2048
	s_and_b64 vcc, exec, s[0:1]
	s_waitcnt vmcnt(0) lgkmcnt(0)
	v_mul_lo_u32 v8, v3, v2
	v_mov_b32_e32 v2, s24
	v_mov_b32_e32 v3, s25
	ds_write_b32 v14, v8 offset:2048
	v_mov_b32_e32 v8, s20
	v_mov_b32_e32 v9, s21
	s_cbranch_vccnz .LBB53_105
; %bb.102:
	v_mov_b32_e32 v2, s24
	v_mov_b32_e32 v8, s20
	s_mov_b64 s[2:3], 0
	v_mov_b32_e32 v3, s25
	v_mov_b32_e32 v9, s21
	;; [unrolled: 1-line block ×3, first 2 shown]
.LBB53_103:                             ; =>This Inner Loop Header: Depth=1
	v_add_co_u32_e32 v11, vcc, v8, v2
	v_addc_co_u32_e32 v12, vcc, v9, v3, vcc
	v_lshrrev_b32_e32 v13, 31, v12
	v_add_co_u32_e32 v11, vcc, v11, v13
	v_addc_co_u32_e32 v12, vcc, 0, v12, vcc
	v_ashrrev_i64 v[11:12], 1, v[11:12]
	v_lshlrev_b64 v[15:16], 3, v[11:12]
	v_add_co_u32_e32 v15, vcc, s16, v15
	v_addc_co_u32_e32 v16, vcc, v10, v16, vcc
	global_load_dwordx2 v[15:16], v[15:16], off
	s_waitcnt vmcnt(0)
	v_subrev_co_u32_e32 v15, vcc, s30, v15
	v_subbrev_co_u32_e32 v16, vcc, 0, v16, vcc
	v_cmp_lt_i64_e32 vcc, v[4:5], v[15:16]
	v_cndmask_b32_e32 v8, v8, v11, vcc
	v_cndmask_b32_e32 v9, v9, v12, vcc
	;; [unrolled: 1-line block ×3, first 2 shown]
	v_add_co_u32_e64 v11, s[0:1], -1, v8
	v_cndmask_b32_e32 v3, v12, v3, vcc
	v_addc_co_u32_e64 v12, s[0:1], -1, v9, s[0:1]
	v_cmp_ge_i64_e32 vcc, v[2:3], v[8:9]
	v_cmp_eq_u64_e64 s[0:1], v[2:3], v[11:12]
	s_or_b64 s[0:1], vcc, s[0:1]
	s_and_b64 s[0:1], exec, s[0:1]
	s_or_b64 s[2:3], s[0:1], s[2:3]
	s_andn2_b64 exec, exec, s[2:3]
	s_cbranch_execnz .LBB53_103
; %bb.104:
	s_or_b64 exec, exec, s[2:3]
.LBB53_105:
	v_lshlrev_b64 v[10:11], 3, v[8:9]
	v_mov_b32_e32 v12, s17
	v_add_co_u32_e32 v10, vcc, s16, v10
	v_addc_co_u32_e32 v11, vcc, v12, v11, vcc
	global_load_dwordx2 v[10:11], v[10:11], off
	v_add_co_u32_e32 v6, vcc, 0x1000, v6
	v_addc_co_u32_e32 v7, vcc, 0, v7, vcc
	global_load_dwordx2 v[12:13], v[6:7], off offset:2048
	s_waitcnt vmcnt(1)
	v_subrev_co_u32_e32 v6, vcc, s30, v10
	v_subbrev_co_u32_e32 v7, vcc, 0, v11, vcc
	v_cmp_lt_i64_e32 vcc, v[4:5], v[6:7]
	v_cndmask_b32_e32 v7, v9, v3, vcc
	v_cndmask_b32_e32 v6, v8, v2, vcc
	s_waitcnt vmcnt(0)
	v_subrev_co_u32_e32 v2, vcc, s30, v12
	v_subbrev_co_u32_e32 v3, vcc, 0, v13, vcc
	v_cmp_ne_u64_e32 vcc, v[2:3], v[6:7]
	s_and_saveexec_b64 s[2:3], vcc
	s_cbranch_execz .LBB53_111
; %bb.106:
	s_load_dwordx2 s[0:1], s[18:19], 0x0
	s_waitcnt lgkmcnt(0)
	s_sub_u32 s0, s0, s30
	s_subb_u32 s1, s1, 0
	v_cmp_gt_i64_e32 vcc, s[0:1], v[4:5]
	s_and_b64 exec, exec, vcc
	s_cbranch_execz .LBB53_111
; %bb.107:
	v_cmp_gt_i64_e32 vcc, s[8:9], v[2:3]
	v_cmp_le_i64_e64 s[0:1], s[26:27], v[2:3]
	s_or_b64 s[0:1], vcc, s[0:1]
	s_and_saveexec_b64 s[18:19], s[0:1]
	s_xor_b64 s[0:1], exec, s[18:19]
	s_cbranch_execz .LBB53_109
; %bb.108:
	v_mov_b32_e32 v5, s23
	v_add_co_u32_e32 v4, vcc, s22, v6
	v_addc_co_u32_e32 v5, vcc, v5, v7, vcc
	global_load_sbyte v6, v[4:5], off
	ds_read_b32 v7, v14 offset:3072
	v_lshlrev_b64 v[4:5], 2, v[2:3]
	v_mov_b32_e32 v8, s15
	v_add_co_u32_e32 v4, vcc, s14, v4
	v_addc_co_u32_e32 v5, vcc, v8, v5, vcc
	s_waitcnt vmcnt(0) lgkmcnt(0)
	v_mul_lo_u32 v6, v7, v6
	global_atomic_add v[4:5], v6, off
                                        ; implicit-def: $vgpr6_vgpr7
.LBB53_109:
	s_andn2_saveexec_b64 s[0:1], s[0:1]
	s_cbranch_execz .LBB53_111
; %bb.110:
	v_mov_b32_e32 v5, s23
	v_add_co_u32_e32 v4, vcc, s22, v6
	v_addc_co_u32_e32 v5, vcc, v5, v7, vcc
	global_load_sbyte v4, v[4:5], off
	ds_read_b32 v5, v14 offset:3072
	v_mov_b32_e32 v6, 0x1000
	s_waitcnt vmcnt(0) lgkmcnt(0)
	v_mul_lo_u32 v4, v5, v4
	v_subrev_u32_e32 v5, s8, v2
	v_lshl_add_u32 v5, v5, 2, v6
	ds_add_u32 v5, v4
.LBB53_111:
	s_or_b64 exec, exec, s[2:3]
	v_mov_b32_e32 v4, s23
	v_add_co_u32_e32 v2, vcc, s22, v2
	v_addc_co_u32_e32 v3, vcc, v4, v3, vcc
	global_load_sbyte v2, v[2:3], off
	ds_read_b32 v3, v14 offset:3072
	s_waitcnt vmcnt(0) lgkmcnt(0)
	v_mul_lo_u32 v2, v3, v2
	ds_write_b32 v14, v2 offset:3072
.LBB53_112:
	s_or_b64 exec, exec, s[4:5]
	v_mov_b32_e32 v2, s10
	v_mov_b32_e32 v3, s11
	v_cmp_lt_i64_e32 vcc, s[26:27], v[2:3]
	s_waitcnt lgkmcnt(0)
	s_and_b64 s[0:1], vcc, exec
	s_cselect_b32 s8, s26, s10
	s_cselect_b32 s0, s27, s11
	s_sub_u32 s2, s8, s28
	s_subb_u32 s3, s0, s29
	v_cmp_gt_i64_e32 vcc, s[2:3], v[0:1]
	s_barrier
	s_and_saveexec_b64 s[0:1], vcc
	s_cbranch_execz .LBB53_115
; %bb.113:
	v_mov_b32_e32 v2, s10
	v_mov_b32_e32 v3, s11
	v_cmp_gt_i64_e32 vcc, s[26:27], v[2:3]
	v_lshlrev_b32_e32 v2, 2, v0
	s_and_b64 s[4:5], vcc, exec
	s_cselect_b32 s5, s27, s11
	s_cselect_b32 s4, s26, s10
	s_lshl_b64 s[4:5], s[4:5], 2
	v_mov_b32_e32 v3, s5
	v_add_co_u32_e32 v2, vcc, s4, v2
	v_addc_co_u32_e32 v3, vcc, 0, v3, vcc
	s_lshl_b64 s[4:5], s[10:11], 2
	v_mov_b32_e32 v4, s5
	v_subrev_co_u32_e32 v2, vcc, s4, v2
	v_subb_co_u32_e32 v3, vcc, v3, v4, vcc
	v_mov_b32_e32 v4, s15
	v_add_co_u32_e32 v2, vcc, s14, v2
	v_addc_co_u32_e32 v3, vcc, v4, v3, vcc
	v_mov_b32_e32 v4, 0x1000
	v_lshl_add_u32 v6, v0, 2, v4
	v_mov_b32_e32 v5, v1
	s_mov_b64 s[4:5], 0
	v_mov_b32_e32 v4, v0
.LBB53_114:                             ; =>This Inner Loop Header: Depth=1
	ds_read_b32 v7, v6
	v_add_co_u32_e32 v4, vcc, 0x100, v4
	v_addc_co_u32_e32 v5, vcc, 0, v5, vcc
	s_waitcnt lgkmcnt(0)
	global_atomic_add v[2:3], v7, off
	v_cmp_le_i64_e32 vcc, s[2:3], v[4:5]
	v_add_u32_e32 v6, 0x400, v6
	s_or_b64 s[4:5], vcc, s[4:5]
	v_add_co_u32_e32 v2, vcc, 0x400, v2
	v_addc_co_u32_e32 v3, vcc, 0, v3, vcc
	s_andn2_b64 exec, exec, s[4:5]
	s_cbranch_execnz .LBB53_114
.LBB53_115:
	s_or_b64 exec, exec, s[0:1]
	s_add_i32 s0, s36, -1
	s_ashr_i32 s1, s0, 1
	s_or_b32 s0, s1, s0
	s_ashr_i32 s1, s0, 2
	s_or_b32 s0, s1, s0
	;; [unrolled: 2-line block ×5, first 2 shown]
	s_add_i32 s0, s0, 1
	s_ashr_i32 s3, s0, 1
	v_mov_b32_e32 v2, s25
	v_add_co_u32_e32 v6, vcc, s24, v0
	v_addc_co_u32_e32 v7, vcc, 0, v2, vcc
	s_cmp_gt_i32 s3, 1
	s_mov_b64 s[0:1], -1
	s_waitcnt vmcnt(0)
	s_barrier
	s_cbranch_scc1 .LBB53_124
; %bb.116:
	v_cmp_gt_i64_e32 vcc, s[26:27], v[6:7]
	s_and_saveexec_b64 s[0:1], vcc
	s_cbranch_execz .LBB53_123
; %bb.117:
	s_sub_i32 s4, s8, s26
	s_lshl_b32 s4, s4, 2
	s_add_i32 s13, s4, 0x1000
	s_lshl_b32 s4, s6, 2
	v_mov_b32_e32 v9, v7
	s_sub_i32 s18, 0, s4
	s_mov_b64 s[4:5], 0
	v_mov_b32_e32 v12, s17
	v_mov_b32_e32 v13, s15
	v_mov_b32_e32 v8, v6
	s_branch .LBB53_119
.LBB53_118:                             ;   in Loop: Header=BB53_119 Depth=1
	s_or_b64 exec, exec, s[8:9]
	v_lshl_add_u32 v2, v8, 2, s13
	ds_read_b32 v4, v2
	v_lshlrev_b64 v[2:3], 2, v[8:9]
	v_add_co_u32_e32 v2, vcc, s14, v2
	s_waitcnt lgkmcnt(0)
	v_add_u32_e32 v4, v4, v15
	v_addc_co_u32_e32 v3, vcc, v13, v3, vcc
	global_atomic_add v[2:3], v4, off
	v_add_co_u32_e32 v8, vcc, s12, v8
	v_addc_co_u32_e32 v9, vcc, 0, v9, vcc
	v_cmp_le_i64_e32 vcc, s[26:27], v[8:9]
	s_or_b64 s[4:5], vcc, s[4:5]
	s_andn2_b64 exec, exec, s[4:5]
	s_cbranch_execz .LBB53_123
.LBB53_119:                             ; =>This Loop Header: Depth=1
                                        ;     Child Loop BB53_121 Depth 2
	v_lshlrev_b64 v[2:3], 3, v[8:9]
	v_mov_b32_e32 v15, 0
	v_add_co_u32_e32 v2, vcc, s16, v2
	v_addc_co_u32_e32 v3, vcc, v12, v3, vcc
	global_load_dwordx4 v[2:5], v[2:3], off
	s_waitcnt vmcnt(0)
	v_cmp_lt_i64_e32 vcc, v[2:3], v[4:5]
	s_and_saveexec_b64 s[8:9], vcc
	s_cbranch_execz .LBB53_118
; %bb.120:                              ;   in Loop: Header=BB53_119 Depth=1
	v_mov_b32_e32 v10, s7
	v_subrev_co_u32_e32 v4, vcc, s6, v4
	v_subb_co_u32_e32 v5, vcc, v5, v10, vcc
	v_mov_b32_e32 v11, s7
	v_subrev_co_u32_e32 v10, vcc, s6, v2
	v_subb_co_u32_e32 v11, vcc, v3, v11, vcc
	v_lshl_add_u32 v2, v2, 2, s18
	v_mov_b32_e32 v15, 0
	s_mov_b64 s[10:11], 0
.LBB53_121:                             ;   Parent Loop BB53_119 Depth=1
                                        ; =>  This Inner Loop Header: Depth=2
	ds_read_b32 v3, v2
	v_add_co_u32_e32 v10, vcc, 1, v10
	v_addc_co_u32_e32 v11, vcc, 0, v11, vcc
	v_cmp_ge_i64_e32 vcc, v[10:11], v[4:5]
	v_add_u32_e32 v2, 4, v2
	s_or_b64 s[10:11], vcc, s[10:11]
	s_waitcnt lgkmcnt(0)
	v_add_u32_e32 v15, v3, v15
	s_andn2_b64 exec, exec, s[10:11]
	s_cbranch_execnz .LBB53_121
; %bb.122:                              ;   in Loop: Header=BB53_119 Depth=1
	s_or_b64 exec, exec, s[10:11]
	s_branch .LBB53_118
.LBB53_123:
	s_or_b64 exec, exec, s[0:1]
	s_mov_b64 s[0:1], 0
.LBB53_124:
	s_andn2_b64 vcc, exec, s[0:1]
	s_cbranch_vccnz .LBB53_141
; %bb.125:
	v_cvt_f32_u32_e32 v2, s3
	s_sub_i32 s8, 0, s3
	v_mov_b32_e32 v5, 0
	v_mov_b32_e32 v8, s35
	v_rcp_iflag_f32_e32 v2, v2
	v_mov_b32_e32 v13, s7
	v_mul_f32_e32 v2, 0x4f7ffffe, v2
	v_cvt_u32_f32_e32 v2, v2
	v_mul_lo_u32 v3, s8, v2
	v_mul_hi_u32 v3, v2, v3
	v_add_u32_e32 v2, v2, v3
	v_mul_hi_u32 v2, v0, v2
	v_mul_lo_u32 v3, v2, s3
	v_add_u32_e32 v4, 1, v2
	v_sub_u32_e32 v3, v0, v3
	v_cmp_le_u32_e32 vcc, s3, v3
	v_cndmask_b32_e32 v2, v2, v4, vcc
	v_subrev_u32_e32 v4, s3, v3
	v_cndmask_b32_e32 v3, v3, v4, vcc
	v_add_u32_e32 v4, 1, v2
	v_cmp_le_u32_e32 vcc, s3, v3
	v_cndmask_b32_e32 v4, v2, v4, vcc
	v_lshlrev_b64 v[2:3], 3, v[4:5]
	v_add_co_u32_e32 v2, vcc, s34, v2
	v_addc_co_u32_e32 v3, vcc, v8, v3, vcc
	global_load_dwordx4 v[8:11], v[2:3], off
	v_mov_b32_e32 v3, s7
	s_waitcnt vmcnt(0)
	v_subrev_co_u32_e32 v2, vcc, s6, v8
	v_subb_co_u32_e32 v3, vcc, v9, v3, vcc
	v_subrev_co_u32_e32 v12, vcc, s6, v10
	v_subb_co_u32_e32 v13, vcc, v11, v13, vcc
	v_sub_co_u32_e32 v11, vcc, v12, v2
	v_subb_co_u32_e32 v10, vcc, v13, v3, vcc
	v_mov_b32_e32 v9, v5
	v_cmp_ne_u64_e32 vcc, 0, v[9:10]
                                        ; implicit-def: $vgpr8_vgpr9
	s_and_saveexec_b64 s[0:1], vcc
	s_xor_b64 s[4:5], exec, s[0:1]
	s_cbranch_execz .LBB53_127
; %bb.126:
	s_add_u32 s0, s3, 0
	s_addc_u32 s1, 0, 0
	s_xor_b64 s[6:7], s[0:1], 0
	v_cvt_f32_u32_e32 v8, s6
	v_cvt_f32_u32_e32 v9, s7
	s_sub_u32 s9, 0, s6
	s_subb_u32 s10, 0, s7
	v_ashrrev_i32_e32 v15, 31, v10
	v_madmk_f32 v8, v9, 0x4f800000, v8
	v_rcp_f32_e32 v8, v8
	v_mul_f32_e32 v8, 0x5f7ffffc, v8
	v_mul_f32_e32 v9, 0x2f800000, v8
	v_trunc_f32_e32 v9, v9
	v_madmk_f32 v8, v9, 0xcf800000, v8
	v_cvt_u32_f32_e32 v9, v9
	v_cvt_u32_f32_e32 v8, v8
	v_readfirstlane_b32 s11, v9
	v_readfirstlane_b32 s0, v8
	s_mul_i32 s1, s9, s11
	s_mul_hi_u32 s13, s9, s0
	s_mul_i32 s12, s10, s0
	s_add_i32 s1, s13, s1
	s_mul_i32 s16, s9, s0
	s_add_i32 s1, s1, s12
	s_mul_i32 s13, s0, s1
	s_mul_hi_u32 s17, s0, s16
	s_mul_hi_u32 s12, s0, s1
	s_add_u32 s13, s17, s13
	s_addc_u32 s12, 0, s12
	s_mul_hi_u32 s18, s11, s16
	s_mul_i32 s16, s11, s16
	s_add_u32 s13, s13, s16
	s_mul_hi_u32 s17, s11, s1
	s_addc_u32 s12, s12, s18
	s_addc_u32 s13, s17, 0
	s_mul_i32 s1, s11, s1
	s_add_u32 s1, s12, s1
	s_addc_u32 s12, 0, s13
	s_add_u32 s13, s0, s1
	s_cselect_b64 s[0:1], -1, 0
	s_cmp_lg_u64 s[0:1], 0
	s_addc_u32 s11, s11, s12
	s_mul_i32 s0, s9, s11
	s_mul_hi_u32 s1, s9, s13
	s_add_i32 s0, s1, s0
	s_mul_i32 s10, s10, s13
	s_add_i32 s0, s0, s10
	s_mul_i32 s9, s9, s13
	s_mul_hi_u32 s10, s11, s9
	s_mul_i32 s12, s11, s9
	s_mul_i32 s17, s13, s0
	s_mul_hi_u32 s9, s13, s9
	s_mul_hi_u32 s16, s13, s0
	s_add_u32 s9, s9, s17
	s_addc_u32 s16, 0, s16
	s_add_u32 s9, s9, s12
	s_mul_hi_u32 s1, s11, s0
	s_addc_u32 s9, s16, s10
	s_addc_u32 s1, s1, 0
	s_mul_i32 s0, s11, s0
	s_add_u32 s0, s9, s0
	s_addc_u32 s9, 0, s1
	s_add_u32 s10, s13, s0
	s_cselect_b64 s[0:1], -1, 0
	s_cmp_lg_u64 s[0:1], 0
	v_add_co_u32_e32 v8, vcc, v11, v15
	s_addc_u32 s9, s11, s9
	v_xor_b32_e32 v16, v8, v15
	v_mad_u64_u32 v[8:9], s[0:1], v16, s9, 0
	v_mul_hi_u32 v11, v16, s10
	v_addc_co_u32_e32 v10, vcc, v10, v15, vcc
	v_xor_b32_e32 v17, v10, v15
	v_add_co_u32_e32 v18, vcc, v11, v8
	v_addc_co_u32_e32 v19, vcc, 0, v9, vcc
	v_mad_u64_u32 v[8:9], s[0:1], v17, s10, 0
	v_mad_u64_u32 v[10:11], s[0:1], v17, s9, 0
	v_add_co_u32_e32 v8, vcc, v18, v8
	v_addc_co_u32_e32 v8, vcc, v19, v9, vcc
	v_addc_co_u32_e32 v9, vcc, 0, v11, vcc
	v_add_co_u32_e32 v10, vcc, v8, v10
	v_addc_co_u32_e32 v11, vcc, 0, v9, vcc
	v_mul_lo_u32 v18, s7, v10
	v_mul_lo_u32 v19, s6, v11
	v_mad_u64_u32 v[8:9], s[0:1], s6, v10, 0
	v_add3_u32 v9, v9, v19, v18
	v_sub_u32_e32 v18, v17, v9
	v_mov_b32_e32 v19, s7
	v_sub_co_u32_e32 v8, vcc, v16, v8
	v_subb_co_u32_e64 v16, s[0:1], v18, v19, vcc
	v_subrev_co_u32_e64 v18, s[0:1], s6, v8
	v_subbrev_co_u32_e64 v16, s[0:1], 0, v16, s[0:1]
	v_cmp_le_u32_e64 s[0:1], s7, v16
	v_cndmask_b32_e64 v19, 0, -1, s[0:1]
	v_cmp_le_u32_e64 s[0:1], s6, v18
	v_cndmask_b32_e64 v18, 0, -1, s[0:1]
	v_cmp_eq_u32_e64 s[0:1], s7, v16
	v_cndmask_b32_e64 v16, v19, v18, s[0:1]
	v_add_co_u32_e64 v18, s[0:1], 2, v10
	v_subb_co_u32_e32 v9, vcc, v17, v9, vcc
	v_addc_co_u32_e64 v19, s[0:1], 0, v11, s[0:1]
	v_cmp_le_u32_e32 vcc, s7, v9
	v_add_co_u32_e64 v20, s[0:1], 1, v10
	v_cndmask_b32_e64 v17, 0, -1, vcc
	v_cmp_le_u32_e32 vcc, s6, v8
	v_addc_co_u32_e64 v21, s[0:1], 0, v11, s[0:1]
	v_cndmask_b32_e64 v8, 0, -1, vcc
	v_cmp_eq_u32_e32 vcc, s7, v9
	v_cmp_ne_u32_e64 s[0:1], 0, v16
	v_cndmask_b32_e32 v8, v17, v8, vcc
	v_cndmask_b32_e64 v16, v21, v19, s[0:1]
	v_cmp_ne_u32_e32 vcc, 0, v8
	v_cndmask_b32_e64 v9, v20, v18, s[0:1]
	v_cndmask_b32_e32 v8, v11, v16, vcc
	v_cndmask_b32_e32 v9, v10, v9, vcc
	v_xor_b32_e32 v10, v8, v15
	v_xor_b32_e32 v8, v9, v15
	v_sub_co_u32_e32 v8, vcc, v8, v15
	v_subb_co_u32_e32 v9, vcc, v10, v15, vcc
                                        ; implicit-def: $vgpr11
.LBB53_127:
	s_andn2_saveexec_b64 s[0:1], s[4:5]
	s_cbranch_execz .LBB53_129
; %bb.128:
	v_cvt_f32_u32_e32 v8, s3
	v_rcp_iflag_f32_e32 v8, v8
	v_mul_f32_e32 v8, 0x4f7ffffe, v8
	v_cvt_u32_f32_e32 v8, v8
	v_mul_lo_u32 v9, s8, v8
	v_mul_hi_u32 v9, v8, v9
	v_add_u32_e32 v8, v8, v9
	v_mul_hi_u32 v8, v11, v8
	v_mul_lo_u32 v9, v8, s3
	v_add_u32_e32 v10, 1, v8
	v_sub_u32_e32 v9, v11, v9
	v_subrev_u32_e32 v11, s3, v9
	v_cmp_le_u32_e32 vcc, s3, v9
	v_cndmask_b32_e32 v9, v9, v11, vcc
	v_cndmask_b32_e32 v8, v8, v10, vcc
	v_add_u32_e32 v10, 1, v8
	v_cmp_le_u32_e32 vcc, s3, v9
	v_cndmask_b32_e32 v8, v8, v10, vcc
	v_mov_b32_e32 v9, 0
.LBB53_129:
	s_or_b64 exec, exec, s[0:1]
	v_cmp_gt_i64_e32 vcc, s[28:29], v[4:5]
	v_mov_b32_e32 v15, 0
	s_and_saveexec_b64 s[0:1], vcc
	s_cbranch_execz .LBB53_137
; %bb.130:
	s_add_i32 s4, s3, -1
	v_and_b32_e32 v4, s4, v0
	v_cmp_lt_i64_e32 vcc, 0, v[8:9]
	s_mov_b64 s[4:5], 0
	v_mov_b32_e32 v15, 0
	v_lshlrev_b32_e32 v16, 2, v4
	s_and_saveexec_b64 s[6:7], vcc
	s_cbranch_execz .LBB53_134
; %bb.131:
	v_mov_b32_e32 v11, v9
	v_lshl_add_u32 v5, v2, 2, v16
	s_lshl_b32 s8, s3, 2
	v_mov_b32_e32 v15, 0
	v_mov_b32_e32 v10, v8
.LBB53_132:                             ; =>This Inner Loop Header: Depth=1
	ds_read_b32 v17, v5
	v_add_co_u32_e32 v10, vcc, -1, v10
	v_addc_co_u32_e32 v11, vcc, -1, v11, vcc
	v_cmp_eq_u64_e32 vcc, 0, v[10:11]
	v_add_u32_e32 v5, s8, v5
	s_or_b64 s[4:5], vcc, s[4:5]
	s_waitcnt lgkmcnt(0)
	v_add_u32_e32 v15, v17, v15
	s_andn2_b64 exec, exec, s[4:5]
	s_cbranch_execnz .LBB53_132
; %bb.133:
	s_or_b64 exec, exec, s[4:5]
.LBB53_134:
	s_or_b64 exec, exec, s[6:7]
	v_mad_u64_u32 v[2:3], s[4:5], v8, s3, v[2:3]
	v_mov_b32_e32 v5, 0
	v_mad_u64_u32 v[8:9], s[4:5], v9, s3, v[3:4]
	v_sub_co_u32_e32 v9, vcc, v12, v2
	v_subb_co_u32_e32 v10, vcc, v13, v8, vcc
	v_cmp_gt_i64_e32 vcc, v[9:10], v[4:5]
	s_and_saveexec_b64 s[4:5], vcc
	s_cbranch_execz .LBB53_136
; %bb.135:
	v_lshl_add_u32 v2, v2, 2, v16
	ds_read_b32 v2, v2
	s_waitcnt lgkmcnt(0)
	v_add_u32_e32 v15, v2, v15
.LBB53_136:
	s_or_b64 exec, exec, s[4:5]
.LBB53_137:
	s_or_b64 exec, exec, s[0:1]
	v_cmp_gt_i64_e32 vcc, s[28:29], v[0:1]
	s_barrier
	ds_write_b32 v14, v15
	s_waitcnt lgkmcnt(0)
	s_barrier
	s_and_saveexec_b64 s[0:1], vcc
	s_cbranch_execz .LBB53_141
; %bb.138:
	v_mul_lo_u32 v1, s3, v0
	v_lshlrev_b32_e32 v2, 2, v1
	v_mov_b32_e32 v1, 0
.LBB53_139:                             ; =>This Inner Loop Header: Depth=1
	ds_read_b32 v3, v2
	s_add_i32 s3, s3, -1
	v_add_u32_e32 v2, 4, v2
	s_cmp_eq_u32 s3, 0
	s_waitcnt lgkmcnt(0)
	v_add_u32_e32 v1, v3, v1
	s_cbranch_scc0 .LBB53_139
; %bb.140:
	s_lshl_b32 s0, s2, 2
	s_addk_i32 s0, 0x1000
	v_lshl_add_u32 v0, v0, 2, s0
	ds_read_b32 v0, v0
	v_lshlrev_b64 v[2:3], 2, v[6:7]
	v_mov_b32_e32 v4, s15
	s_waitcnt lgkmcnt(0)
	v_add_u32_e32 v5, v0, v1
	v_add_co_u32_e32 v0, vcc, s14, v2
	v_addc_co_u32_e32 v1, vcc, v4, v3, vcc
	global_atomic_add v[0:1], v5, off
.LBB53_141:
	s_endpgm
	.section	.rodata,"a",@progbits
	.p2align	6, 0x0
	.amdhsa_kernel _ZN9rocsparseL27csrmvn_symm_adaptive_kernelIllaaiiEEvbT_S1_PKS1_NS_24const_host_device_scalarIT4_EES3_PKT0_PKT1_PKT2_S6_PT3_21rocsparse_index_base_b
		.amdhsa_group_segment_fixed_size 4096
		.amdhsa_private_segment_fixed_size 0
		.amdhsa_kernarg_size 352
		.amdhsa_user_sgpr_count 6
		.amdhsa_user_sgpr_private_segment_buffer 1
		.amdhsa_user_sgpr_dispatch_ptr 0
		.amdhsa_user_sgpr_queue_ptr 0
		.amdhsa_user_sgpr_kernarg_segment_ptr 1
		.amdhsa_user_sgpr_dispatch_id 0
		.amdhsa_user_sgpr_flat_scratch_init 0
		.amdhsa_user_sgpr_private_segment_size 0
		.amdhsa_uses_dynamic_stack 0
		.amdhsa_system_sgpr_private_segment_wavefront_offset 0
		.amdhsa_system_sgpr_workgroup_id_x 1
		.amdhsa_system_sgpr_workgroup_id_y 0
		.amdhsa_system_sgpr_workgroup_id_z 0
		.amdhsa_system_sgpr_workgroup_info 0
		.amdhsa_system_vgpr_workitem_id 0
		.amdhsa_next_free_vgpr 22
		.amdhsa_next_free_sgpr 52
		.amdhsa_reserve_vcc 1
		.amdhsa_reserve_flat_scratch 0
		.amdhsa_float_round_mode_32 0
		.amdhsa_float_round_mode_16_64 0
		.amdhsa_float_denorm_mode_32 3
		.amdhsa_float_denorm_mode_16_64 3
		.amdhsa_dx10_clamp 1
		.amdhsa_ieee_mode 1
		.amdhsa_fp16_overflow 0
		.amdhsa_exception_fp_ieee_invalid_op 0
		.amdhsa_exception_fp_denorm_src 0
		.amdhsa_exception_fp_ieee_div_zero 0
		.amdhsa_exception_fp_ieee_overflow 0
		.amdhsa_exception_fp_ieee_underflow 0
		.amdhsa_exception_fp_ieee_inexact 0
		.amdhsa_exception_int_div_zero 0
	.end_amdhsa_kernel
	.section	.text._ZN9rocsparseL27csrmvn_symm_adaptive_kernelIllaaiiEEvbT_S1_PKS1_NS_24const_host_device_scalarIT4_EES3_PKT0_PKT1_PKT2_S6_PT3_21rocsparse_index_base_b,"axG",@progbits,_ZN9rocsparseL27csrmvn_symm_adaptive_kernelIllaaiiEEvbT_S1_PKS1_NS_24const_host_device_scalarIT4_EES3_PKT0_PKT1_PKT2_S6_PT3_21rocsparse_index_base_b,comdat
.Lfunc_end53:
	.size	_ZN9rocsparseL27csrmvn_symm_adaptive_kernelIllaaiiEEvbT_S1_PKS1_NS_24const_host_device_scalarIT4_EES3_PKT0_PKT1_PKT2_S6_PT3_21rocsparse_index_base_b, .Lfunc_end53-_ZN9rocsparseL27csrmvn_symm_adaptive_kernelIllaaiiEEvbT_S1_PKS1_NS_24const_host_device_scalarIT4_EES3_PKT0_PKT1_PKT2_S6_PT3_21rocsparse_index_base_b
                                        ; -- End function
	.set _ZN9rocsparseL27csrmvn_symm_adaptive_kernelIllaaiiEEvbT_S1_PKS1_NS_24const_host_device_scalarIT4_EES3_PKT0_PKT1_PKT2_S6_PT3_21rocsparse_index_base_b.num_vgpr, 22
	.set _ZN9rocsparseL27csrmvn_symm_adaptive_kernelIllaaiiEEvbT_S1_PKS1_NS_24const_host_device_scalarIT4_EES3_PKT0_PKT1_PKT2_S6_PT3_21rocsparse_index_base_b.num_agpr, 0
	.set _ZN9rocsparseL27csrmvn_symm_adaptive_kernelIllaaiiEEvbT_S1_PKS1_NS_24const_host_device_scalarIT4_EES3_PKT0_PKT1_PKT2_S6_PT3_21rocsparse_index_base_b.numbered_sgpr, 52
	.set _ZN9rocsparseL27csrmvn_symm_adaptive_kernelIllaaiiEEvbT_S1_PKS1_NS_24const_host_device_scalarIT4_EES3_PKT0_PKT1_PKT2_S6_PT3_21rocsparse_index_base_b.num_named_barrier, 0
	.set _ZN9rocsparseL27csrmvn_symm_adaptive_kernelIllaaiiEEvbT_S1_PKS1_NS_24const_host_device_scalarIT4_EES3_PKT0_PKT1_PKT2_S6_PT3_21rocsparse_index_base_b.private_seg_size, 0
	.set _ZN9rocsparseL27csrmvn_symm_adaptive_kernelIllaaiiEEvbT_S1_PKS1_NS_24const_host_device_scalarIT4_EES3_PKT0_PKT1_PKT2_S6_PT3_21rocsparse_index_base_b.uses_vcc, 1
	.set _ZN9rocsparseL27csrmvn_symm_adaptive_kernelIllaaiiEEvbT_S1_PKS1_NS_24const_host_device_scalarIT4_EES3_PKT0_PKT1_PKT2_S6_PT3_21rocsparse_index_base_b.uses_flat_scratch, 0
	.set _ZN9rocsparseL27csrmvn_symm_adaptive_kernelIllaaiiEEvbT_S1_PKS1_NS_24const_host_device_scalarIT4_EES3_PKT0_PKT1_PKT2_S6_PT3_21rocsparse_index_base_b.has_dyn_sized_stack, 0
	.set _ZN9rocsparseL27csrmvn_symm_adaptive_kernelIllaaiiEEvbT_S1_PKS1_NS_24const_host_device_scalarIT4_EES3_PKT0_PKT1_PKT2_S6_PT3_21rocsparse_index_base_b.has_recursion, 0
	.set _ZN9rocsparseL27csrmvn_symm_adaptive_kernelIllaaiiEEvbT_S1_PKS1_NS_24const_host_device_scalarIT4_EES3_PKT0_PKT1_PKT2_S6_PT3_21rocsparse_index_base_b.has_indirect_call, 0
	.section	.AMDGPU.csdata,"",@progbits
; Kernel info:
; codeLenInByte = 7088
; TotalNumSgprs: 56
; NumVgprs: 22
; ScratchSize: 0
; MemoryBound: 0
; FloatMode: 240
; IeeeMode: 1
; LDSByteSize: 4096 bytes/workgroup (compile time only)
; SGPRBlocks: 6
; VGPRBlocks: 5
; NumSGPRsForWavesPerEU: 56
; NumVGPRsForWavesPerEU: 22
; Occupancy: 10
; WaveLimiterHint : 1
; COMPUTE_PGM_RSRC2:SCRATCH_EN: 0
; COMPUTE_PGM_RSRC2:USER_SGPR: 6
; COMPUTE_PGM_RSRC2:TRAP_HANDLER: 0
; COMPUTE_PGM_RSRC2:TGID_X_EN: 1
; COMPUTE_PGM_RSRC2:TGID_Y_EN: 0
; COMPUTE_PGM_RSRC2:TGID_Z_EN: 0
; COMPUTE_PGM_RSRC2:TIDIG_COMP_CNT: 0
	.section	.text._ZL33csrmvn_symm_large_adaptive_kernelIllaaiiEvbT_PKS0_N9rocsparse24const_host_device_scalarIT4_EES2_PKT0_PKT1_PKT2_S6_PT3_21rocsparse_index_base_b,"axG",@progbits,_ZL33csrmvn_symm_large_adaptive_kernelIllaaiiEvbT_PKS0_N9rocsparse24const_host_device_scalarIT4_EES2_PKT0_PKT1_PKT2_S6_PT3_21rocsparse_index_base_b,comdat
	.globl	_ZL33csrmvn_symm_large_adaptive_kernelIllaaiiEvbT_PKS0_N9rocsparse24const_host_device_scalarIT4_EES2_PKT0_PKT1_PKT2_S6_PT3_21rocsparse_index_base_b ; -- Begin function _ZL33csrmvn_symm_large_adaptive_kernelIllaaiiEvbT_PKS0_N9rocsparse24const_host_device_scalarIT4_EES2_PKT0_PKT1_PKT2_S6_PT3_21rocsparse_index_base_b
	.p2align	8
	.type	_ZL33csrmvn_symm_large_adaptive_kernelIllaaiiEvbT_PKS0_N9rocsparse24const_host_device_scalarIT4_EES2_PKT0_PKT1_PKT2_S6_PT3_21rocsparse_index_base_b,@function
_ZL33csrmvn_symm_large_adaptive_kernelIllaaiiEvbT_PKS0_N9rocsparse24const_host_device_scalarIT4_EES2_PKT0_PKT1_PKT2_S6_PT3_21rocsparse_index_base_b: ; @_ZL33csrmvn_symm_large_adaptive_kernelIllaaiiEvbT_PKS0_N9rocsparse24const_host_device_scalarIT4_EES2_PKT0_PKT1_PKT2_S6_PT3_21rocsparse_index_base_b
; %bb.0:
	s_load_dwordx2 s[24:25], s[4:5], 0x50
	s_load_dwordx2 s[8:9], s[4:5], 0x18
	s_mov_b64 s[10:11], -1
	s_waitcnt lgkmcnt(0)
	s_bitcmp1_b32 s25, 0
	s_cselect_b64 s[0:1], -1, 0
	s_xor_b64 s[2:3], s[0:1], -1
	s_and_b64 vcc, exec, s[2:3]
                                        ; implicit-def: $sgpr25
	s_cbranch_vccnz .LBB54_4
; %bb.1:
	s_load_dwordx2 s[0:1], s[4:5], 0x40
	s_andn2_b64 vcc, exec, s[10:11]
	s_cbranch_vccz .LBB54_5
.LBB54_2:
	s_and_b64 vcc, exec, s[2:3]
	s_cbranch_vccz .LBB54_6
.LBB54_3:
	s_waitcnt lgkmcnt(0)
	s_load_dword s1, s[0:1], 0x0
	s_cbranch_execz .LBB54_7
	s_branch .LBB54_8
.LBB54_4:
	s_load_dword s25, s[8:9], 0x0
	s_load_dwordx2 s[0:1], s[4:5], 0x40
	s_cbranch_execnz .LBB54_2
.LBB54_5:
	s_waitcnt lgkmcnt(0)
	s_mov_b32 s25, s8
	s_and_b64 vcc, exec, s[2:3]
	s_cbranch_vccnz .LBB54_3
.LBB54_6:
                                        ; implicit-def: $sgpr1
.LBB54_7:
	s_waitcnt lgkmcnt(0)
	s_mov_b32 s1, s0
.LBB54_8:
	s_waitcnt lgkmcnt(0)
	s_cmp_lg_u32 s25, 0
	s_cselect_b64 s[2:3], -1, 0
	s_cmp_lg_u32 s1, 1
	s_cselect_b64 s[0:1], -1, 0
	s_or_b64 s[0:1], s[2:3], s[0:1]
	s_andn2_b64 vcc, exec, s[0:1]
	s_cbranch_vccnz .LBB54_38
; %bb.9:
	s_load_dwordx2 s[0:1], s[4:5], 0x10
	s_ashr_i32 s7, s6, 31
	s_lshl_b64 s[2:3], s[6:7], 3
	v_lshlrev_b32_e32 v6, 2, v0
	v_mov_b32_e32 v7, 0
	s_waitcnt lgkmcnt(0)
	s_add_u32 s0, s0, s2
	s_addc_u32 s1, s1, s3
	ds_write2st64_b32 v6, v7, v7 offset1:4
	ds_write2st64_b32 v6, v7, v7 offset0:8 offset1:12
	s_waitcnt lgkmcnt(0)
	s_barrier
	s_load_dwordx4 s[20:23], s[0:1], 0x0
	s_load_dwordx8 s[12:19], s[4:5], 0x20
	s_load_dwordx2 s[26:27], s[4:5], 0x48
	v_subrev_co_u32_e64 v8, s[0:1], s24, v0
	s_waitcnt lgkmcnt(0)
	v_mov_b32_e32 v1, s22
	v_mov_b32_e32 v2, s23
	v_cmp_ge_i64_e32 vcc, s[20:21], v[1:2]
	v_subb_co_u32_e64 v9, s[0:1], 0, 0, s[0:1]
	s_cbranch_vccnz .LBB54_29
; %bb.10:
	s_movk_i32 s0, 0x100
	v_cmp_gt_u32_e64 s[0:1], s0, v0
	v_cmp_gt_u32_e64 s[2:3], 64, v0
	;; [unrolled: 1-line block ×4, first 2 shown]
	v_cmp_eq_u32_e64 s[8:9], 0, v0
	v_mov_b32_e32 v0, s22
	v_mov_b32_e32 v1, s23
	s_mov_b64 s[28:29], s[20:21]
	s_branch .LBB54_12
.LBB54_11:                              ;   in Loop: Header=BB54_12 Depth=1
	s_or_b64 exec, exec, s[10:11]
	s_add_u32 s28, s28, 1
	s_addc_u32 s29, s29, 0
	v_cmp_ge_i64_e32 vcc, s[28:29], v[0:1]
	s_cbranch_vccnz .LBB54_29
.LBB54_12:                              ; =>This Loop Header: Depth=1
                                        ;     Child Loop BB54_14 Depth 2
	s_lshl_b64 s[10:11], s[28:29], 3
	s_add_u32 s10, s12, s10
	s_addc_u32 s11, s13, s11
	s_load_dwordx4 s[36:39], s[10:11], 0x0
	v_mov_b32_e32 v10, 0
	s_waitcnt lgkmcnt(0)
	s_sub_u32 s30, s38, s24
	v_mov_b32_e32 v3, s37
	v_add_co_u32_e32 v2, vcc, s36, v8
	s_subb_u32 s31, s39, 0
	v_addc_co_u32_e32 v3, vcc, v3, v9, vcc
	v_cmp_gt_i64_e32 vcc, s[30:31], v[2:3]
	s_and_saveexec_b64 s[34:35], vcc
	s_cbranch_execz .LBB54_16
; %bb.13:                               ;   in Loop: Header=BB54_12 Depth=1
	v_lshlrev_b64 v[4:5], 3, v[2:3]
	v_mov_b32_e32 v10, s15
	v_add_co_u32_e32 v4, vcc, s14, v4
	v_addc_co_u32_e32 v5, vcc, v10, v5, vcc
	v_mov_b32_e32 v10, 0
	s_mov_b64 s[36:37], 0
.LBB54_14:                              ;   Parent Loop BB54_12 Depth=1
                                        ; =>  This Inner Loop Header: Depth=2
	global_load_dwordx2 v[11:12], v[4:5], off
	v_mov_b32_e32 v14, s17
	v_add_co_u32_e32 v13, vcc, s16, v2
	v_addc_co_u32_e32 v14, vcc, v14, v3, vcc
	v_mov_b32_e32 v15, s19
	global_load_sbyte v13, v[13:14], off
	s_waitcnt vmcnt(1)
	v_subrev_co_u32_e32 v11, vcc, s24, v11
	v_subbrev_co_u32_e32 v12, vcc, 0, v12, vcc
	v_add_co_u32_e32 v11, vcc, s18, v11
	v_addc_co_u32_e32 v12, vcc, v15, v12, vcc
	global_load_sbyte v11, v[11:12], off
	v_add_co_u32_e32 v2, vcc, 0x100, v2
	v_addc_co_u32_e32 v3, vcc, 0, v3, vcc
	v_cmp_le_i64_e64 s[10:11], s[30:31], v[2:3]
	v_add_co_u32_e32 v4, vcc, 0x800, v4
	v_addc_co_u32_e32 v5, vcc, 0, v5, vcc
	s_or_b64 s[36:37], s[10:11], s[36:37]
	s_waitcnt vmcnt(0)
	v_mad_i32_i24 v10, v11, v13, v10
	s_andn2_b64 exec, exec, s[36:37]
	s_cbranch_execnz .LBB54_14
; %bb.15:                               ;   in Loop: Header=BB54_12 Depth=1
	s_or_b64 exec, exec, s[36:37]
.LBB54_16:                              ;   in Loop: Header=BB54_12 Depth=1
	s_or_b64 exec, exec, s[34:35]
	ds_write_b32 v6, v10
	s_waitcnt vmcnt(0) lgkmcnt(0)
	s_barrier
	s_and_saveexec_b64 s[10:11], s[0:1]
	s_cbranch_execz .LBB54_18
; %bb.17:                               ;   in Loop: Header=BB54_12 Depth=1
	ds_read2st64_b32 v[2:3], v6 offset1:4
	ds_read2st64_b32 v[4:5], v6 offset0:8 offset1:12
	s_waitcnt lgkmcnt(0)
	v_add_u32_e32 v3, v4, v3
	v_add3_u32 v2, v3, v5, v2
	ds_write_b32 v6, v2
.LBB54_18:                              ;   in Loop: Header=BB54_12 Depth=1
	s_or_b64 exec, exec, s[10:11]
	s_waitcnt lgkmcnt(0)
	s_barrier
	s_and_saveexec_b64 s[10:11], s[2:3]
	s_cbranch_execz .LBB54_20
; %bb.19:                               ;   in Loop: Header=BB54_12 Depth=1
	ds_read2st64_b32 v[2:3], v6 offset1:1
	ds_read2st64_b32 v[4:5], v6 offset0:2 offset1:3
	s_waitcnt lgkmcnt(0)
	v_add_u32_e32 v3, v4, v3
	v_add3_u32 v2, v3, v5, v2
	ds_write_b32 v6, v2
.LBB54_20:                              ;   in Loop: Header=BB54_12 Depth=1
	s_or_b64 exec, exec, s[10:11]
	s_waitcnt lgkmcnt(0)
	s_barrier
	s_and_saveexec_b64 s[10:11], s[4:5]
	s_cbranch_execz .LBB54_22
; %bb.21:                               ;   in Loop: Header=BB54_12 Depth=1
	ds_read2_b32 v[2:3], v6 offset1:16
	ds_read2_b32 v[4:5], v6 offset0:32 offset1:48
	s_waitcnt lgkmcnt(0)
	v_add_u32_e32 v3, v4, v3
	v_add3_u32 v2, v3, v5, v2
	ds_write_b32 v6, v2
.LBB54_22:                              ;   in Loop: Header=BB54_12 Depth=1
	s_or_b64 exec, exec, s[10:11]
	s_waitcnt lgkmcnt(0)
	s_barrier
	s_and_saveexec_b64 s[10:11], s[6:7]
	s_cbranch_execz .LBB54_24
; %bb.23:                               ;   in Loop: Header=BB54_12 Depth=1
	ds_read2_b32 v[2:3], v6 offset1:4
	ds_read2_b32 v[4:5], v6 offset0:8 offset1:12
	s_waitcnt lgkmcnt(0)
	v_add_u32_e32 v3, v4, v3
	v_add3_u32 v2, v3, v5, v2
	ds_write_b32 v6, v2
.LBB54_24:                              ;   in Loop: Header=BB54_12 Depth=1
	s_or_b64 exec, exec, s[10:11]
	s_waitcnt lgkmcnt(0)
	s_barrier
	s_and_saveexec_b64 s[10:11], s[8:9]
	s_cbranch_execz .LBB54_26
; %bb.25:                               ;   in Loop: Header=BB54_12 Depth=1
	ds_read2_b32 v[2:3], v7 offset0:1 offset1:2
	ds_read_b32 v4, v7 offset:12
	ds_read_b32 v5, v6
	s_waitcnt lgkmcnt(2)
	v_add_u32_e32 v2, v3, v2
	s_waitcnt lgkmcnt(1)
	v_add_u32_e32 v2, v2, v4
	;; [unrolled: 2-line block ×3, first 2 shown]
	ds_write_b32 v6, v2
.LBB54_26:                              ;   in Loop: Header=BB54_12 Depth=1
	s_or_b64 exec, exec, s[10:11]
	s_waitcnt lgkmcnt(0)
	s_barrier
	s_and_saveexec_b64 s[10:11], s[8:9]
	s_cbranch_execz .LBB54_11
; %bb.27:                               ;   in Loop: Header=BB54_12 Depth=1
	s_mov_b64 s[30:31], exec
	v_mbcnt_lo_u32_b32 v2, s30, 0
	v_mbcnt_hi_u32_b32 v2, s31, v2
	v_cmp_eq_u32_e32 vcc, 0, v2
	s_and_b64 s[34:35], exec, vcc
	s_mov_b64 exec, s[34:35]
	s_cbranch_execz .LBB54_11
; %bb.28:                               ;   in Loop: Header=BB54_12 Depth=1
	ds_read_b32 v2, v7
	s_lshl_b64 s[34:35], s[28:29], 2
	s_add_u32 s34, s26, s34
	s_addc_u32 s35, s27, s35
	s_bcnt1_i32_b64 s30, s[30:31]
	s_waitcnt lgkmcnt(0)
	v_mul_lo_u32 v2, v2, s25
	v_mul_lo_u32 v2, v2, s30
	global_atomic_add v7, v2, s[34:35]
	s_branch .LBB54_11
.LBB54_29:
	s_lshl_b64 s[0:1], s[20:21], 3
	s_add_u32 s0, s12, s0
	s_addc_u32 s1, s13, s1
	s_lshl_b64 s[2:3], s[22:23], 3
	s_add_u32 s2, s12, s2
	s_addc_u32 s3, s13, s3
	s_load_dwordx2 s[6:7], s[0:1], 0x0
	s_load_dwordx2 s[4:5], s[2:3], 0x0
	s_waitcnt lgkmcnt(0)
	v_mov_b32_e32 v1, s7
	s_sub_u32 s4, s4, s24
	v_add_co_u32_e32 v0, vcc, s6, v8
	s_subb_u32 s5, s5, 0
	v_addc_co_u32_e32 v1, vcc, v1, v9, vcc
	v_cmp_gt_i64_e32 vcc, s[4:5], v[0:1]
	s_and_saveexec_b64 s[0:1], vcc
	s_cbranch_execz .LBB54_38
; %bb.30:
	s_add_u32 s6, s22, -1
	s_addc_u32 s7, s23, -1
	v_mov_b32_e32 v2, s6
	s_add_u32 s0, s22, -2
	v_mov_b32_e32 v3, s7
	s_addc_u32 s1, s23, -1
	v_cmp_lt_i64_e32 vcc, s[20:21], v[2:3]
	s_cmp_lg_u64 s[20:21], s[0:1]
	s_cselect_b64 s[0:1], -1, 0
	s_and_b64 s[0:1], vcc, s[0:1]
	v_cndmask_b32_e64 v2, 0, 1, s[0:1]
	s_mov_b64 s[8:9], 0
	v_cmp_ne_u32_e64 s[0:1], 1, v2
	v_mov_b32_e32 v6, s13
	v_mov_b32_e32 v7, s15
	s_branch .LBB54_32
.LBB54_31:                              ;   in Loop: Header=BB54_32 Depth=1
	s_or_b64 exec, exec, s[2:3]
	v_add_co_u32_e32 v0, vcc, 0x100, v0
	v_addc_co_u32_e32 v1, vcc, 0, v1, vcc
	v_cmp_le_i64_e32 vcc, s[4:5], v[0:1]
	s_or_b64 s[8:9], vcc, s[8:9]
	s_andn2_b64 exec, exec, s[8:9]
	s_cbranch_execz .LBB54_38
.LBB54_32:                              ; =>This Loop Header: Depth=1
                                        ;     Child Loop BB54_34 Depth 2
	v_mov_b32_e32 v2, s20
	v_mov_b32_e32 v4, s6
	s_and_b64 vcc, exec, s[0:1]
	v_mov_b32_e32 v3, s21
	v_mov_b32_e32 v5, s7
	s_cbranch_vccnz .LBB54_36
; %bb.33:                               ;   in Loop: Header=BB54_32 Depth=1
	v_mov_b32_e32 v2, s20
	v_mov_b32_e32 v4, s6
	s_mov_b64 s[10:11], 0
	v_mov_b32_e32 v3, s21
	v_mov_b32_e32 v5, s7
.LBB54_34:                              ;   Parent Loop BB54_32 Depth=1
                                        ; =>  This Inner Loop Header: Depth=2
	v_add_co_u32_e32 v8, vcc, v4, v2
	v_addc_co_u32_e32 v9, vcc, v5, v3, vcc
	v_lshrrev_b32_e32 v10, 31, v9
	v_add_co_u32_e32 v8, vcc, v8, v10
	v_addc_co_u32_e32 v9, vcc, 0, v9, vcc
	v_ashrrev_i64 v[8:9], 1, v[8:9]
	v_mov_b32_e32 v12, s13
	v_lshlrev_b64 v[10:11], 3, v[8:9]
	v_add_co_u32_e32 v10, vcc, s12, v10
	v_addc_co_u32_e32 v11, vcc, v12, v11, vcc
	global_load_dwordx2 v[10:11], v[10:11], off
	s_waitcnt vmcnt(0)
	v_subrev_co_u32_e32 v10, vcc, s24, v10
	v_subbrev_co_u32_e32 v11, vcc, 0, v11, vcc
	v_cmp_lt_i64_e32 vcc, v[0:1], v[10:11]
	v_cndmask_b32_e32 v4, v4, v8, vcc
	v_cndmask_b32_e32 v5, v5, v9, vcc
	;; [unrolled: 1-line block ×3, first 2 shown]
	v_add_co_u32_e64 v8, s[2:3], -1, v4
	v_cndmask_b32_e32 v3, v9, v3, vcc
	v_addc_co_u32_e64 v9, s[2:3], -1, v5, s[2:3]
	v_cmp_ge_i64_e32 vcc, v[2:3], v[4:5]
	v_cmp_eq_u64_e64 s[2:3], v[2:3], v[8:9]
	s_or_b64 s[2:3], vcc, s[2:3]
	s_and_b64 s[2:3], exec, s[2:3]
	s_or_b64 s[10:11], s[2:3], s[10:11]
	s_andn2_b64 exec, exec, s[10:11]
	s_cbranch_execnz .LBB54_34
; %bb.35:                               ;   in Loop: Header=BB54_32 Depth=1
	s_or_b64 exec, exec, s[10:11]
.LBB54_36:                              ;   in Loop: Header=BB54_32 Depth=1
	v_lshlrev_b64 v[8:9], 3, v[4:5]
	v_lshlrev_b64 v[10:11], 3, v[0:1]
	v_add_co_u32_e32 v8, vcc, s12, v8
	v_addc_co_u32_e32 v9, vcc, v6, v9, vcc
	global_load_dwordx2 v[8:9], v[8:9], off
	v_add_co_u32_e32 v10, vcc, s14, v10
	v_addc_co_u32_e32 v11, vcc, v7, v11, vcc
	global_load_dwordx2 v[10:11], v[10:11], off
	s_waitcnt vmcnt(1)
	v_subrev_co_u32_e32 v8, vcc, s24, v8
	v_subbrev_co_u32_e32 v9, vcc, 0, v9, vcc
	v_cmp_lt_i64_e32 vcc, v[0:1], v[8:9]
	v_cndmask_b32_e32 v5, v5, v3, vcc
	v_cndmask_b32_e32 v4, v4, v2, vcc
	s_waitcnt vmcnt(0)
	v_subrev_co_u32_e32 v2, vcc, s24, v10
	v_subbrev_co_u32_e32 v3, vcc, 0, v11, vcc
	v_cmp_ne_u64_e32 vcc, v[2:3], v[4:5]
	s_and_saveexec_b64 s[2:3], vcc
	s_cbranch_execz .LBB54_31
; %bb.37:                               ;   in Loop: Header=BB54_32 Depth=1
	v_mov_b32_e32 v9, s17
	v_add_co_u32_e32 v8, vcc, s16, v0
	v_addc_co_u32_e32 v9, vcc, v9, v1, vcc
	global_load_sbyte v8, v[8:9], off
	v_mov_b32_e32 v9, s19
	v_add_co_u32_e32 v4, vcc, s18, v4
	v_addc_co_u32_e32 v5, vcc, v9, v5, vcc
	global_load_sbyte v4, v[4:5], off
	v_lshlrev_b64 v[2:3], 2, v[2:3]
	v_add_co_u32_e32 v2, vcc, s26, v2
	s_waitcnt vmcnt(1)
	v_mul_lo_u32 v5, s25, v8
	v_mov_b32_e32 v8, s27
	v_addc_co_u32_e32 v3, vcc, v8, v3, vcc
	s_waitcnt vmcnt(0)
	v_mul_lo_u32 v4, v5, v4
	global_atomic_add v[2:3], v4, off
	s_branch .LBB54_31
.LBB54_38:
	s_endpgm
	.section	.rodata,"a",@progbits
	.p2align	6, 0x0
	.amdhsa_kernel _ZL33csrmvn_symm_large_adaptive_kernelIllaaiiEvbT_PKS0_N9rocsparse24const_host_device_scalarIT4_EES2_PKT0_PKT1_PKT2_S6_PT3_21rocsparse_index_base_b
		.amdhsa_group_segment_fixed_size 4096
		.amdhsa_private_segment_fixed_size 0
		.amdhsa_kernarg_size 88
		.amdhsa_user_sgpr_count 6
		.amdhsa_user_sgpr_private_segment_buffer 1
		.amdhsa_user_sgpr_dispatch_ptr 0
		.amdhsa_user_sgpr_queue_ptr 0
		.amdhsa_user_sgpr_kernarg_segment_ptr 1
		.amdhsa_user_sgpr_dispatch_id 0
		.amdhsa_user_sgpr_flat_scratch_init 0
		.amdhsa_user_sgpr_private_segment_size 0
		.amdhsa_uses_dynamic_stack 0
		.amdhsa_system_sgpr_private_segment_wavefront_offset 0
		.amdhsa_system_sgpr_workgroup_id_x 1
		.amdhsa_system_sgpr_workgroup_id_y 0
		.amdhsa_system_sgpr_workgroup_id_z 0
		.amdhsa_system_sgpr_workgroup_info 0
		.amdhsa_system_vgpr_workitem_id 0
		.amdhsa_next_free_vgpr 16
		.amdhsa_next_free_sgpr 40
		.amdhsa_reserve_vcc 1
		.amdhsa_reserve_flat_scratch 0
		.amdhsa_float_round_mode_32 0
		.amdhsa_float_round_mode_16_64 0
		.amdhsa_float_denorm_mode_32 3
		.amdhsa_float_denorm_mode_16_64 3
		.amdhsa_dx10_clamp 1
		.amdhsa_ieee_mode 1
		.amdhsa_fp16_overflow 0
		.amdhsa_exception_fp_ieee_invalid_op 0
		.amdhsa_exception_fp_denorm_src 0
		.amdhsa_exception_fp_ieee_div_zero 0
		.amdhsa_exception_fp_ieee_overflow 0
		.amdhsa_exception_fp_ieee_underflow 0
		.amdhsa_exception_fp_ieee_inexact 0
		.amdhsa_exception_int_div_zero 0
	.end_amdhsa_kernel
	.section	.text._ZL33csrmvn_symm_large_adaptive_kernelIllaaiiEvbT_PKS0_N9rocsparse24const_host_device_scalarIT4_EES2_PKT0_PKT1_PKT2_S6_PT3_21rocsparse_index_base_b,"axG",@progbits,_ZL33csrmvn_symm_large_adaptive_kernelIllaaiiEvbT_PKS0_N9rocsparse24const_host_device_scalarIT4_EES2_PKT0_PKT1_PKT2_S6_PT3_21rocsparse_index_base_b,comdat
.Lfunc_end54:
	.size	_ZL33csrmvn_symm_large_adaptive_kernelIllaaiiEvbT_PKS0_N9rocsparse24const_host_device_scalarIT4_EES2_PKT0_PKT1_PKT2_S6_PT3_21rocsparse_index_base_b, .Lfunc_end54-_ZL33csrmvn_symm_large_adaptive_kernelIllaaiiEvbT_PKS0_N9rocsparse24const_host_device_scalarIT4_EES2_PKT0_PKT1_PKT2_S6_PT3_21rocsparse_index_base_b
                                        ; -- End function
	.set _ZL33csrmvn_symm_large_adaptive_kernelIllaaiiEvbT_PKS0_N9rocsparse24const_host_device_scalarIT4_EES2_PKT0_PKT1_PKT2_S6_PT3_21rocsparse_index_base_b.num_vgpr, 16
	.set _ZL33csrmvn_symm_large_adaptive_kernelIllaaiiEvbT_PKS0_N9rocsparse24const_host_device_scalarIT4_EES2_PKT0_PKT1_PKT2_S6_PT3_21rocsparse_index_base_b.num_agpr, 0
	.set _ZL33csrmvn_symm_large_adaptive_kernelIllaaiiEvbT_PKS0_N9rocsparse24const_host_device_scalarIT4_EES2_PKT0_PKT1_PKT2_S6_PT3_21rocsparse_index_base_b.numbered_sgpr, 40
	.set _ZL33csrmvn_symm_large_adaptive_kernelIllaaiiEvbT_PKS0_N9rocsparse24const_host_device_scalarIT4_EES2_PKT0_PKT1_PKT2_S6_PT3_21rocsparse_index_base_b.num_named_barrier, 0
	.set _ZL33csrmvn_symm_large_adaptive_kernelIllaaiiEvbT_PKS0_N9rocsparse24const_host_device_scalarIT4_EES2_PKT0_PKT1_PKT2_S6_PT3_21rocsparse_index_base_b.private_seg_size, 0
	.set _ZL33csrmvn_symm_large_adaptive_kernelIllaaiiEvbT_PKS0_N9rocsparse24const_host_device_scalarIT4_EES2_PKT0_PKT1_PKT2_S6_PT3_21rocsparse_index_base_b.uses_vcc, 1
	.set _ZL33csrmvn_symm_large_adaptive_kernelIllaaiiEvbT_PKS0_N9rocsparse24const_host_device_scalarIT4_EES2_PKT0_PKT1_PKT2_S6_PT3_21rocsparse_index_base_b.uses_flat_scratch, 0
	.set _ZL33csrmvn_symm_large_adaptive_kernelIllaaiiEvbT_PKS0_N9rocsparse24const_host_device_scalarIT4_EES2_PKT0_PKT1_PKT2_S6_PT3_21rocsparse_index_base_b.has_dyn_sized_stack, 0
	.set _ZL33csrmvn_symm_large_adaptive_kernelIllaaiiEvbT_PKS0_N9rocsparse24const_host_device_scalarIT4_EES2_PKT0_PKT1_PKT2_S6_PT3_21rocsparse_index_base_b.has_recursion, 0
	.set _ZL33csrmvn_symm_large_adaptive_kernelIllaaiiEvbT_PKS0_N9rocsparse24const_host_device_scalarIT4_EES2_PKT0_PKT1_PKT2_S6_PT3_21rocsparse_index_base_b.has_indirect_call, 0
	.section	.AMDGPU.csdata,"",@progbits
; Kernel info:
; codeLenInByte = 1568
; TotalNumSgprs: 44
; NumVgprs: 16
; ScratchSize: 0
; MemoryBound: 0
; FloatMode: 240
; IeeeMode: 1
; LDSByteSize: 4096 bytes/workgroup (compile time only)
; SGPRBlocks: 5
; VGPRBlocks: 3
; NumSGPRsForWavesPerEU: 44
; NumVGPRsForWavesPerEU: 16
; Occupancy: 10
; WaveLimiterHint : 1
; COMPUTE_PGM_RSRC2:SCRATCH_EN: 0
; COMPUTE_PGM_RSRC2:USER_SGPR: 6
; COMPUTE_PGM_RSRC2:TRAP_HANDLER: 0
; COMPUTE_PGM_RSRC2:TGID_X_EN: 1
; COMPUTE_PGM_RSRC2:TGID_Y_EN: 0
; COMPUTE_PGM_RSRC2:TGID_Z_EN: 0
; COMPUTE_PGM_RSRC2:TIDIG_COMP_CNT: 0
	.section	.text._ZN9rocsparseL22csrmvn_adaptive_kernelIiiaaffEEvbT_PKS1_PjPKT0_NS_24const_host_device_scalarIT4_EES3_S7_PKT1_PKT2_SA_PT3_21rocsparse_index_base_b,"axG",@progbits,_ZN9rocsparseL22csrmvn_adaptive_kernelIiiaaffEEvbT_PKS1_PjPKT0_NS_24const_host_device_scalarIT4_EES3_S7_PKT1_PKT2_SA_PT3_21rocsparse_index_base_b,comdat
	.globl	_ZN9rocsparseL22csrmvn_adaptive_kernelIiiaaffEEvbT_PKS1_PjPKT0_NS_24const_host_device_scalarIT4_EES3_S7_PKT1_PKT2_SA_PT3_21rocsparse_index_base_b ; -- Begin function _ZN9rocsparseL22csrmvn_adaptive_kernelIiiaaffEEvbT_PKS1_PjPKT0_NS_24const_host_device_scalarIT4_EES3_S7_PKT1_PKT2_SA_PT3_21rocsparse_index_base_b
	.p2align	8
	.type	_ZN9rocsparseL22csrmvn_adaptive_kernelIiiaaffEEvbT_PKS1_PjPKT0_NS_24const_host_device_scalarIT4_EES3_S7_PKT1_PKT2_SA_PT3_21rocsparse_index_base_b,@function
_ZN9rocsparseL22csrmvn_adaptive_kernelIiiaaffEEvbT_PKS1_PjPKT0_NS_24const_host_device_scalarIT4_EES3_S7_PKT1_PKT2_SA_PT3_21rocsparse_index_base_b: ; @_ZN9rocsparseL22csrmvn_adaptive_kernelIiiaaffEEvbT_PKS1_PjPKT0_NS_24const_host_device_scalarIT4_EES3_S7_PKT1_PKT2_SA_PT3_21rocsparse_index_base_b
; %bb.0:
	s_load_dwordx2 s[44:45], s[4:5], 0x58
	s_load_dwordx2 s[42:43], s[4:5], 0x20
	;; [unrolled: 1-line block ×3, first 2 shown]
	s_waitcnt lgkmcnt(0)
	s_bitcmp1_b32 s45, 0
	s_cselect_b64 s[2:3], -1, 0
	s_xor_b64 s[0:1], s[2:3], -1
	s_and_b64 vcc, exec, s[2:3]
	s_cbranch_vccnz .LBB55_2
; %bb.1:
	s_load_dword s42, s[42:43], 0x0
.LBB55_2:
	s_andn2_b64 vcc, exec, s[0:1]
	s_cbranch_vccnz .LBB55_4
; %bb.3:
	s_load_dword s34, s[34:35], 0x0
.LBB55_4:
	s_waitcnt lgkmcnt(0)
	v_cmp_neq_f32_e64 s[0:1], s42, 0
	v_cmp_neq_f32_e64 s[2:3], s34, 1.0
	s_or_b64 s[0:1], s[0:1], s[2:3]
	s_andn2_b64 vcc, exec, s[0:1]
	s_cbranch_vccnz .LBB55_115
; %bb.5:
	s_load_dwordx2 s[0:1], s[4:5], 0x8
	s_load_dwordx2 s[8:9], s[4:5], 0x18
	s_ashr_i32 s7, s6, 31
	s_lshl_b64 s[48:49], s[6:7], 2
	s_waitcnt lgkmcnt(0)
	s_add_u32 s0, s0, s48
	s_addc_u32 s1, s1, s49
	s_load_dwordx2 s[38:39], s[0:1], 0x0
	s_load_dwordx2 s[36:37], s[4:5], 0x50
	s_load_dwordx8 s[24:31], s[4:5], 0x28
	s_waitcnt lgkmcnt(0)
	s_sub_i32 s2, s39, s38
	s_add_u32 s8, s8, s48
	s_mov_b32 s0, s38
	s_addc_u32 s9, s9, s49
	s_ashr_i32 s1, s38, 31
	s_lshl_b64 s[46:47], s[0:1], 2
	s_add_u32 s40, s24, s46
	s_addc_u32 s41, s25, s47
	s_load_dword s33, s[8:9], 0x0
	s_load_dword s35, s[40:41], 0x0
	s_cmp_lt_i32 s2, 2
	s_mov_b64 s[0:1], -1
	s_cbranch_scc0 .LBB55_71
; %bb.6:
	s_cmp_lg_u32 s2, 1
	s_cselect_b64 s[0:1], -1, 0
	s_waitcnt lgkmcnt(0)
	s_cmp_lg_u32 s33, 0
	s_cselect_b64 s[2:3], -1, 0
	s_or_b64 s[0:1], s[0:1], s[2:3]
	s_mov_b64 s[18:19], -1
	s_and_b64 vcc, exec, s[0:1]
	v_cmp_gt_u32_e64 s[0:1], 64, v0
	v_cmp_gt_u32_e64 s[2:3], 32, v0
	;; [unrolled: 1-line block ×6, first 2 shown]
	v_cmp_eq_u32_e64 s[16:17], 0, v0
	s_cbranch_vccnz .LBB55_34
; %bb.7:
	v_cmp_neq_f32_e64 s[20:21], s34, 0
	s_movk_i32 s7, 0x80
	v_cndmask_b32_e64 v1, 0, 1, s[20:21]
	v_subrev_u32_e32 v7, s44, v0
	v_lshlrev_b32_e32 v8, 2, v0
	v_cmp_gt_u32_e64 s[18:19], s7, v0
	v_mov_b32_e32 v9, 0
	v_cmp_ne_u32_e64 s[20:21], 1, v1
	s_mov_b32 s50, s38
	s_branch .LBB55_10
.LBB55_8:                               ;   in Loop: Header=BB55_10 Depth=1
	s_add_u32 s52, s36, s52
	s_addc_u32 s53, s37, s53
	s_waitcnt lgkmcnt(0)
	global_store_dword v9, v1, s[52:53]
.LBB55_9:                               ;   in Loop: Header=BB55_10 Depth=1
	s_or_b64 exec, exec, s[22:23]
	s_add_i32 s50, s50, 1
	s_cmp_ge_i32 s50, s39
	s_cbranch_scc1 .LBB55_33
.LBB55_10:                              ; =>This Loop Header: Depth=1
                                        ;     Child Loop BB55_12 Depth 2
	s_ashr_i32 s51, s50, 31
	s_lshl_b64 s[52:53], s[50:51], 2
	s_add_u32 s22, s24, s52
	s_addc_u32 s23, s25, s53
	s_load_dwordx2 s[54:55], s[22:23], 0x0
	v_mov_b32_e32 v2, 0
	s_waitcnt lgkmcnt(0)
	s_sub_i32 s7, s55, s44
	v_add_u32_e32 v1, s54, v7
	v_cmp_gt_i32_e32 vcc, s7, v1
	s_and_saveexec_b64 s[54:55], vcc
	s_cbranch_execz .LBB55_14
; %bb.11:                               ;   in Loop: Header=BB55_10 Depth=1
	v_ashrrev_i32_e32 v2, 31, v1
	v_mov_b32_e32 v4, s29
	v_add_co_u32_e32 v3, vcc, s28, v1
	v_lshlrev_b64 v[5:6], 2, v[1:2]
	v_addc_co_u32_e32 v4, vcc, v4, v2, vcc
	v_mov_b32_e32 v2, s27
	v_add_co_u32_e32 v5, vcc, s26, v5
	v_addc_co_u32_e32 v6, vcc, v2, v6, vcc
	v_mov_b32_e32 v2, 0
	s_mov_b64 s[56:57], 0
.LBB55_12:                              ;   Parent Loop BB55_10 Depth=1
                                        ; =>  This Inner Loop Header: Depth=2
	global_load_dword v10, v[5:6], off
	global_load_sbyte v12, v[3:4], off
	v_mov_b32_e32 v11, s31
	v_add_u32_e32 v1, 0x100, v1
	v_cmp_le_i32_e64 s[22:23], s7, v1
	s_or_b64 s[56:57], s[22:23], s[56:57]
	s_waitcnt vmcnt(1)
	v_subrev_u32_e32 v10, s44, v10
	v_ashrrev_i32_e32 v13, 31, v10
	v_add_co_u32_e32 v10, vcc, s30, v10
	v_addc_co_u32_e32 v11, vcc, v11, v13, vcc
	global_load_sbyte v10, v[10:11], off
	s_waitcnt vmcnt(1)
	v_cvt_f32_i32_e32 v11, v12
	v_add_co_u32_e32 v3, vcc, 0x100, v3
	v_addc_co_u32_e32 v4, vcc, 0, v4, vcc
	v_add_co_u32_e32 v5, vcc, 0x400, v5
	v_mul_f32_e32 v11, s42, v11
	v_addc_co_u32_e32 v6, vcc, 0, v6, vcc
	s_waitcnt vmcnt(0)
	v_cvt_f32_i32_e32 v10, v10
	v_fmac_f32_e32 v2, v11, v10
	s_andn2_b64 exec, exec, s[56:57]
	s_cbranch_execnz .LBB55_12
; %bb.13:                               ;   in Loop: Header=BB55_10 Depth=1
	s_or_b64 exec, exec, s[56:57]
.LBB55_14:                              ;   in Loop: Header=BB55_10 Depth=1
	s_or_b64 exec, exec, s[54:55]
	ds_write_b32 v8, v2
	s_waitcnt vmcnt(0) lgkmcnt(0)
	s_barrier
	s_and_saveexec_b64 s[22:23], s[18:19]
	s_cbranch_execz .LBB55_16
; %bb.15:                               ;   in Loop: Header=BB55_10 Depth=1
	ds_read2st64_b32 v[1:2], v8 offset1:2
	s_waitcnt lgkmcnt(0)
	v_add_f32_e32 v1, v1, v2
	ds_write_b32 v8, v1
.LBB55_16:                              ;   in Loop: Header=BB55_10 Depth=1
	s_or_b64 exec, exec, s[22:23]
	s_waitcnt lgkmcnt(0)
	s_barrier
	s_and_saveexec_b64 s[22:23], s[0:1]
	s_cbranch_execz .LBB55_18
; %bb.17:                               ;   in Loop: Header=BB55_10 Depth=1
	ds_read2st64_b32 v[1:2], v8 offset1:1
	s_waitcnt lgkmcnt(0)
	v_add_f32_e32 v1, v1, v2
	ds_write_b32 v8, v1
.LBB55_18:                              ;   in Loop: Header=BB55_10 Depth=1
	s_or_b64 exec, exec, s[22:23]
	s_waitcnt lgkmcnt(0)
	s_barrier
	s_and_saveexec_b64 s[22:23], s[2:3]
	s_cbranch_execz .LBB55_20
; %bb.19:                               ;   in Loop: Header=BB55_10 Depth=1
	ds_read2_b32 v[1:2], v8 offset1:32
	s_waitcnt lgkmcnt(0)
	v_add_f32_e32 v1, v1, v2
	ds_write_b32 v8, v1
.LBB55_20:                              ;   in Loop: Header=BB55_10 Depth=1
	s_or_b64 exec, exec, s[22:23]
	s_waitcnt lgkmcnt(0)
	s_barrier
	s_and_saveexec_b64 s[22:23], s[8:9]
	s_cbranch_execz .LBB55_22
; %bb.21:                               ;   in Loop: Header=BB55_10 Depth=1
	ds_read2_b32 v[1:2], v8 offset1:16
	s_waitcnt lgkmcnt(0)
	v_add_f32_e32 v1, v1, v2
	ds_write_b32 v8, v1
.LBB55_22:                              ;   in Loop: Header=BB55_10 Depth=1
	;; [unrolled: 11-line block ×5, first 2 shown]
	s_or_b64 exec, exec, s[22:23]
	s_waitcnt lgkmcnt(0)
	s_barrier
	s_and_saveexec_b64 s[22:23], s[16:17]
	s_cbranch_execz .LBB55_30
; %bb.29:                               ;   in Loop: Header=BB55_10 Depth=1
	ds_read_b64 v[1:2], v9
	s_waitcnt lgkmcnt(0)
	v_add_f32_e32 v1, v1, v2
	ds_write_b32 v9, v1
.LBB55_30:                              ;   in Loop: Header=BB55_10 Depth=1
	s_or_b64 exec, exec, s[22:23]
	s_waitcnt lgkmcnt(0)
	s_barrier
	s_and_saveexec_b64 s[22:23], s[16:17]
	s_cbranch_execz .LBB55_9
; %bb.31:                               ;   in Loop: Header=BB55_10 Depth=1
	ds_read_b32 v1, v9
	s_and_b64 vcc, exec, s[20:21]
	s_cbranch_vccnz .LBB55_8
; %bb.32:                               ;   in Loop: Header=BB55_10 Depth=1
	s_add_u32 s54, s36, s52
	s_addc_u32 s55, s37, s53
	global_load_dword v2, v9, s[54:55]
	s_waitcnt vmcnt(0) lgkmcnt(0)
	v_fmac_f32_e32 v1, s34, v2
	s_branch .LBB55_8
.LBB55_33:
	s_mov_b64 s[18:19], 0
.LBB55_34:
	s_and_b64 vcc, exec, s[18:19]
	s_cbranch_vccz .LBB55_70
; %bb.35:
	s_load_dwordx2 s[8:9], s[4:5], 0x10
	s_sub_i32 s6, s6, s33
	v_mov_b32_e32 v8, 0
	v_or_b32_e32 v1, s33, v0
	v_cmp_eq_u32_e32 vcc, 0, v1
	s_waitcnt lgkmcnt(0)
	s_add_u32 s2, s8, s48
	s_addc_u32 s3, s9, s49
	global_load_dword v7, v8, s[2:3]
	s_and_saveexec_b64 s[0:1], vcc
	s_cbranch_execz .LBB55_39
; %bb.36:
	s_add_u32 s12, s36, s46
	s_addc_u32 s13, s37, s47
	v_mov_b32_e32 v3, 0
	global_load_dword v1, v3, s[12:13]
	s_mov_b64 s[10:11], exec
	v_mbcnt_lo_u32_b32 v4, s10, 0
	v_mbcnt_hi_u32_b32 v4, s11, v4
	v_add_f32_e64 v2, s34, -1.0
	v_cmp_eq_u32_e32 vcc, 0, v4
	s_waitcnt vmcnt(0) expcnt(0) lgkmcnt(0)
	s_and_saveexec_b64 s[12:13], vcc
	s_cbranch_execz .LBB55_38
; %bb.37:
	s_ashr_i32 s7, s6, 31
	s_lshl_b64 s[14:15], s[6:7], 2
	s_add_u32 s14, s8, s14
	s_addc_u32 s15, s9, s15
	s_bcnt1_i32_b64 s7, s[10:11]
	s_and_b32 s7, s7, 1
	v_mov_b32_e32 v4, s7
	global_atomic_xor v3, v4, s[14:15]
.LBB55_38:
	s_or_b64 exec, exec, s[12:13]
	v_mul_f32_e32 v8, v2, v1
.LBB55_39:
	s_or_b64 exec, exec, s[0:1]
	s_load_dword s1, s[40:41], 0x4
	s_mul_i32 s0, s33, 0xc00
	s_sub_i32 s7, s35, s44
	s_add_i32 s0, s7, s0
	v_add_u32_e32 v1, s0, v0
	s_waitcnt lgkmcnt(0)
	s_sub_i32 s1, s1, s44
	v_cmp_gt_i32_e32 vcc, s1, v1
	s_and_saveexec_b64 s[10:11], vcc
	s_cbranch_execz .LBB55_43
; %bb.40:
	v_ashrrev_i32_e32 v2, 31, v1
	v_mov_b32_e32 v4, s29
	v_add_co_u32_e32 v3, vcc, s28, v1
	v_lshlrev_b64 v[5:6], 2, v[1:2]
	v_addc_co_u32_e32 v4, vcc, v4, v2, vcc
	s_addk_i32 s0, 0xc00
	v_mov_b32_e32 v2, s27
	v_add_co_u32_e32 v5, vcc, s26, v5
	s_min_i32 s7, s0, s1
	v_addc_co_u32_e32 v6, vcc, v2, v6, vcc
	s_mov_b64 s[12:13], 0
	v_mov_b32_e32 v2, s31
.LBB55_41:                              ; =>This Inner Loop Header: Depth=1
	global_load_dword v9, v[5:6], off
	global_load_sbyte v11, v[3:4], off
	v_add_u32_e32 v1, 0x100, v1
	v_cmp_le_i32_e64 s[0:1], s7, v1
	s_or_b64 s[12:13], s[0:1], s[12:13]
	s_waitcnt vmcnt(1)
	v_subrev_u32_e32 v9, s44, v9
	v_ashrrev_i32_e32 v10, 31, v9
	v_add_co_u32_e32 v9, vcc, s30, v9
	v_addc_co_u32_e32 v10, vcc, v2, v10, vcc
	global_load_sbyte v9, v[9:10], off
	s_waitcnt vmcnt(1)
	v_cvt_f32_i32_e32 v10, v11
	v_add_co_u32_e32 v3, vcc, 0x100, v3
	v_addc_co_u32_e32 v4, vcc, 0, v4, vcc
	v_add_co_u32_e32 v5, vcc, 0x400, v5
	v_mul_f32_e32 v10, s42, v10
	v_addc_co_u32_e32 v6, vcc, 0, v6, vcc
	s_waitcnt vmcnt(0)
	v_cvt_f32_i32_e32 v9, v9
	v_fmac_f32_e32 v8, v10, v9
	s_andn2_b64 exec, exec, s[12:13]
	s_cbranch_execnz .LBB55_41
; %bb.42:
	s_or_b64 exec, exec, s[12:13]
.LBB55_43:
	s_or_b64 exec, exec, s[10:11]
	s_movk_i32 s0, 0x80
	v_lshlrev_b32_e32 v1, 2, v0
	v_cmp_gt_u32_e32 vcc, s0, v0
	ds_write_b32 v1, v8
	s_waitcnt vmcnt(0) lgkmcnt(0)
	s_barrier
	s_and_saveexec_b64 s[0:1], vcc
	s_cbranch_execz .LBB55_45
; %bb.44:
	ds_read2st64_b32 v[2:3], v1 offset1:2
	s_waitcnt lgkmcnt(0)
	v_add_f32_e32 v2, v2, v3
	ds_write_b32 v1, v2
.LBB55_45:
	s_or_b64 exec, exec, s[0:1]
	v_cmp_gt_u32_e32 vcc, 64, v0
	s_waitcnt lgkmcnt(0)
	s_barrier
	s_and_saveexec_b64 s[0:1], vcc
	s_cbranch_execz .LBB55_47
; %bb.46:
	ds_read2st64_b32 v[2:3], v1 offset1:1
	s_waitcnt lgkmcnt(0)
	v_add_f32_e32 v2, v2, v3
	ds_write_b32 v1, v2
.LBB55_47:
	s_or_b64 exec, exec, s[0:1]
	v_cmp_gt_u32_e32 vcc, 32, v0
	s_waitcnt lgkmcnt(0)
	s_barrier
	s_and_saveexec_b64 s[0:1], vcc
	s_cbranch_execz .LBB55_49
; %bb.48:
	ds_read2_b32 v[2:3], v1 offset1:32
	s_waitcnt lgkmcnt(0)
	v_add_f32_e32 v2, v2, v3
	ds_write_b32 v1, v2
.LBB55_49:
	s_or_b64 exec, exec, s[0:1]
	v_cmp_gt_u32_e32 vcc, 16, v0
	s_waitcnt lgkmcnt(0)
	s_barrier
	s_and_saveexec_b64 s[0:1], vcc
	s_cbranch_execz .LBB55_51
; %bb.50:
	ds_read2_b32 v[2:3], v1 offset1:16
	s_waitcnt lgkmcnt(0)
	v_add_f32_e32 v2, v2, v3
	ds_write_b32 v1, v2
.LBB55_51:
	s_or_b64 exec, exec, s[0:1]
	v_cmp_gt_u32_e32 vcc, 8, v0
	s_waitcnt lgkmcnt(0)
	s_barrier
	s_and_saveexec_b64 s[0:1], vcc
	s_cbranch_execz .LBB55_53
; %bb.52:
	ds_read2_b32 v[2:3], v1 offset1:8
	s_waitcnt lgkmcnt(0)
	v_add_f32_e32 v2, v2, v3
	ds_write_b32 v1, v2
.LBB55_53:
	s_or_b64 exec, exec, s[0:1]
	v_cmp_gt_u32_e32 vcc, 4, v0
	s_waitcnt lgkmcnt(0)
	s_barrier
	s_and_saveexec_b64 s[0:1], vcc
	s_cbranch_execz .LBB55_55
; %bb.54:
	ds_read2_b32 v[2:3], v1 offset1:4
	s_waitcnt lgkmcnt(0)
	v_add_f32_e32 v2, v2, v3
	ds_write_b32 v1, v2
.LBB55_55:
	s_or_b64 exec, exec, s[0:1]
	v_cmp_gt_u32_e32 vcc, 2, v0
	s_waitcnt lgkmcnt(0)
	s_barrier
	s_and_saveexec_b64 s[0:1], vcc
	s_cbranch_execz .LBB55_57
; %bb.56:
	ds_read2_b32 v[2:3], v1 offset1:2
	s_waitcnt lgkmcnt(0)
	v_add_f32_e32 v2, v2, v3
	ds_write_b32 v1, v2
.LBB55_57:
	s_or_b64 exec, exec, s[0:1]
	v_cmp_eq_u32_e32 vcc, 0, v0
	s_waitcnt lgkmcnt(0)
	s_barrier
	s_and_saveexec_b64 s[0:1], vcc
	s_cbranch_execz .LBB55_59
; %bb.58:
	v_mov_b32_e32 v3, 0
	ds_read_b64 v[1:2], v3
	s_waitcnt lgkmcnt(0)
	v_add_f32_e32 v1, v1, v2
	ds_write_b32 v3, v1
.LBB55_59:
	s_or_b64 exec, exec, s[0:1]
	s_waitcnt lgkmcnt(0)
	s_barrier
	s_and_saveexec_b64 s[0:1], vcc
	s_cbranch_execz .LBB55_69
; %bb.60:
	s_cmp_eq_u32 s33, 0
	s_cbranch_scc1 .LBB55_66
; %bb.61:
	s_ashr_i32 s7, s6, 31
	s_lshl_b64 s[6:7], s[6:7], 2
	s_add_u32 s6, s8, s6
	s_addc_u32 s7, s9, s7
	v_mov_b32_e32 v1, 0
	s_branch .LBB55_63
.LBB55_62:                              ;   in Loop: Header=BB55_63 Depth=1
	s_or_b64 exec, exec, s[8:9]
	s_waitcnt vmcnt(0)
	v_readfirstlane_b32 s8, v2
	v_cmp_eq_u32_e32 vcc, s8, v7
	s_cbranch_vccz .LBB55_65
.LBB55_63:                              ; =>This Inner Loop Header: Depth=1
	v_mbcnt_lo_u32_b32 v2, exec_lo, 0
	v_mbcnt_hi_u32_b32 v2, exec_hi, v2
	v_cmp_eq_u32_e32 vcc, 0, v2
                                        ; implicit-def: $vgpr2
	s_and_saveexec_b64 s[8:9], vcc
	s_cbranch_execz .LBB55_62
; %bb.64:                               ;   in Loop: Header=BB55_63 Depth=1
	global_load_dword v2, v1, s[6:7] glc
	s_branch .LBB55_62
.LBB55_65:
	v_mov_b32_e32 v1, 0
	global_load_ushort v2, v1, s[2:3]
	s_waitcnt vmcnt(0)
	v_xor_b32_e32 v2, 1, v2
	global_store_short v1, v2, s[2:3]
.LBB55_66:
	s_mov_b64 s[6:7], exec
	v_mbcnt_lo_u32_b32 v1, s6, 0
	v_mbcnt_hi_u32_b32 v1, s7, v1
	v_cmp_eq_u32_e32 vcc, 0, v1
	s_and_b64 s[2:3], exec, vcc
	s_mov_b64 exec, s[2:3]
	s_cbranch_execz .LBB55_69
; %bb.67:
	s_add_u32 s2, s36, s46
	s_addc_u32 s3, s37, s47
	v_mov_b32_e32 v3, 0
	global_load_dword v2, v3, s[2:3]
	ds_read_b32 v1, v3
	s_bcnt1_i32_b64 s6, s[6:7]
	v_cvt_f32_ubyte0_e32 v4, s6
	s_mov_b64 s[6:7], 0
	s_waitcnt lgkmcnt(0)
	v_mul_f32_e32 v4, v1, v4
.LBB55_68:                              ; =>This Inner Loop Header: Depth=1
	s_waitcnt vmcnt(0)
	v_add_f32_e32 v1, v2, v4
	global_atomic_cmpswap v1, v3, v[1:2], s[2:3] glc
	s_waitcnt vmcnt(0)
	v_cmp_eq_u32_e32 vcc, v1, v2
	s_or_b64 s[6:7], vcc, s[6:7]
	v_mov_b32_e32 v2, v1
	s_andn2_b64 exec, exec, s[6:7]
	s_cbranch_execnz .LBB55_68
.LBB55_69:
	s_or_b64 exec, exec, s[0:1]
.LBB55_70:
	s_mov_b64 s[0:1], 0
.LBB55_71:
	s_andn2_b64 vcc, exec, s[0:1]
	s_cbranch_vccnz .LBB55_115
; %bb.72:
	s_load_dword s0, s[4:5], 0x4
	v_subrev_u32_e32 v1, s44, v0
	s_waitcnt lgkmcnt(0)
	v_add_u32_e32 v1, s35, v1
	v_add_u32_e32 v2, 0x300, v1
	v_cmp_le_i32_e32 vcc, s0, v2
	s_and_saveexec_b64 s[0:1], vcc
	s_xor_b64 s[0:1], exec, s[0:1]
	s_cbranch_execz .LBB55_77
; %bb.73:
	s_ashr_i32 s3, s39, 31
	s_mov_b32 s2, s39
	s_lshl_b64 s[2:3], s[2:3], 2
	s_add_u32 s2, s24, s2
	s_addc_u32 s3, s25, s3
	s_load_dword s2, s[2:3], 0x0
	s_waitcnt lgkmcnt(0)
	s_sub_i32 s6, s2, s44
	v_cmp_gt_i32_e32 vcc, s6, v1
	s_and_saveexec_b64 s[2:3], vcc
	s_cbranch_execz .LBB55_76
; %bb.74:
	v_lshlrev_b32_e32 v3, 2, v0
	s_mov_b64 s[4:5], 0
	v_mov_b32_e32 v4, s29
	v_mov_b32_e32 v5, s27
	;; [unrolled: 1-line block ×3, first 2 shown]
.LBB55_75:                              ; =>This Inner Loop Header: Depth=1
	v_ashrrev_i32_e32 v2, 31, v1
	v_lshlrev_b64 v[7:8], 2, v[1:2]
	v_add_co_u32_e32 v7, vcc, s26, v7
	v_addc_co_u32_e32 v8, vcc, v5, v8, vcc
	global_load_dword v9, v[7:8], off
	v_add_co_u32_e32 v7, vcc, s28, v1
	v_addc_co_u32_e32 v8, vcc, v4, v2, vcc
	global_load_sbyte v2, v[7:8], off
	v_add_u32_e32 v1, 0x100, v1
	s_waitcnt vmcnt(1)
	v_subrev_u32_e32 v7, s44, v9
	v_ashrrev_i32_e32 v8, 31, v7
	v_add_co_u32_e32 v7, vcc, s30, v7
	v_addc_co_u32_e32 v8, vcc, v6, v8, vcc
	global_load_sbyte v7, v[7:8], off
	s_waitcnt vmcnt(1)
	v_cvt_f32_i32_e32 v2, v2
	v_cmp_le_i32_e32 vcc, s6, v1
	s_or_b64 s[4:5], vcc, s[4:5]
	v_mul_f32_e32 v2, s42, v2
	s_waitcnt vmcnt(0)
	v_cvt_f32_i32_e32 v7, v7
	v_mul_f32_e32 v2, v2, v7
	ds_write_b32 v3, v2
	v_add_u32_e32 v3, 0x400, v3
	s_andn2_b64 exec, exec, s[4:5]
	s_cbranch_execnz .LBB55_75
.LBB55_76:
	s_or_b64 exec, exec, s[2:3]
                                        ; implicit-def: $vgpr1
.LBB55_77:
	s_or_saveexec_b64 s[0:1], s[0:1]
	v_lshlrev_b32_e32 v6, 2, v0
	s_xor_b64 exec, exec, s[0:1]
	s_cbranch_execz .LBB55_79
; %bb.78:
	v_ashrrev_i32_e32 v2, 31, v1
	v_lshlrev_b64 v[3:4], 2, v[1:2]
	v_mov_b32_e32 v5, s27
	v_add_co_u32_e32 v3, vcc, s26, v3
	v_addc_co_u32_e32 v4, vcc, v5, v4, vcc
	global_load_dword v5, v[3:4], off
	global_load_dword v7, v[3:4], off offset:1024
	global_load_dword v8, v[3:4], off offset:2048
	global_load_dword v9, v[3:4], off offset:3072
	v_mov_b32_e32 v3, s29
	v_add_co_u32_e32 v1, vcc, s28, v1
	v_addc_co_u32_e32 v2, vcc, v3, v2, vcc
	global_load_sbyte v13, v[1:2], off
	global_load_sbyte v14, v[1:2], off offset:256
	global_load_sbyte v15, v[1:2], off offset:512
	;; [unrolled: 1-line block ×3, first 2 shown]
	v_mov_b32_e32 v4, s31
	v_mov_b32_e32 v10, s31
	;; [unrolled: 1-line block ×4, first 2 shown]
	s_waitcnt vmcnt(7)
	v_subrev_u32_e32 v1, s44, v5
	v_ashrrev_i32_e32 v2, 31, v1
	v_add_co_u32_e32 v1, vcc, s30, v1
	s_waitcnt vmcnt(6)
	v_subrev_u32_e32 v3, s44, v7
	v_addc_co_u32_e32 v2, vcc, v4, v2, vcc
	v_ashrrev_i32_e32 v7, 31, v3
	v_add_co_u32_e32 v3, vcc, s30, v3
	s_waitcnt vmcnt(5)
	v_subrev_u32_e32 v5, s44, v8
	v_addc_co_u32_e32 v4, vcc, v10, v7, vcc
	;; [unrolled: 5-line block ×3, first 2 shown]
	v_ashrrev_i32_e32 v17, 31, v9
	v_add_co_u32_e32 v9, vcc, s30, v9
	v_addc_co_u32_e32 v10, vcc, v12, v17, vcc
	global_load_sbyte v5, v[1:2], off
	global_load_sbyte v11, v[3:4], off
	;; [unrolled: 1-line block ×4, first 2 shown]
	s_waitcnt vmcnt(7)
	v_cvt_f32_i32_e32 v1, v13
	s_waitcnt vmcnt(6)
	v_cvt_f32_i32_e32 v2, v14
	;; [unrolled: 2-line block ×4, first 2 shown]
	v_mul_f32_e32 v1, s42, v1
	v_mul_f32_e32 v2, s42, v2
	;; [unrolled: 1-line block ×4, first 2 shown]
	s_waitcnt vmcnt(3)
	v_cvt_f32_i32_e32 v5, v5
	s_waitcnt vmcnt(2)
	v_cvt_f32_i32_e32 v7, v11
	;; [unrolled: 2-line block ×4, first 2 shown]
	v_mul_f32_e32 v1, v1, v5
	v_mul_f32_e32 v2, v2, v7
	;; [unrolled: 1-line block ×4, first 2 shown]
	ds_write2st64_b32 v6, v1, v2 offset1:4
	ds_write2st64_b32 v6, v3, v4 offset0:8 offset1:12
.LBB55_79:
	s_or_b64 exec, exec, s[0:1]
	s_cmp_lt_i32 s33, 2
	s_mov_b64 s[0:1], -1
	s_waitcnt vmcnt(0) lgkmcnt(0)
	s_barrier
	s_cbranch_scc0 .LBB55_90
; %bb.80:
	v_add_u32_e32 v1, s38, v0
	v_cmp_gt_i32_e32 vcc, s39, v1
	s_and_saveexec_b64 s[0:1], vcc
	s_cbranch_execz .LBB55_89
; %bb.81:
	s_lshl_b32 s4, s35, 2
	v_cmp_neq_f32_e64 s[2:3], s34, 0
	s_sub_i32 s10, 0, s4
	s_mov_b64 s[4:5], 0
	v_mov_b32_e32 v7, s25
	v_mov_b32_e32 v8, s37
	s_branch .LBB55_83
.LBB55_82:                              ;   in Loop: Header=BB55_83 Depth=1
	v_add_co_u32_e32 v2, vcc, s36, v2
	v_addc_co_u32_e32 v3, vcc, v8, v3, vcc
	v_add_u32_e32 v1, 0x100, v1
	v_cmp_le_i32_e32 vcc, s39, v1
	s_or_b64 s[4:5], vcc, s[4:5]
	global_store_dword v[2:3], v9, off
	s_andn2_b64 exec, exec, s[4:5]
	s_cbranch_execz .LBB55_89
.LBB55_83:                              ; =>This Loop Header: Depth=1
                                        ;     Child Loop BB55_85 Depth 2
	v_ashrrev_i32_e32 v2, 31, v1
	v_lshlrev_b64 v[2:3], 2, v[1:2]
	v_mov_b32_e32 v9, 0
	v_add_co_u32_e32 v4, vcc, s24, v2
	v_addc_co_u32_e32 v5, vcc, v7, v3, vcc
	global_load_dwordx2 v[4:5], v[4:5], off
	s_waitcnt vmcnt(0)
	v_cmp_lt_i32_e32 vcc, v4, v5
	s_and_saveexec_b64 s[6:7], vcc
	s_cbranch_execz .LBB55_87
; %bb.84:                               ;   in Loop: Header=BB55_83 Depth=1
	v_subrev_u32_e32 v5, s35, v5
	v_subrev_u32_e32 v10, s35, v4
	v_lshl_add_u32 v4, v4, 2, s10
	v_mov_b32_e32 v9, 0
	s_mov_b64 s[8:9], 0
.LBB55_85:                              ;   Parent Loop BB55_83 Depth=1
                                        ; =>  This Inner Loop Header: Depth=2
	ds_read_b32 v11, v4
	v_add_u32_e32 v10, 1, v10
	v_cmp_ge_i32_e32 vcc, v10, v5
	v_add_u32_e32 v4, 4, v4
	s_or_b64 s[8:9], vcc, s[8:9]
	s_waitcnt lgkmcnt(0)
	v_add_f32_e32 v9, v9, v11
	s_andn2_b64 exec, exec, s[8:9]
	s_cbranch_execnz .LBB55_85
; %bb.86:                               ;   in Loop: Header=BB55_83 Depth=1
	s_or_b64 exec, exec, s[8:9]
.LBB55_87:                              ;   in Loop: Header=BB55_83 Depth=1
	s_or_b64 exec, exec, s[6:7]
	s_and_b64 vcc, exec, s[2:3]
	s_cbranch_vccz .LBB55_82
; %bb.88:                               ;   in Loop: Header=BB55_83 Depth=1
	v_mov_b32_e32 v5, s37
	v_add_co_u32_e32 v4, vcc, s36, v2
	v_addc_co_u32_e32 v5, vcc, v5, v3, vcc
	global_load_dword v4, v[4:5], off
	s_waitcnt vmcnt(0)
	v_fmac_f32_e32 v9, s34, v4
	s_branch .LBB55_82
.LBB55_89:
	s_or_b64 exec, exec, s[0:1]
	s_mov_b64 s[0:1], 0
.LBB55_90:
	s_andn2_b64 vcc, exec, s[0:1]
	s_cbranch_vccnz .LBB55_115
; %bb.91:
	s_flbit_i32_b32 s0, s33
	s_xor_b32 s0, s0, 31
	v_lshrrev_b32_e32 v3, s0, v0
	v_add_u32_e32 v1, s38, v3
	s_add_i32 s0, s33, -1
	v_and_b32_e32 v0, s0, v0
	v_cmp_le_i32_e32 vcc, s39, v1
	v_cmp_gt_i32_e64 s[0:1], s39, v1
	v_mov_b32_e32 v2, 0
	s_and_saveexec_b64 s[2:3], s[0:1]
	s_cbranch_execz .LBB55_97
; %bb.92:
	v_lshlrev_b32_e32 v2, 2, v3
	global_load_dwordx2 v[2:3], v2, s[40:41]
	v_subrev_u32_e32 v4, s35, v0
	s_waitcnt vmcnt(0)
	v_subrev_u32_e32 v3, s35, v3
	v_add_u32_e32 v4, v2, v4
	v_cmp_lt_i32_e64 s[0:1], v4, v3
	v_mov_b32_e32 v2, 0
	s_and_saveexec_b64 s[4:5], s[0:1]
	s_cbranch_execz .LBB55_96
; %bb.93:
	v_lshlrev_b32_e32 v5, 2, v4
	s_lshl_b32 s8, s33, 2
	v_mov_b32_e32 v2, 0
	s_mov_b64 s[6:7], 0
.LBB55_94:                              ; =>This Inner Loop Header: Depth=1
	ds_read_b32 v7, v5
	v_add_u32_e32 v4, s33, v4
	v_cmp_ge_i32_e64 s[0:1], v4, v3
	v_add_u32_e32 v5, s8, v5
	s_or_b64 s[6:7], s[0:1], s[6:7]
	s_waitcnt lgkmcnt(0)
	v_add_f32_e32 v2, v2, v7
	s_andn2_b64 exec, exec, s[6:7]
	s_cbranch_execnz .LBB55_94
; %bb.95:
	s_or_b64 exec, exec, s[6:7]
.LBB55_96:
	s_or_b64 exec, exec, s[4:5]
.LBB55_97:
	s_or_b64 exec, exec, s[2:3]
	s_cmpk_lt_u32 s33, 0x81
	s_waitcnt vmcnt(0)
	s_barrier
	ds_write_b32 v6, v2
	s_waitcnt lgkmcnt(0)
	s_barrier
	s_cbranch_scc1 .LBB55_99
; %bb.98:
	ds_read_b32 v3, v6 offset:512
	s_waitcnt lgkmcnt(0)
	s_barrier
	v_add_f32_e32 v2, v2, v3
	ds_write_b32 v6, v2
.LBB55_99:
	s_cmpk_lt_u32 s33, 0x41
	s_waitcnt lgkmcnt(0)
	s_barrier
	s_cbranch_scc1 .LBB55_101
; %bb.100:
	ds_read_b32 v3, v6 offset:256
	s_waitcnt lgkmcnt(0)
	s_barrier
	v_add_f32_e32 v2, v2, v3
	ds_write_b32 v6, v2
.LBB55_101:
	s_cmp_lt_u32 s33, 33
	s_waitcnt lgkmcnt(0)
	s_barrier
	s_cbranch_scc1 .LBB55_103
; %bb.102:
	ds_read_b32 v3, v6 offset:128
	s_waitcnt lgkmcnt(0)
	s_barrier
	v_add_f32_e32 v2, v2, v3
	ds_write_b32 v6, v2
.LBB55_103:
	s_cmp_lt_u32 s33, 17
	;; [unrolled: 11-line block ×4, first 2 shown]
	s_waitcnt lgkmcnt(0)
	s_barrier
	s_cbranch_scc1 .LBB55_109
; %bb.108:
	ds_read_b32 v3, v6 offset:16
	s_waitcnt lgkmcnt(0)
	s_barrier
	v_add_f32_e32 v2, v2, v3
	ds_write_b32 v6, v2
.LBB55_109:
	s_cmp_eq_u32 s33, 2
	s_waitcnt lgkmcnt(0)
	s_barrier
	s_cbranch_scc1 .LBB55_111
; %bb.110:
	ds_read_b32 v3, v6 offset:8
	s_waitcnt lgkmcnt(0)
	s_barrier
	v_add_f32_e32 v2, v2, v3
	ds_write_b32 v6, v2
.LBB55_111:
	s_waitcnt lgkmcnt(0)
	s_barrier
	ds_read_b32 v3, v6 offset:4
	v_cmp_eq_u32_e64 s[0:1], 0, v0
	s_xor_b64 s[2:3], vcc, -1
	s_and_b64 s[0:1], s[0:1], s[2:3]
	s_waitcnt lgkmcnt(0)
	v_add_f32_e32 v3, v2, v3
	s_barrier
	ds_write_b32 v6, v3
	s_and_saveexec_b64 s[2:3], s[0:1]
	s_cbranch_execz .LBB55_115
; %bb.112:
	v_ashrrev_i32_e32 v2, 31, v1
	v_cmp_eq_f32_e64 s[0:1], s34, 0
	v_lshlrev_b64 v[0:1], 2, v[1:2]
	s_and_b64 vcc, exec, s[0:1]
	s_cbranch_vccnz .LBB55_114
; %bb.113:
	v_mov_b32_e32 v2, s37
	v_add_co_u32_e32 v4, vcc, s36, v0
	v_addc_co_u32_e32 v5, vcc, v2, v1, vcc
	global_load_dword v2, v[4:5], off
	s_waitcnt vmcnt(0)
	v_fmac_f32_e32 v3, s34, v2
.LBB55_114:
	v_mov_b32_e32 v2, s37
	v_add_co_u32_e32 v0, vcc, s36, v0
	v_addc_co_u32_e32 v1, vcc, v2, v1, vcc
	global_store_dword v[0:1], v3, off
.LBB55_115:
	s_endpgm
	.section	.rodata,"a",@progbits
	.p2align	6, 0x0
	.amdhsa_kernel _ZN9rocsparseL22csrmvn_adaptive_kernelIiiaaffEEvbT_PKS1_PjPKT0_NS_24const_host_device_scalarIT4_EES3_S7_PKT1_PKT2_SA_PT3_21rocsparse_index_base_b
		.amdhsa_group_segment_fixed_size 4096
		.amdhsa_private_segment_fixed_size 0
		.amdhsa_kernarg_size 96
		.amdhsa_user_sgpr_count 6
		.amdhsa_user_sgpr_private_segment_buffer 1
		.amdhsa_user_sgpr_dispatch_ptr 0
		.amdhsa_user_sgpr_queue_ptr 0
		.amdhsa_user_sgpr_kernarg_segment_ptr 1
		.amdhsa_user_sgpr_dispatch_id 0
		.amdhsa_user_sgpr_flat_scratch_init 0
		.amdhsa_user_sgpr_private_segment_size 0
		.amdhsa_uses_dynamic_stack 0
		.amdhsa_system_sgpr_private_segment_wavefront_offset 0
		.amdhsa_system_sgpr_workgroup_id_x 1
		.amdhsa_system_sgpr_workgroup_id_y 0
		.amdhsa_system_sgpr_workgroup_id_z 0
		.amdhsa_system_sgpr_workgroup_info 0
		.amdhsa_system_vgpr_workitem_id 0
		.amdhsa_next_free_vgpr 18
		.amdhsa_next_free_sgpr 58
		.amdhsa_reserve_vcc 1
		.amdhsa_reserve_flat_scratch 0
		.amdhsa_float_round_mode_32 0
		.amdhsa_float_round_mode_16_64 0
		.amdhsa_float_denorm_mode_32 3
		.amdhsa_float_denorm_mode_16_64 3
		.amdhsa_dx10_clamp 1
		.amdhsa_ieee_mode 1
		.amdhsa_fp16_overflow 0
		.amdhsa_exception_fp_ieee_invalid_op 0
		.amdhsa_exception_fp_denorm_src 0
		.amdhsa_exception_fp_ieee_div_zero 0
		.amdhsa_exception_fp_ieee_overflow 0
		.amdhsa_exception_fp_ieee_underflow 0
		.amdhsa_exception_fp_ieee_inexact 0
		.amdhsa_exception_int_div_zero 0
	.end_amdhsa_kernel
	.section	.text._ZN9rocsparseL22csrmvn_adaptive_kernelIiiaaffEEvbT_PKS1_PjPKT0_NS_24const_host_device_scalarIT4_EES3_S7_PKT1_PKT2_SA_PT3_21rocsparse_index_base_b,"axG",@progbits,_ZN9rocsparseL22csrmvn_adaptive_kernelIiiaaffEEvbT_PKS1_PjPKT0_NS_24const_host_device_scalarIT4_EES3_S7_PKT1_PKT2_SA_PT3_21rocsparse_index_base_b,comdat
.Lfunc_end55:
	.size	_ZN9rocsparseL22csrmvn_adaptive_kernelIiiaaffEEvbT_PKS1_PjPKT0_NS_24const_host_device_scalarIT4_EES3_S7_PKT1_PKT2_SA_PT3_21rocsparse_index_base_b, .Lfunc_end55-_ZN9rocsparseL22csrmvn_adaptive_kernelIiiaaffEEvbT_PKS1_PjPKT0_NS_24const_host_device_scalarIT4_EES3_S7_PKT1_PKT2_SA_PT3_21rocsparse_index_base_b
                                        ; -- End function
	.set _ZN9rocsparseL22csrmvn_adaptive_kernelIiiaaffEEvbT_PKS1_PjPKT0_NS_24const_host_device_scalarIT4_EES3_S7_PKT1_PKT2_SA_PT3_21rocsparse_index_base_b.num_vgpr, 18
	.set _ZN9rocsparseL22csrmvn_adaptive_kernelIiiaaffEEvbT_PKS1_PjPKT0_NS_24const_host_device_scalarIT4_EES3_S7_PKT1_PKT2_SA_PT3_21rocsparse_index_base_b.num_agpr, 0
	.set _ZN9rocsparseL22csrmvn_adaptive_kernelIiiaaffEEvbT_PKS1_PjPKT0_NS_24const_host_device_scalarIT4_EES3_S7_PKT1_PKT2_SA_PT3_21rocsparse_index_base_b.numbered_sgpr, 58
	.set _ZN9rocsparseL22csrmvn_adaptive_kernelIiiaaffEEvbT_PKS1_PjPKT0_NS_24const_host_device_scalarIT4_EES3_S7_PKT1_PKT2_SA_PT3_21rocsparse_index_base_b.num_named_barrier, 0
	.set _ZN9rocsparseL22csrmvn_adaptive_kernelIiiaaffEEvbT_PKS1_PjPKT0_NS_24const_host_device_scalarIT4_EES3_S7_PKT1_PKT2_SA_PT3_21rocsparse_index_base_b.private_seg_size, 0
	.set _ZN9rocsparseL22csrmvn_adaptive_kernelIiiaaffEEvbT_PKS1_PjPKT0_NS_24const_host_device_scalarIT4_EES3_S7_PKT1_PKT2_SA_PT3_21rocsparse_index_base_b.uses_vcc, 1
	.set _ZN9rocsparseL22csrmvn_adaptive_kernelIiiaaffEEvbT_PKS1_PjPKT0_NS_24const_host_device_scalarIT4_EES3_S7_PKT1_PKT2_SA_PT3_21rocsparse_index_base_b.uses_flat_scratch, 0
	.set _ZN9rocsparseL22csrmvn_adaptive_kernelIiiaaffEEvbT_PKS1_PjPKT0_NS_24const_host_device_scalarIT4_EES3_S7_PKT1_PKT2_SA_PT3_21rocsparse_index_base_b.has_dyn_sized_stack, 0
	.set _ZN9rocsparseL22csrmvn_adaptive_kernelIiiaaffEEvbT_PKS1_PjPKT0_NS_24const_host_device_scalarIT4_EES3_S7_PKT1_PKT2_SA_PT3_21rocsparse_index_base_b.has_recursion, 0
	.set _ZN9rocsparseL22csrmvn_adaptive_kernelIiiaaffEEvbT_PKS1_PjPKT0_NS_24const_host_device_scalarIT4_EES3_S7_PKT1_PKT2_SA_PT3_21rocsparse_index_base_b.has_indirect_call, 0
	.section	.AMDGPU.csdata,"",@progbits
; Kernel info:
; codeLenInByte = 3672
; TotalNumSgprs: 62
; NumVgprs: 18
; ScratchSize: 0
; MemoryBound: 0
; FloatMode: 240
; IeeeMode: 1
; LDSByteSize: 4096 bytes/workgroup (compile time only)
; SGPRBlocks: 7
; VGPRBlocks: 4
; NumSGPRsForWavesPerEU: 62
; NumVGPRsForWavesPerEU: 18
; Occupancy: 10
; WaveLimiterHint : 1
; COMPUTE_PGM_RSRC2:SCRATCH_EN: 0
; COMPUTE_PGM_RSRC2:USER_SGPR: 6
; COMPUTE_PGM_RSRC2:TRAP_HANDLER: 0
; COMPUTE_PGM_RSRC2:TGID_X_EN: 1
; COMPUTE_PGM_RSRC2:TGID_Y_EN: 0
; COMPUTE_PGM_RSRC2:TGID_Z_EN: 0
; COMPUTE_PGM_RSRC2:TIDIG_COMP_CNT: 0
	.section	.text._ZN9rocsparseL27csrmvn_symm_adaptive_kernelIiiaaffEEvbT_S1_PKS1_NS_24const_host_device_scalarIT4_EES3_PKT0_PKT1_PKT2_S6_PT3_21rocsparse_index_base_b,"axG",@progbits,_ZN9rocsparseL27csrmvn_symm_adaptive_kernelIiiaaffEEvbT_S1_PKS1_NS_24const_host_device_scalarIT4_EES3_PKT0_PKT1_PKT2_S6_PT3_21rocsparse_index_base_b,comdat
	.globl	_ZN9rocsparseL27csrmvn_symm_adaptive_kernelIiiaaffEEvbT_S1_PKS1_NS_24const_host_device_scalarIT4_EES3_PKT0_PKT1_PKT2_S6_PT3_21rocsparse_index_base_b ; -- Begin function _ZN9rocsparseL27csrmvn_symm_adaptive_kernelIiiaaffEEvbT_S1_PKS1_NS_24const_host_device_scalarIT4_EES3_PKT0_PKT1_PKT2_S6_PT3_21rocsparse_index_base_b
	.p2align	8
	.type	_ZN9rocsparseL27csrmvn_symm_adaptive_kernelIiiaaffEEvbT_S1_PKS1_NS_24const_host_device_scalarIT4_EES3_PKT0_PKT1_PKT2_S6_PT3_21rocsparse_index_base_b,@function
_ZN9rocsparseL27csrmvn_symm_adaptive_kernelIiiaaffEEvbT_S1_PKS1_NS_24const_host_device_scalarIT4_EES3_PKT0_PKT1_PKT2_S6_PT3_21rocsparse_index_base_b: ; @_ZN9rocsparseL27csrmvn_symm_adaptive_kernelIiiaaffEEvbT_S1_PKS1_NS_24const_host_device_scalarIT4_EES3_PKT0_PKT1_PKT2_S6_PT3_21rocsparse_index_base_b
; %bb.0:
	s_load_dwordx2 s[24:25], s[4:5], 0x50
	s_load_dwordx2 s[26:27], s[4:5], 0x18
	;; [unrolled: 1-line block ×3, first 2 shown]
	s_waitcnt lgkmcnt(0)
	s_bitcmp1_b32 s25, 0
	s_cselect_b64 s[8:9], -1, 0
	s_xor_b64 s[2:3], s[8:9], -1
	s_and_b64 vcc, exec, s[8:9]
	s_cbranch_vccnz .LBB56_2
; %bb.1:
	s_load_dword s26, s[26:27], 0x0
.LBB56_2:
	s_andn2_b64 vcc, exec, s[2:3]
	s_cbranch_vccnz .LBB56_4
; %bb.3:
	s_load_dword s0, s[0:1], 0x0
.LBB56_4:
	s_waitcnt lgkmcnt(0)
	v_cmp_neq_f32_e64 s[2:3], s26, 0
	v_cmp_neq_f32_e64 s[0:1], s0, 1.0
	s_or_b64 s[0:1], s[2:3], s[0:1]
	s_andn2_b64 vcc, exec, s[0:1]
	s_cbranch_vccnz .LBB56_158
; %bb.5:
	s_load_dwordx2 s[0:1], s[4:5], 0x10
	s_ashr_i32 s7, s6, 31
	s_lshl_b64 s[2:3], s[6:7], 2
	v_lshlrev_b32_e32 v9, 2, v0
	v_mov_b32_e32 v1, 0
	s_waitcnt lgkmcnt(0)
	s_add_u32 s0, s0, s2
	s_addc_u32 s1, s1, s3
	ds_write2st64_b32 v9, v1, v1 offset1:4
	ds_write2st64_b32 v9, v1, v1 offset0:8 offset1:12
	s_waitcnt lgkmcnt(0)
	s_barrier
	s_load_dwordx2 s[22:23], s[0:1], 0x0
	s_load_dwordx8 s[12:19], s[4:5], 0x20
	s_load_dwordx2 s[20:21], s[4:5], 0x48
	s_mov_b64 s[0:1], -1
	v_subrev_u32_e32 v7, s24, v0
	s_waitcnt lgkmcnt(0)
	s_sub_i32 s25, s23, s22
	s_cmp_gt_i32 s25, 2
	s_cbranch_scc1 .LBB56_36
; %bb.6:
	s_cmp_le_i32 s23, s22
	s_cbranch_scc1 .LBB56_25
; %bb.7:
	v_cmp_gt_u32_e64 s[0:1], 64, v0
	v_cmp_gt_u32_e64 s[2:3], 16, v0
	;; [unrolled: 1-line block ×3, first 2 shown]
	v_cmp_eq_u32_e64 s[8:9], 0, v0
	v_mov_b32_e32 v8, 0
	s_mov_b32 s28, s22
	s_branch .LBB56_9
.LBB56_8:                               ;   in Loop: Header=BB56_9 Depth=1
	s_or_b64 exec, exec, s[10:11]
	s_add_i32 s28, s28, 1
	s_cmp_ge_i32 s28, s23
	s_cbranch_scc1 .LBB56_25
.LBB56_9:                               ; =>This Loop Header: Depth=1
                                        ;     Child Loop BB56_11 Depth 2
                                        ;     Child Loop BB56_24 Depth 2
	s_ashr_i32 s29, s28, 31
	s_lshl_b64 s[30:31], s[28:29], 2
	s_add_u32 s10, s12, s30
	s_addc_u32 s11, s13, s31
	s_load_dwordx2 s[34:35], s[10:11], 0x0
	v_mov_b32_e32 v2, 0
	s_waitcnt lgkmcnt(0)
	s_sub_i32 s27, s35, s24
	v_add_u32_e32 v1, s34, v7
	v_cmp_gt_i32_e32 vcc, s27, v1
	s_and_saveexec_b64 s[34:35], vcc
	s_cbranch_execz .LBB56_13
; %bb.10:                               ;   in Loop: Header=BB56_9 Depth=1
	v_ashrrev_i32_e32 v2, 31, v1
	v_lshlrev_b64 v[3:4], 2, v[1:2]
	v_mov_b32_e32 v5, s15
	v_add_co_u32_e32 v3, vcc, s14, v3
	v_addc_co_u32_e32 v4, vcc, v5, v4, vcc
	v_mov_b32_e32 v6, s17
	v_add_co_u32_e32 v5, vcc, s16, v1
	v_addc_co_u32_e32 v6, vcc, v6, v2, vcc
	v_mov_b32_e32 v2, 0
	s_mov_b64 s[36:37], 0
.LBB56_11:                              ;   Parent Loop BB56_9 Depth=1
                                        ; =>  This Inner Loop Header: Depth=2
	global_load_dword v10, v[3:4], off
	global_load_sbyte v12, v[5:6], off
	v_mov_b32_e32 v11, s19
	v_add_u32_e32 v1, 0x100, v1
	v_cmp_le_i32_e64 s[10:11], s27, v1
	s_or_b64 s[36:37], s[10:11], s[36:37]
	s_waitcnt vmcnt(1)
	v_subrev_u32_e32 v10, s24, v10
	v_ashrrev_i32_e32 v13, 31, v10
	v_add_co_u32_e32 v10, vcc, s18, v10
	v_addc_co_u32_e32 v11, vcc, v11, v13, vcc
	global_load_sbyte v10, v[10:11], off
	s_waitcnt vmcnt(1)
	v_cvt_f32_i32_e32 v11, v12
	v_add_co_u32_e32 v3, vcc, 0x400, v3
	v_addc_co_u32_e32 v4, vcc, 0, v4, vcc
	v_add_co_u32_e32 v5, vcc, 0x100, v5
	v_addc_co_u32_e32 v6, vcc, 0, v6, vcc
	s_waitcnt vmcnt(0)
	v_cvt_f32_i32_e32 v10, v10
	v_fmac_f32_e32 v2, v11, v10
	s_andn2_b64 exec, exec, s[36:37]
	s_cbranch_execnz .LBB56_11
; %bb.12:                               ;   in Loop: Header=BB56_9 Depth=1
	s_or_b64 exec, exec, s[36:37]
.LBB56_13:                              ;   in Loop: Header=BB56_9 Depth=1
	s_or_b64 exec, exec, s[34:35]
	ds_write_b32 v9, v2
	s_waitcnt lgkmcnt(0)
	s_barrier
	ds_read2st64_b32 v[1:2], v9 offset1:4
	ds_read2st64_b32 v[3:4], v9 offset0:8 offset1:12
	s_waitcnt lgkmcnt(0)
	v_add_f32_e32 v2, v2, v3
	v_add_f32_e32 v2, v2, v4
	v_add_f32_e32 v1, v1, v2
	ds_write_b32 v9, v1
	s_waitcnt lgkmcnt(0)
	s_barrier
	s_and_saveexec_b64 s[10:11], s[0:1]
	s_cbranch_execz .LBB56_15
; %bb.14:                               ;   in Loop: Header=BB56_9 Depth=1
	ds_read2st64_b32 v[1:2], v9 offset1:1
	ds_read2st64_b32 v[3:4], v9 offset0:2 offset1:3
	s_waitcnt lgkmcnt(0)
	v_add_f32_e32 v2, v2, v3
	v_add_f32_e32 v2, v2, v4
	;; [unrolled: 1-line block ×3, first 2 shown]
	ds_write_b32 v9, v1
.LBB56_15:                              ;   in Loop: Header=BB56_9 Depth=1
	s_or_b64 exec, exec, s[10:11]
	s_waitcnt lgkmcnt(0)
	s_barrier
	s_and_saveexec_b64 s[10:11], s[2:3]
	s_cbranch_execz .LBB56_17
; %bb.16:                               ;   in Loop: Header=BB56_9 Depth=1
	ds_read2_b32 v[1:2], v9 offset1:16
	ds_read2_b32 v[3:4], v9 offset0:32 offset1:48
	s_waitcnt lgkmcnt(0)
	v_add_f32_e32 v2, v2, v3
	v_add_f32_e32 v2, v2, v4
	;; [unrolled: 1-line block ×3, first 2 shown]
	ds_write_b32 v9, v1
.LBB56_17:                              ;   in Loop: Header=BB56_9 Depth=1
	s_or_b64 exec, exec, s[10:11]
	s_waitcnt lgkmcnt(0)
	s_barrier
	s_and_saveexec_b64 s[10:11], s[6:7]
	s_cbranch_execz .LBB56_19
; %bb.18:                               ;   in Loop: Header=BB56_9 Depth=1
	ds_read2_b32 v[1:2], v9 offset1:4
	ds_read2_b32 v[3:4], v9 offset0:8 offset1:12
	s_waitcnt lgkmcnt(0)
	v_add_f32_e32 v2, v2, v3
	v_add_f32_e32 v2, v2, v4
	;; [unrolled: 1-line block ×3, first 2 shown]
	ds_write_b32 v9, v1
.LBB56_19:                              ;   in Loop: Header=BB56_9 Depth=1
	s_or_b64 exec, exec, s[10:11]
	s_waitcnt lgkmcnt(0)
	s_barrier
	s_and_saveexec_b64 s[10:11], s[8:9]
	s_cbranch_execz .LBB56_21
; %bb.20:                               ;   in Loop: Header=BB56_9 Depth=1
	ds_read2_b32 v[1:2], v8 offset0:1 offset1:2
	ds_read_b32 v3, v8 offset:12
	ds_read_b32 v4, v9
	s_waitcnt lgkmcnt(2)
	v_add_f32_e32 v1, v1, v2
	s_waitcnt lgkmcnt(1)
	v_add_f32_e32 v1, v1, v3
	;; [unrolled: 2-line block ×3, first 2 shown]
	ds_write_b32 v9, v1
.LBB56_21:                              ;   in Loop: Header=BB56_9 Depth=1
	s_or_b64 exec, exec, s[10:11]
	s_waitcnt lgkmcnt(0)
	s_barrier
	s_and_saveexec_b64 s[10:11], s[8:9]
	s_cbranch_execz .LBB56_8
; %bb.22:                               ;   in Loop: Header=BB56_9 Depth=1
	s_mov_b64 s[34:35], exec
	v_mbcnt_lo_u32_b32 v1, s34, 0
	v_mbcnt_hi_u32_b32 v1, s35, v1
	v_cmp_eq_u32_e32 vcc, 0, v1
	s_and_b64 s[36:37], exec, vcc
	s_mov_b64 exec, s[36:37]
	s_cbranch_execz .LBB56_8
; %bb.23:                               ;   in Loop: Header=BB56_9 Depth=1
	s_add_u32 s30, s20, s30
	s_addc_u32 s31, s21, s31
	global_load_dword v2, v8, s[30:31]
	ds_read_b32 v1, v8
	s_bcnt1_i32_b64 s27, s[34:35]
	v_cvt_f32_ubyte0_e32 v3, s27
	s_mov_b64 s[34:35], 0
	s_waitcnt lgkmcnt(0)
	v_mul_f32_e32 v1, s26, v1
	v_mul_f32_e32 v3, v1, v3
.LBB56_24:                              ;   Parent Loop BB56_9 Depth=1
                                        ; =>  This Inner Loop Header: Depth=2
	s_waitcnt vmcnt(0)
	v_add_f32_e32 v1, v2, v3
	global_atomic_cmpswap v1, v8, v[1:2], s[30:31] glc
	s_waitcnt vmcnt(0)
	v_cmp_eq_u32_e32 vcc, v1, v2
	s_or_b64 s[34:35], vcc, s[34:35]
	v_mov_b32_e32 v2, v1
	s_andn2_b64 exec, exec, s[34:35]
	s_cbranch_execnz .LBB56_24
	s_branch .LBB56_8
.LBB56_25:
	s_ashr_i32 s1, s22, 31
	s_mov_b32 s0, s22
	s_lshl_b64 s[0:1], s[0:1], 2
	s_add_u32 s0, s12, s0
	s_addc_u32 s1, s13, s1
	s_ashr_i32 s3, s23, 31
	s_mov_b32 s2, s23
	s_lshl_b64 s[2:3], s[2:3], 2
	s_add_u32 s2, s12, s2
	s_addc_u32 s3, s13, s3
	s_load_dword s6, s[2:3], 0x0
	s_load_dword s7, s[0:1], 0x0
	s_waitcnt lgkmcnt(0)
	s_sub_i32 s27, s6, s24
	v_add_u32_e32 v1, s7, v7
	v_cmp_gt_i32_e32 vcc, s27, v1
	s_and_saveexec_b64 s[6:7], vcc
	s_cbranch_execz .LBB56_35
; %bb.26:
	s_add_i32 s28, s23, -1
	s_cmp_lt_i32 s22, s28
	s_cselect_b64 s[0:1], -1, 0
	s_add_i32 s2, s23, -2
	s_cmp_lg_u32 s22, s2
	s_cselect_b64 s[2:3], -1, 0
	s_and_b64 s[0:1], s[0:1], s[2:3]
	v_cndmask_b32_e64 v2, 0, 1, s[0:1]
	s_mov_b64 s[8:9], 0
	v_cmp_ne_u32_e64 s[0:1], 1, v2
	v_mov_b32_e32 v6, s13
	v_mov_b32_e32 v8, s15
	s_branch .LBB56_28
.LBB56_27:                              ;   in Loop: Header=BB56_28 Depth=1
	s_or_b64 exec, exec, s[2:3]
	v_add_u32_e32 v1, 0x100, v1
	v_cmp_le_i32_e32 vcc, s27, v1
	s_or_b64 s[8:9], vcc, s[8:9]
	s_andn2_b64 exec, exec, s[8:9]
	s_cbranch_execz .LBB56_35
.LBB56_28:                              ; =>This Loop Header: Depth=1
                                        ;     Child Loop BB56_30 Depth 2
                                        ;     Child Loop BB56_34 Depth 2
	s_and_b64 vcc, exec, s[0:1]
	v_mov_b32_e32 v5, s22
	v_mov_b32_e32 v3, s28
	s_cbranch_vccnz .LBB56_32
; %bb.29:                               ;   in Loop: Header=BB56_28 Depth=1
	s_mov_b64 s[10:11], 0
	v_mov_b32_e32 v5, s22
	v_mov_b32_e32 v3, s28
.LBB56_30:                              ;   Parent Loop BB56_28 Depth=1
                                        ; =>  This Inner Loop Header: Depth=2
	v_add_u32_e32 v2, v3, v5
	v_lshrrev_b32_e32 v10, 31, v2
	v_add_u32_e32 v2, v2, v10
	v_ashrrev_i32_e32 v10, 1, v2
	v_ashrrev_i32_e32 v11, 31, v10
	v_lshlrev_b64 v[11:12], 2, v[10:11]
	v_mov_b32_e32 v4, s13
	v_add_co_u32_e32 v11, vcc, s12, v11
	v_addc_co_u32_e32 v12, vcc, v4, v12, vcc
	global_load_dword v2, v[11:12], off
	s_waitcnt vmcnt(0)
	v_subrev_u32_e32 v2, s24, v2
	v_cmp_lt_i32_e32 vcc, v1, v2
	v_cndmask_b32_e32 v3, v3, v10, vcc
	v_cndmask_b32_e32 v5, v10, v5, vcc
	v_add_u32_e32 v2, -1, v3
	v_cmp_ge_i32_e32 vcc, v5, v3
	v_cmp_eq_u32_e64 s[2:3], v5, v2
	s_or_b64 s[2:3], vcc, s[2:3]
	s_and_b64 s[2:3], exec, s[2:3]
	s_or_b64 s[10:11], s[2:3], s[10:11]
	s_andn2_b64 exec, exec, s[10:11]
	s_cbranch_execnz .LBB56_30
; %bb.31:                               ;   in Loop: Header=BB56_28 Depth=1
	s_or_b64 exec, exec, s[10:11]
.LBB56_32:                              ;   in Loop: Header=BB56_28 Depth=1
	v_ashrrev_i32_e32 v4, 31, v3
	v_lshlrev_b64 v[10:11], 2, v[3:4]
	v_ashrrev_i32_e32 v2, 31, v1
	v_add_co_u32_e32 v10, vcc, s12, v10
	v_addc_co_u32_e32 v11, vcc, v6, v11, vcc
	global_load_dword v4, v[10:11], off
	v_lshlrev_b64 v[10:11], 2, v[1:2]
	v_add_co_u32_e32 v10, vcc, s14, v10
	v_addc_co_u32_e32 v11, vcc, v8, v11, vcc
	global_load_dword v10, v[10:11], off
	s_waitcnt vmcnt(1)
	v_subrev_u32_e32 v4, s24, v4
	v_cmp_lt_i32_e32 vcc, v1, v4
	v_cndmask_b32_e32 v5, v3, v5, vcc
	s_waitcnt vmcnt(0)
	v_subrev_u32_e32 v3, s24, v10
	v_cmp_ne_u32_e32 vcc, v3, v5
	s_and_saveexec_b64 s[2:3], vcc
	s_cbranch_execz .LBB56_27
; %bb.33:                               ;   in Loop: Header=BB56_28 Depth=1
	v_mov_b32_e32 v11, s17
	v_add_co_u32_e32 v10, vcc, s16, v1
	v_addc_co_u32_e32 v11, vcc, v11, v2, vcc
	global_load_sbyte v12, v[10:11], off
	v_ashrrev_i32_e32 v2, 31, v5
	v_mov_b32_e32 v11, s19
	v_add_co_u32_e32 v10, vcc, s18, v5
	v_addc_co_u32_e32 v11, vcc, v11, v2, vcc
	v_ashrrev_i32_e32 v4, 31, v3
	global_load_sbyte v10, v[10:11], off
	v_lshlrev_b64 v[3:4], 2, v[3:4]
	v_mov_b32_e32 v5, s21
	v_add_co_u32_e32 v2, vcc, s20, v3
	v_addc_co_u32_e32 v3, vcc, v5, v4, vcc
	global_load_dword v5, v[2:3], off
	s_mov_b64 s[10:11], 0
	s_waitcnt vmcnt(2)
	v_cvt_f32_i32_e32 v4, v12
	v_mul_f32_e32 v4, s26, v4
	s_waitcnt vmcnt(1)
	v_cvt_f32_i32_e32 v10, v10
	v_mul_f32_e32 v10, v4, v10
.LBB56_34:                              ;   Parent Loop BB56_28 Depth=1
                                        ; =>  This Inner Loop Header: Depth=2
	s_waitcnt vmcnt(0)
	v_add_f32_e32 v4, v5, v10
	global_atomic_cmpswap v4, v[2:3], v[4:5], off glc
	s_waitcnt vmcnt(0)
	v_cmp_eq_u32_e32 vcc, v4, v5
	s_or_b64 s[10:11], vcc, s[10:11]
	v_mov_b32_e32 v5, v4
	s_andn2_b64 exec, exec, s[10:11]
	s_cbranch_execnz .LBB56_34
	s_branch .LBB56_27
.LBB56_35:
	s_or_b64 exec, exec, s[6:7]
	s_mov_b64 s[0:1], 0
.LBB56_36:
	s_and_b64 vcc, exec, s[0:1]
	s_cbranch_vccz .LBB56_158
; %bb.37:
	v_cvt_f32_u32_e32 v1, s25
	s_ashr_i32 s1, s22, 31
	s_mov_b32 s0, s22
	s_sub_i32 s2, 0, s25
	v_rcp_iflag_f32_e32 v1, v1
	s_lshl_b64 s[0:1], s[0:1], 2
	s_add_u32 s6, s12, s0
	s_addc_u32 s7, s13, s1
	v_mul_f32_e32 v1, 0x4f7ffffe, v1
	v_cvt_u32_f32_e32 v1, v1
	s_load_dword s30, s[6:7], 0x0
	s_load_dwordx2 s[8:9], s[4:5], 0x4
	s_load_dword s27, s[4:5], 0x64
	v_readfirstlane_b32 s28, v1
	s_waitcnt lgkmcnt(0)
	v_add_u32_e32 v1, s30, v7
	s_mul_i32 s2, s2, s28
	v_add_u32_e32 v10, 0x300, v1
	s_mul_hi_u32 s29, s28, s2
	v_cmp_le_i32_e32 vcc, s8, v10
	s_and_saveexec_b64 s[0:1], vcc
	s_xor_b64 s[2:3], exec, s[0:1]
	s_cbranch_execz .LBB56_42
; %bb.38:
	s_ashr_i32 s1, s23, 31
	s_mov_b32 s0, s23
	s_lshl_b64 s[0:1], s[0:1], 2
	s_add_u32 s0, s12, s0
	s_addc_u32 s1, s13, s1
	s_load_dword s0, s[0:1], 0x0
	s_waitcnt lgkmcnt(0)
	s_sub_i32 s8, s0, s30
	v_cmp_gt_i32_e64 s[0:1], s8, v0
	s_and_saveexec_b64 s[4:5], s[0:1]
	s_cbranch_execz .LBB56_41
; %bb.39:
	s_sub_i32 s31, s30, s24
	s_mov_b64 s[10:11], 0
	v_mov_b32_e32 v2, s17
	v_mov_b32_e32 v3, v9
	;; [unrolled: 1-line block ×3, first 2 shown]
.LBB56_40:                              ; =>This Inner Loop Header: Depth=1
	v_add_u32_e32 v5, s31, v4
	v_ashrrev_i32_e32 v6, 31, v5
	v_add_co_u32_e64 v5, s[0:1], s16, v5
	v_addc_co_u32_e64 v6, s[0:1], v2, v6, s[0:1]
	global_load_sbyte v5, v[5:6], off
	v_add_u32_e32 v4, 0x100, v4
	v_cmp_le_i32_e64 s[0:1], s8, v4
	s_or_b64 s[10:11], s[0:1], s[10:11]
	s_waitcnt vmcnt(0)
	v_cvt_f32_i32_e32 v5, v5
	v_mul_f32_e32 v5, s26, v5
	ds_write_b32 v3, v5
	v_add_u32_e32 v3, 0x400, v3
	s_andn2_b64 exec, exec, s[10:11]
	s_cbranch_execnz .LBB56_40
.LBB56_41:
	s_or_b64 exec, exec, s[4:5]
.LBB56_42:
	s_or_saveexec_b64 s[2:3], s[2:3]
	s_and_b32 s31, s27, 0xffff
	s_add_i32 s28, s28, s29
	v_ashrrev_i32_e32 v2, 31, v1
	s_xor_b64 exec, exec, s[2:3]
	s_cbranch_execz .LBB56_44
; %bb.43:
	v_mov_b32_e32 v4, s17
	v_add_co_u32_e64 v3, s[0:1], s16, v1
	v_addc_co_u32_e64 v4, s[0:1], v4, v2, s[0:1]
	global_load_sbyte v5, v[3:4], off
	global_load_sbyte v6, v[3:4], off offset:256
	global_load_sbyte v7, v[3:4], off offset:512
	;; [unrolled: 1-line block ×3, first 2 shown]
	s_waitcnt vmcnt(3)
	v_cvt_f32_i32_e32 v3, v5
	s_waitcnt vmcnt(2)
	v_cvt_f32_i32_e32 v4, v6
	;; [unrolled: 2-line block ×4, first 2 shown]
	v_mul_f32_e32 v3, s26, v3
	v_mul_f32_e32 v4, s26, v4
	;; [unrolled: 1-line block ×4, first 2 shown]
	ds_write2st64_b32 v9, v3, v4 offset1:4
	ds_write2st64_b32 v9, v5, v6 offset0:8 offset1:12
.LBB56_44:
	s_or_b64 exec, exec, s[2:3]
	s_mul_hi_u32 s8, s31, s28
	v_cmp_gt_i32_e64 s[0:1], s9, v0
	s_and_saveexec_b64 s[2:3], s[0:1]
	s_cbranch_execz .LBB56_47
; %bb.45:
	v_mov_b32_e32 v3, 0x1000
	v_lshl_add_u32 v3, v0, 2, v3
	s_mov_b64 s[4:5], 0
	v_mov_b32_e32 v4, 0
	v_mov_b32_e32 v5, v0
.LBB56_46:                              ; =>This Inner Loop Header: Depth=1
	v_add_u32_e32 v5, 0x100, v5
	v_cmp_le_i32_e64 s[0:1], s9, v5
	ds_write_b32 v3, v4
	s_or_b64 s[4:5], s[0:1], s[4:5]
	v_add_u32_e32 v3, 0x400, v3
	s_andn2_b64 exec, exec, s[4:5]
	s_cbranch_execnz .LBB56_46
.LBB56_47:
	s_or_b64 exec, exec, s[2:3]
	s_sub_i32 s0, s23, s9
	s_cmp_ge_i32 s23, s9
	s_cselect_b32 s33, s0, 0
	s_waitcnt lgkmcnt(0)
	s_barrier
	s_and_saveexec_b64 s[0:1], vcc
	s_xor_b64 s[4:5], exec, s[0:1]
	s_cbranch_execz .LBB56_66
; %bb.48:
	s_ashr_i32 s1, s23, 31
	s_mov_b32 s0, s23
	s_lshl_b64 s[0:1], s[0:1], 2
	s_add_u32 s0, s12, s0
	s_addc_u32 s1, s13, s1
	s_load_dword s0, s[0:1], 0x0
	s_waitcnt lgkmcnt(0)
	s_sub_i32 s34, s0, s30
	v_cmp_gt_i32_e32 vcc, s34, v0
	s_and_saveexec_b64 s[10:11], vcc
	s_cbranch_execz .LBB56_65
; %bb.49:
	s_add_i32 s35, s23, -1
	s_add_i32 s1, s23, -2
	s_cmp_lg_u32 s22, s1
	s_cselect_b64 s[2:3], -1, 0
	v_cndmask_b32_e64 v2, 0, 1, s[2:3]
	s_sub_i32 s36, s0, s24
	s_mov_b32 s37, 0
	s_mov_b64 s[16:17], 0
	v_cmp_ne_u32_e64 s[0:1], 1, v2
	v_mov_b32_e32 v7, s13
	v_mov_b32_e32 v8, s15
	;; [unrolled: 1-line block ×4, first 2 shown]
	s_branch .LBB56_52
.LBB56_50:                              ;   in Loop: Header=BB56_52 Depth=1
	s_or_b64 exec, exec, s[2:3]
.LBB56_51:                              ;   in Loop: Header=BB56_52 Depth=1
	s_or_b64 exec, exec, s[26:27]
	v_ashrrev_i32_e32 v3, 31, v2
	v_add_co_u32_e32 v2, vcc, s18, v2
	v_addc_co_u32_e32 v3, vcc, v10, v3, vcc
	global_load_sbyte v2, v[2:3], off
	s_addk_i32 s37, 0x100
	v_add_u32_e32 v3, s37, v0
	v_cmp_le_i32_e32 vcc, s34, v3
	s_or_b64 s[16:17], vcc, s[16:17]
	s_waitcnt vmcnt(0)
	v_cvt_f32_i32_e32 v2, v2
	s_waitcnt lgkmcnt(0)
	v_mul_f32_e32 v2, v13, v2
	ds_write_b32 v12, v2
	s_andn2_b64 exec, exec, s[16:17]
	s_cbranch_execz .LBB56_65
.LBB56_52:                              ; =>This Loop Header: Depth=1
                                        ;     Child Loop BB56_54 Depth 2
                                        ;     Child Loop BB56_61 Depth 2
	v_add_u32_e32 v3, s37, v1
	s_and_b64 vcc, exec, s[0:1]
	v_mov_b32_e32 v12, s22
	v_mov_b32_e32 v5, s35
	s_cbranch_vccnz .LBB56_56
; %bb.53:                               ;   in Loop: Header=BB56_52 Depth=1
	s_mov_b64 s[26:27], 0
	v_mov_b32_e32 v12, s22
	v_mov_b32_e32 v5, s35
.LBB56_54:                              ;   Parent Loop BB56_52 Depth=1
                                        ; =>  This Inner Loop Header: Depth=2
	v_add_u32_e32 v2, v5, v12
	v_lshrrev_b32_e32 v6, 31, v2
	v_add_u32_e32 v2, v2, v6
	v_ashrrev_i32_e32 v13, 1, v2
	v_ashrrev_i32_e32 v14, 31, v13
	v_lshlrev_b64 v[14:15], 2, v[13:14]
	v_mov_b32_e32 v4, s13
	v_add_co_u32_e32 v14, vcc, s12, v14
	v_addc_co_u32_e32 v15, vcc, v4, v15, vcc
	global_load_dword v2, v[14:15], off
	s_waitcnt vmcnt(0)
	v_subrev_u32_e32 v2, s24, v2
	v_cmp_lt_i32_e32 vcc, v3, v2
	v_cndmask_b32_e32 v5, v5, v13, vcc
	v_cndmask_b32_e32 v12, v13, v12, vcc
	v_add_u32_e32 v2, -1, v5
	v_cmp_ge_i32_e32 vcc, v12, v5
	v_cmp_eq_u32_e64 s[2:3], v12, v2
	s_or_b64 s[2:3], vcc, s[2:3]
	s_and_b64 s[2:3], exec, s[2:3]
	s_or_b64 s[26:27], s[2:3], s[26:27]
	s_andn2_b64 exec, exec, s[26:27]
	s_cbranch_execnz .LBB56_54
; %bb.55:                               ;   in Loop: Header=BB56_52 Depth=1
	s_or_b64 exec, exec, s[26:27]
.LBB56_56:                              ;   in Loop: Header=BB56_52 Depth=1
	v_ashrrev_i32_e32 v6, 31, v5
	v_lshlrev_b64 v[13:14], 2, v[5:6]
	v_ashrrev_i32_e32 v4, 31, v3
	v_add_co_u32_e32 v13, vcc, s12, v13
	v_addc_co_u32_e32 v14, vcc, v7, v14, vcc
	global_load_dword v2, v[13:14], off
	v_lshlrev_b64 v[13:14], 2, v[3:4]
	v_add_co_u32_e32 v13, vcc, s14, v13
	v_addc_co_u32_e32 v14, vcc, v8, v14, vcc
	global_load_dword v4, v[13:14], off
	v_cmp_le_i32_e32 vcc, s36, v3
                                        ; implicit-def: $vgpr13
	s_waitcnt vmcnt(1)
	v_subrev_u32_e32 v6, s24, v2
	v_cmp_lt_i32_e64 s[2:3], v3, v6
	v_cndmask_b32_e64 v3, v5, v12, s[2:3]
	v_lshl_add_u32 v12, s37, 2, v9
	s_waitcnt vmcnt(0)
	v_subrev_u32_e32 v2, s24, v4
	v_cmp_eq_u32_e64 s[2:3], v2, v3
	s_or_b64 s[2:3], s[2:3], vcc
	s_and_saveexec_b64 s[26:27], s[2:3]
	s_xor_b64 s[2:3], exec, s[26:27]
; %bb.57:                               ;   in Loop: Header=BB56_52 Depth=1
	ds_read_b32 v13, v12
                                        ; implicit-def: $vgpr3
; %bb.58:                               ;   in Loop: Header=BB56_52 Depth=1
	s_andn2_saveexec_b64 s[26:27], s[2:3]
	s_cbranch_execz .LBB56_51
; %bb.59:                               ;   in Loop: Header=BB56_52 Depth=1
	v_ashrrev_i32_e32 v4, 31, v3
	v_mov_b32_e32 v5, s19
	v_add_co_u32_e32 v3, vcc, s18, v3
	v_addc_co_u32_e32 v4, vcc, v5, v4, vcc
	global_load_sbyte v3, v[3:4], off
	s_waitcnt lgkmcnt(0)
	ds_read_b32 v13, v12
	v_cmp_gt_i32_e32 vcc, s33, v2
	v_cmp_le_i32_e64 s[2:3], s23, v2
	s_or_b64 s[2:3], vcc, s[2:3]
	s_waitcnt vmcnt(0)
	v_cvt_f32_i32_e32 v3, v3
	s_waitcnt lgkmcnt(0)
	v_mul_f32_e32 v14, v13, v3
	s_and_saveexec_b64 s[28:29], s[2:3]
	s_xor_b64 s[2:3], exec, s[28:29]
	s_cbranch_execz .LBB56_63
; %bb.60:                               ;   in Loop: Header=BB56_52 Depth=1
	v_ashrrev_i32_e32 v3, 31, v2
	v_lshlrev_b64 v[3:4], 2, v[2:3]
	v_mov_b32_e32 v5, s21
	v_add_co_u32_e32 v3, vcc, s20, v3
	v_addc_co_u32_e32 v4, vcc, v5, v4, vcc
	global_load_dword v6, v[3:4], off
	s_mov_b64 s[28:29], 0
.LBB56_61:                              ;   Parent Loop BB56_52 Depth=1
                                        ; =>  This Inner Loop Header: Depth=2
	s_waitcnt vmcnt(0)
	v_add_f32_e32 v5, v6, v14
	global_atomic_cmpswap v5, v[3:4], v[5:6], off glc
	s_waitcnt vmcnt(0)
	v_cmp_eq_u32_e32 vcc, v5, v6
	s_or_b64 s[28:29], vcc, s[28:29]
	v_mov_b32_e32 v6, v5
	s_andn2_b64 exec, exec, s[28:29]
	s_cbranch_execnz .LBB56_61
; %bb.62:                               ;   in Loop: Header=BB56_52 Depth=1
	s_or_b64 exec, exec, s[28:29]
                                        ; implicit-def: $vgpr14
.LBB56_63:                              ;   in Loop: Header=BB56_52 Depth=1
	s_andn2_saveexec_b64 s[2:3], s[2:3]
	s_cbranch_execz .LBB56_50
; %bb.64:                               ;   in Loop: Header=BB56_52 Depth=1
	v_subrev_u32_e32 v3, s33, v2
	v_lshl_add_u32 v3, v3, 2, v11
	ds_add_f32 v3, v14
	s_branch .LBB56_50
.LBB56_65:
	s_or_b64 exec, exec, s[10:11]
                                        ; implicit-def: $vgpr10
                                        ; implicit-def: $vgpr1
.LBB56_66:
	s_andn2_saveexec_b64 s[4:5], s[4:5]
	s_cbranch_execz .LBB56_128
; %bb.67:
	s_add_i32 s28, s23, -1
	s_add_i32 s0, s23, -2
	s_cmp_lg_u32 s22, s0
	s_cselect_b64 s[2:3], -1, 0
	s_cmp_eq_u32 s22, s0
	v_mov_b32_e32 v6, s22
	v_mov_b32_e32 v4, s28
	s_cbranch_scc1 .LBB56_71
; %bb.68:
	s_mov_b64 s[10:11], 0
	v_mov_b32_e32 v6, s22
	v_mov_b32_e32 v4, s28
	;; [unrolled: 1-line block ×3, first 2 shown]
.LBB56_69:                              ; =>This Inner Loop Header: Depth=1
	v_add_u32_e32 v5, v4, v6
	v_lshrrev_b32_e32 v7, 31, v5
	v_add_u32_e32 v5, v5, v7
	v_ashrrev_i32_e32 v7, 1, v5
	v_ashrrev_i32_e32 v8, 31, v7
	v_lshlrev_b64 v[11:12], 2, v[7:8]
	v_add_co_u32_e32 v11, vcc, s12, v11
	v_addc_co_u32_e32 v12, vcc, v3, v12, vcc
	global_load_dword v5, v[11:12], off
	s_waitcnt vmcnt(0)
	v_subrev_u32_e32 v5, s24, v5
	v_cmp_lt_i32_e32 vcc, v1, v5
	v_cndmask_b32_e32 v4, v4, v7, vcc
	v_cndmask_b32_e32 v6, v7, v6, vcc
	v_add_u32_e32 v5, -1, v4
	v_cmp_ge_i32_e32 vcc, v6, v4
	v_cmp_eq_u32_e64 s[0:1], v6, v5
	s_or_b64 s[0:1], vcc, s[0:1]
	s_and_b64 s[0:1], exec, s[0:1]
	s_or_b64 s[10:11], s[0:1], s[10:11]
	s_andn2_b64 exec, exec, s[10:11]
	s_cbranch_execnz .LBB56_69
; %bb.70:
	s_or_b64 exec, exec, s[10:11]
.LBB56_71:
	v_ashrrev_i32_e32 v5, 31, v4
	v_lshlrev_b64 v[7:8], 2, v[4:5]
	v_mov_b32_e32 v3, s13
	v_add_co_u32_e32 v7, vcc, s12, v7
	v_addc_co_u32_e32 v8, vcc, v3, v8, vcc
	v_lshlrev_b64 v[2:3], 2, v[1:2]
	global_load_dword v5, v[7:8], off
	v_mov_b32_e32 v7, s15
	v_add_co_u32_e32 v2, vcc, s14, v2
	v_addc_co_u32_e32 v3, vcc, v7, v3, vcc
	global_load_dword v7, v[2:3], off
	s_ashr_i32 s1, s23, 31
	s_mov_b32 s0, s23
	s_lshl_b64 s[0:1], s[0:1], 2
	s_add_u32 s10, s12, s0
	s_addc_u32 s11, s13, s1
                                        ; implicit-def: $vgpr11
	s_waitcnt vmcnt(1)
	v_subrev_u32_e32 v5, s24, v5
	v_cmp_lt_i32_e32 vcc, v1, v5
	v_cndmask_b32_e32 v5, v4, v6, vcc
	s_waitcnt vmcnt(0)
	v_subrev_u32_e32 v4, s24, v7
	v_cmp_ne_u32_e32 vcc, v4, v5
	s_and_saveexec_b64 s[0:1], vcc
	s_xor_b64 s[14:15], exec, s[0:1]
	s_cbranch_execz .LBB56_80
; %bb.72:
	s_load_dword s0, s[10:11], 0x0
	ds_read_b32 v11, v9
	s_waitcnt lgkmcnt(0)
	s_sub_i32 s0, s0, s24
	v_cmp_gt_i32_e32 vcc, s0, v1
	s_and_saveexec_b64 s[16:17], vcc
	s_cbranch_execz .LBB56_79
; %bb.73:
	v_ashrrev_i32_e32 v6, 31, v5
	v_mov_b32_e32 v7, s19
	v_add_co_u32_e32 v5, vcc, s18, v5
	v_addc_co_u32_e32 v6, vcc, v7, v6, vcc
	global_load_sbyte v5, v[5:6], off
	v_cmp_gt_i32_e32 vcc, s33, v4
	v_cmp_le_i32_e64 s[0:1], s23, v4
	s_or_b64 s[0:1], vcc, s[0:1]
	s_waitcnt vmcnt(0)
	v_cvt_f32_i32_e32 v5, v5
	v_mul_f32_e32 v12, v11, v5
	s_and_saveexec_b64 s[26:27], s[0:1]
	s_xor_b64 s[0:1], exec, s[26:27]
	s_cbranch_execz .LBB56_77
; %bb.74:
	v_ashrrev_i32_e32 v5, 31, v4
	v_lshlrev_b64 v[5:6], 2, v[4:5]
	v_mov_b32_e32 v7, s21
	v_add_co_u32_e32 v5, vcc, s20, v5
	v_addc_co_u32_e32 v6, vcc, v7, v6, vcc
	global_load_dword v8, v[5:6], off
	s_mov_b64 s[26:27], 0
.LBB56_75:                              ; =>This Inner Loop Header: Depth=1
	s_waitcnt vmcnt(0)
	v_add_f32_e32 v7, v8, v12
	global_atomic_cmpswap v7, v[5:6], v[7:8], off glc
	s_waitcnt vmcnt(0)
	v_cmp_eq_u32_e32 vcc, v7, v8
	s_or_b64 s[26:27], vcc, s[26:27]
	v_mov_b32_e32 v8, v7
	s_andn2_b64 exec, exec, s[26:27]
	s_cbranch_execnz .LBB56_75
; %bb.76:
	s_or_b64 exec, exec, s[26:27]
                                        ; implicit-def: $vgpr12
.LBB56_77:
	s_andn2_saveexec_b64 s[0:1], s[0:1]
; %bb.78:
	v_subrev_u32_e32 v5, s33, v4
	v_mov_b32_e32 v6, 0x1000
	v_lshl_add_u32 v5, v5, 2, v6
	ds_add_f32 v5, v12
.LBB56_79:
	s_or_b64 exec, exec, s[16:17]
.LBB56_80:
	s_andn2_saveexec_b64 s[0:1], s[14:15]
; %bb.81:
	ds_read_b32 v11, v9
; %bb.82:
	s_or_b64 exec, exec, s[0:1]
	v_ashrrev_i32_e32 v5, 31, v4
	v_mov_b32_e32 v6, s19
	v_add_co_u32_e32 v4, vcc, s18, v4
	v_addc_co_u32_e32 v5, vcc, v6, v5, vcc
	global_load_sbyte v4, v[4:5], off
	v_cndmask_b32_e64 v5, 0, 1, s[2:3]
	v_add_u32_e32 v6, 0x100, v1
	v_mov_b32_e32 v7, s22
	v_cmp_ne_u32_e64 s[0:1], 1, v5
	s_andn2_b64 vcc, exec, s[2:3]
	s_waitcnt vmcnt(0)
	v_cvt_f32_i32_e32 v4, v4
	s_waitcnt lgkmcnt(0)
	v_mul_f32_e32 v4, v11, v4
	ds_write_b32 v9, v4
	v_mov_b32_e32 v4, s28
	s_cbranch_vccnz .LBB56_86
; %bb.83:
	s_mov_b64 s[14:15], 0
	v_mov_b32_e32 v7, s22
	v_mov_b32_e32 v4, s28
	;; [unrolled: 1-line block ×3, first 2 shown]
.LBB56_84:                              ; =>This Inner Loop Header: Depth=1
	v_add_u32_e32 v8, v4, v7
	v_lshrrev_b32_e32 v11, 31, v8
	v_add_u32_e32 v8, v8, v11
	v_ashrrev_i32_e32 v11, 1, v8
	v_ashrrev_i32_e32 v12, 31, v11
	v_lshlrev_b64 v[12:13], 2, v[11:12]
	v_add_co_u32_e32 v12, vcc, s12, v12
	v_addc_co_u32_e32 v13, vcc, v5, v13, vcc
	global_load_dword v8, v[12:13], off
	s_waitcnt vmcnt(0)
	v_subrev_u32_e32 v8, s24, v8
	v_cmp_lt_i32_e32 vcc, v6, v8
	v_cndmask_b32_e32 v4, v4, v11, vcc
	v_cndmask_b32_e32 v7, v11, v7, vcc
	v_add_u32_e32 v8, -1, v4
	v_cmp_ge_i32_e32 vcc, v7, v4
	v_cmp_eq_u32_e64 s[2:3], v7, v8
	s_or_b64 s[2:3], vcc, s[2:3]
	s_and_b64 s[2:3], exec, s[2:3]
	s_or_b64 s[14:15], s[2:3], s[14:15]
	s_andn2_b64 exec, exec, s[14:15]
	s_cbranch_execnz .LBB56_84
; %bb.85:
	s_or_b64 exec, exec, s[14:15]
.LBB56_86:
	v_ashrrev_i32_e32 v5, 31, v4
	v_lshlrev_b64 v[11:12], 2, v[4:5]
	v_mov_b32_e32 v5, s13
	v_add_co_u32_e32 v11, vcc, s12, v11
	v_addc_co_u32_e32 v12, vcc, v5, v12, vcc
	global_load_dword v5, v[11:12], off
	global_load_dword v8, v[2:3], off offset:1024
                                        ; implicit-def: $vgpr11
	s_waitcnt vmcnt(1)
	v_subrev_u32_e32 v5, s24, v5
	v_cmp_lt_i32_e32 vcc, v6, v5
	v_cndmask_b32_e32 v5, v4, v7, vcc
	s_waitcnt vmcnt(0)
	v_subrev_u32_e32 v4, s24, v8
	v_cmp_ne_u32_e32 vcc, v4, v5
	s_and_saveexec_b64 s[2:3], vcc
	s_xor_b64 s[14:15], exec, s[2:3]
	s_cbranch_execz .LBB56_95
; %bb.87:
	s_load_dword s2, s[10:11], 0x0
	ds_read_b32 v11, v9 offset:1024
	s_waitcnt lgkmcnt(0)
	s_sub_i32 s2, s2, s24
	v_cmp_gt_i32_e32 vcc, s2, v6
	s_and_saveexec_b64 s[16:17], vcc
	s_cbranch_execz .LBB56_94
; %bb.88:
	v_ashrrev_i32_e32 v6, 31, v5
	v_mov_b32_e32 v7, s19
	v_add_co_u32_e32 v5, vcc, s18, v5
	v_addc_co_u32_e32 v6, vcc, v7, v6, vcc
	global_load_sbyte v5, v[5:6], off
	v_cmp_gt_i32_e32 vcc, s33, v4
	v_cmp_le_i32_e64 s[2:3], s23, v4
	s_or_b64 s[2:3], vcc, s[2:3]
	s_waitcnt vmcnt(0)
	v_cvt_f32_i32_e32 v5, v5
	v_mul_f32_e32 v12, v11, v5
	s_and_saveexec_b64 s[26:27], s[2:3]
	s_xor_b64 s[2:3], exec, s[26:27]
	s_cbranch_execz .LBB56_92
; %bb.89:
	v_ashrrev_i32_e32 v5, 31, v4
	v_lshlrev_b64 v[5:6], 2, v[4:5]
	v_mov_b32_e32 v7, s21
	v_add_co_u32_e32 v5, vcc, s20, v5
	v_addc_co_u32_e32 v6, vcc, v7, v6, vcc
	global_load_dword v8, v[5:6], off
	s_mov_b64 s[26:27], 0
.LBB56_90:                              ; =>This Inner Loop Header: Depth=1
	s_waitcnt vmcnt(0)
	v_add_f32_e32 v7, v8, v12
	global_atomic_cmpswap v7, v[5:6], v[7:8], off glc
	s_waitcnt vmcnt(0)
	v_cmp_eq_u32_e32 vcc, v7, v8
	s_or_b64 s[26:27], vcc, s[26:27]
	v_mov_b32_e32 v8, v7
	s_andn2_b64 exec, exec, s[26:27]
	s_cbranch_execnz .LBB56_90
; %bb.91:
	s_or_b64 exec, exec, s[26:27]
                                        ; implicit-def: $vgpr12
.LBB56_92:
	s_andn2_saveexec_b64 s[2:3], s[2:3]
; %bb.93:
	v_subrev_u32_e32 v5, s33, v4
	v_mov_b32_e32 v6, 0x1000
	v_lshl_add_u32 v5, v5, 2, v6
	ds_add_f32 v5, v12
.LBB56_94:
	s_or_b64 exec, exec, s[16:17]
.LBB56_95:
	s_andn2_saveexec_b64 s[2:3], s[14:15]
; %bb.96:
	ds_read_b32 v11, v9 offset:1024
; %bb.97:
	s_or_b64 exec, exec, s[2:3]
	v_ashrrev_i32_e32 v5, 31, v4
	v_mov_b32_e32 v6, s19
	v_add_co_u32_e32 v4, vcc, s18, v4
	v_addc_co_u32_e32 v5, vcc, v6, v5, vcc
	global_load_sbyte v4, v[4:5], off
	v_add_u32_e32 v6, 0x200, v1
	s_and_b64 vcc, exec, s[0:1]
	v_mov_b32_e32 v1, s22
	s_waitcnt vmcnt(0)
	v_cvt_f32_i32_e32 v4, v4
	s_waitcnt lgkmcnt(0)
	v_mul_f32_e32 v4, v11, v4
	ds_write_b32 v9, v4 offset:1024
	v_mov_b32_e32 v4, s28
	s_cbranch_vccnz .LBB56_101
; %bb.98:
	s_mov_b64 s[14:15], 0
	v_mov_b32_e32 v1, s22
	v_mov_b32_e32 v4, s28
	;; [unrolled: 1-line block ×3, first 2 shown]
.LBB56_99:                              ; =>This Inner Loop Header: Depth=1
	v_add_u32_e32 v7, v4, v1
	v_lshrrev_b32_e32 v8, 31, v7
	v_add_u32_e32 v7, v7, v8
	v_ashrrev_i32_e32 v7, 1, v7
	v_ashrrev_i32_e32 v8, 31, v7
	v_lshlrev_b64 v[11:12], 2, v[7:8]
	v_add_co_u32_e32 v11, vcc, s12, v11
	v_addc_co_u32_e32 v12, vcc, v5, v12, vcc
	global_load_dword v8, v[11:12], off
	s_waitcnt vmcnt(0)
	v_subrev_u32_e32 v8, s24, v8
	v_cmp_lt_i32_e32 vcc, v6, v8
	v_cndmask_b32_e32 v4, v4, v7, vcc
	v_cndmask_b32_e32 v1, v7, v1, vcc
	v_add_u32_e32 v7, -1, v4
	v_cmp_ge_i32_e32 vcc, v1, v4
	v_cmp_eq_u32_e64 s[2:3], v1, v7
	s_or_b64 s[2:3], vcc, s[2:3]
	s_and_b64 s[2:3], exec, s[2:3]
	s_or_b64 s[14:15], s[2:3], s[14:15]
	s_andn2_b64 exec, exec, s[14:15]
	s_cbranch_execnz .LBB56_99
; %bb.100:
	s_or_b64 exec, exec, s[14:15]
.LBB56_101:
	v_ashrrev_i32_e32 v5, 31, v4
	v_lshlrev_b64 v[7:8], 2, v[4:5]
	v_mov_b32_e32 v5, s13
	v_add_co_u32_e32 v7, vcc, s12, v7
	v_addc_co_u32_e32 v8, vcc, v5, v8, vcc
	global_load_dword v5, v[7:8], off
	global_load_dword v11, v[2:3], off offset:2048
	s_waitcnt vmcnt(1)
	v_subrev_u32_e32 v5, s24, v5
	v_cmp_lt_i32_e32 vcc, v6, v5
	v_cndmask_b32_e32 v5, v4, v1, vcc
	s_waitcnt vmcnt(0)
	v_subrev_u32_e32 v4, s24, v11
	v_cmp_ne_u32_e32 vcc, v4, v5
                                        ; implicit-def: $vgpr1
	s_and_saveexec_b64 s[2:3], vcc
	s_xor_b64 s[14:15], exec, s[2:3]
	s_cbranch_execz .LBB56_110
; %bb.102:
	s_load_dword s2, s[10:11], 0x0
	ds_read_b32 v1, v9 offset:2048
	s_waitcnt lgkmcnt(0)
	s_sub_i32 s2, s2, s24
	v_cmp_gt_i32_e32 vcc, s2, v6
	s_and_saveexec_b64 s[16:17], vcc
	s_cbranch_execz .LBB56_109
; %bb.103:
	v_ashrrev_i32_e32 v6, 31, v5
	v_mov_b32_e32 v7, s19
	v_add_co_u32_e32 v5, vcc, s18, v5
	v_addc_co_u32_e32 v6, vcc, v7, v6, vcc
	global_load_sbyte v5, v[5:6], off
	v_cmp_gt_i32_e32 vcc, s33, v4
	v_cmp_le_i32_e64 s[2:3], s23, v4
	s_or_b64 s[2:3], vcc, s[2:3]
	s_waitcnt vmcnt(0)
	v_cvt_f32_i32_e32 v5, v5
	v_mul_f32_e32 v11, v1, v5
	s_and_saveexec_b64 s[26:27], s[2:3]
	s_xor_b64 s[2:3], exec, s[26:27]
	s_cbranch_execz .LBB56_107
; %bb.104:
	v_ashrrev_i32_e32 v5, 31, v4
	v_lshlrev_b64 v[5:6], 2, v[4:5]
	v_mov_b32_e32 v7, s21
	v_add_co_u32_e32 v5, vcc, s20, v5
	v_addc_co_u32_e32 v6, vcc, v7, v6, vcc
	global_load_dword v8, v[5:6], off
	s_mov_b64 s[26:27], 0
.LBB56_105:                             ; =>This Inner Loop Header: Depth=1
	s_waitcnt vmcnt(0)
	v_add_f32_e32 v7, v8, v11
	global_atomic_cmpswap v7, v[5:6], v[7:8], off glc
	s_waitcnt vmcnt(0)
	v_cmp_eq_u32_e32 vcc, v7, v8
	s_or_b64 s[26:27], vcc, s[26:27]
	v_mov_b32_e32 v8, v7
	s_andn2_b64 exec, exec, s[26:27]
	s_cbranch_execnz .LBB56_105
; %bb.106:
	s_or_b64 exec, exec, s[26:27]
                                        ; implicit-def: $vgpr11
.LBB56_107:
	s_andn2_saveexec_b64 s[2:3], s[2:3]
; %bb.108:
	v_subrev_u32_e32 v5, s33, v4
	v_mov_b32_e32 v6, 0x1000
	v_lshl_add_u32 v5, v5, 2, v6
	ds_add_f32 v5, v11
.LBB56_109:
	s_or_b64 exec, exec, s[16:17]
.LBB56_110:
	s_andn2_saveexec_b64 s[2:3], s[14:15]
; %bb.111:
	ds_read_b32 v1, v9 offset:2048
; %bb.112:
	s_or_b64 exec, exec, s[2:3]
	v_ashrrev_i32_e32 v5, 31, v4
	v_mov_b32_e32 v6, s19
	v_add_co_u32_e32 v4, vcc, s18, v4
	v_addc_co_u32_e32 v5, vcc, v6, v5, vcc
	global_load_sbyte v4, v[4:5], off
	s_and_b64 vcc, exec, s[0:1]
	v_mov_b32_e32 v6, s22
	s_waitcnt vmcnt(0)
	v_cvt_f32_i32_e32 v4, v4
	s_waitcnt lgkmcnt(0)
	v_mul_f32_e32 v1, v1, v4
	v_mov_b32_e32 v4, s28
	ds_write_b32 v9, v1 offset:2048
	s_cbranch_vccnz .LBB56_116
; %bb.113:
	s_mov_b64 s[2:3], 0
	v_mov_b32_e32 v6, s22
	v_mov_b32_e32 v4, s28
	;; [unrolled: 1-line block ×3, first 2 shown]
.LBB56_114:                             ; =>This Inner Loop Header: Depth=1
	v_add_u32_e32 v5, v4, v6
	v_lshrrev_b32_e32 v7, 31, v5
	v_add_u32_e32 v5, v5, v7
	v_ashrrev_i32_e32 v7, 1, v5
	v_ashrrev_i32_e32 v8, 31, v7
	v_lshlrev_b64 v[11:12], 2, v[7:8]
	v_add_co_u32_e32 v11, vcc, s12, v11
	v_addc_co_u32_e32 v12, vcc, v1, v12, vcc
	global_load_dword v5, v[11:12], off
	s_waitcnt vmcnt(0)
	v_subrev_u32_e32 v5, s24, v5
	v_cmp_lt_i32_e32 vcc, v10, v5
	v_cndmask_b32_e32 v4, v4, v7, vcc
	v_cndmask_b32_e32 v6, v7, v6, vcc
	v_add_u32_e32 v5, -1, v4
	v_cmp_ge_i32_e32 vcc, v6, v4
	v_cmp_eq_u32_e64 s[0:1], v6, v5
	s_or_b64 s[0:1], vcc, s[0:1]
	s_and_b64 s[0:1], exec, s[0:1]
	s_or_b64 s[2:3], s[0:1], s[2:3]
	s_andn2_b64 exec, exec, s[2:3]
	s_cbranch_execnz .LBB56_114
; %bb.115:
	s_or_b64 exec, exec, s[2:3]
.LBB56_116:
	v_ashrrev_i32_e32 v5, 31, v4
	v_lshlrev_b64 v[7:8], 2, v[4:5]
	v_mov_b32_e32 v1, s13
	v_add_co_u32_e32 v7, vcc, s12, v7
	v_addc_co_u32_e32 v8, vcc, v1, v8, vcc
	global_load_dword v1, v[7:8], off
	global_load_dword v5, v[2:3], off offset:3072
	s_waitcnt vmcnt(1)
	v_subrev_u32_e32 v1, s24, v1
	v_cmp_lt_i32_e32 vcc, v10, v1
	v_cndmask_b32_e32 v2, v4, v6, vcc
	s_waitcnt vmcnt(0)
	v_subrev_u32_e32 v1, s24, v5
	v_cmp_ne_u32_e32 vcc, v1, v2
                                        ; implicit-def: $vgpr6
	s_and_saveexec_b64 s[0:1], vcc
	s_xor_b64 s[2:3], exec, s[0:1]
	s_cbranch_execz .LBB56_125
; %bb.117:
	s_load_dword s0, s[10:11], 0x0
	ds_read_b32 v6, v9 offset:3072
	s_waitcnt lgkmcnt(0)
	s_sub_i32 s0, s0, s24
	v_cmp_gt_i32_e32 vcc, s0, v10
	s_and_saveexec_b64 s[10:11], vcc
	s_cbranch_execz .LBB56_124
; %bb.118:
	v_ashrrev_i32_e32 v3, 31, v2
	v_mov_b32_e32 v4, s19
	v_add_co_u32_e32 v2, vcc, s18, v2
	v_addc_co_u32_e32 v3, vcc, v4, v3, vcc
	global_load_sbyte v2, v[2:3], off
	v_cmp_gt_i32_e32 vcc, s33, v1
	v_cmp_le_i32_e64 s[0:1], s23, v1
	s_or_b64 s[0:1], vcc, s[0:1]
	s_waitcnt vmcnt(0)
	v_cvt_f32_i32_e32 v2, v2
	v_mul_f32_e32 v7, v6, v2
	s_and_saveexec_b64 s[14:15], s[0:1]
	s_xor_b64 s[0:1], exec, s[14:15]
	s_cbranch_execz .LBB56_122
; %bb.119:
	v_ashrrev_i32_e32 v2, 31, v1
	v_lshlrev_b64 v[2:3], 2, v[1:2]
	v_mov_b32_e32 v4, s21
	v_add_co_u32_e32 v2, vcc, s20, v2
	v_addc_co_u32_e32 v3, vcc, v4, v3, vcc
	global_load_dword v5, v[2:3], off
	s_mov_b64 s[14:15], 0
.LBB56_120:                             ; =>This Inner Loop Header: Depth=1
	s_waitcnt vmcnt(0)
	v_add_f32_e32 v4, v5, v7
	global_atomic_cmpswap v4, v[2:3], v[4:5], off glc
	s_waitcnt vmcnt(0)
	v_cmp_eq_u32_e32 vcc, v4, v5
	s_or_b64 s[14:15], vcc, s[14:15]
	v_mov_b32_e32 v5, v4
	s_andn2_b64 exec, exec, s[14:15]
	s_cbranch_execnz .LBB56_120
; %bb.121:
	s_or_b64 exec, exec, s[14:15]
                                        ; implicit-def: $vgpr7
.LBB56_122:
	s_andn2_saveexec_b64 s[0:1], s[0:1]
; %bb.123:
	v_subrev_u32_e32 v2, s33, v1
	v_mov_b32_e32 v3, 0x1000
	v_lshl_add_u32 v2, v2, 2, v3
	ds_add_f32 v2, v7
.LBB56_124:
	s_or_b64 exec, exec, s[10:11]
.LBB56_125:
	s_andn2_saveexec_b64 s[0:1], s[2:3]
; %bb.126:
	ds_read_b32 v6, v9 offset:3072
; %bb.127:
	s_or_b64 exec, exec, s[0:1]
	v_ashrrev_i32_e32 v2, 31, v1
	v_mov_b32_e32 v3, s19
	v_add_co_u32_e32 v1, vcc, s18, v1
	v_addc_co_u32_e32 v2, vcc, v3, v2, vcc
	global_load_sbyte v1, v[1:2], off
	s_waitcnt vmcnt(0)
	v_cvt_f32_i32_e32 v1, v1
	s_waitcnt lgkmcnt(0)
	v_mul_f32_e32 v1, v6, v1
	ds_write_b32 v9, v1 offset:3072
.LBB56_128:
	s_or_b64 exec, exec, s[4:5]
	s_min_i32 s9, s23, s9
	s_sub_i32 s10, s9, s25
	v_cmp_gt_i32_e32 vcc, s10, v0
	s_waitcnt lgkmcnt(0)
	s_barrier
	s_and_saveexec_b64 s[0:1], vcc
	s_cbranch_execz .LBB56_133
; %bb.129:
	s_mov_b64 s[2:3], 0
	v_mov_b32_e32 v5, s21
	v_mov_b32_e32 v6, 0x1000
	;; [unrolled: 1-line block ×3, first 2 shown]
.LBB56_130:                             ; =>This Loop Header: Depth=1
                                        ;     Child Loop BB56_131 Depth 2
	v_add_u32_e32 v1, s33, v7
	v_ashrrev_i32_e32 v2, 31, v1
	v_lshlrev_b64 v[1:2], 2, v[1:2]
	v_lshl_add_u32 v3, v7, 2, v6
	v_add_co_u32_e32 v1, vcc, s20, v1
	v_addc_co_u32_e32 v2, vcc, v5, v2, vcc
	global_load_dword v4, v[1:2], off
	ds_read_b32 v8, v3
	s_mov_b64 s[4:5], 0
.LBB56_131:                             ;   Parent Loop BB56_130 Depth=1
                                        ; =>  This Inner Loop Header: Depth=2
	s_waitcnt vmcnt(0) lgkmcnt(0)
	v_add_f32_e32 v3, v4, v8
	global_atomic_cmpswap v3, v[1:2], v[3:4], off glc
	s_waitcnt vmcnt(0)
	v_cmp_eq_u32_e32 vcc, v3, v4
	s_or_b64 s[4:5], vcc, s[4:5]
	v_mov_b32_e32 v4, v3
	s_andn2_b64 exec, exec, s[4:5]
	s_cbranch_execnz .LBB56_131
; %bb.132:                              ;   in Loop: Header=BB56_130 Depth=1
	s_or_b64 exec, exec, s[4:5]
	v_add_u32_e32 v7, 0x100, v7
	v_cmp_le_i32_e32 vcc, s10, v7
	s_or_b64 s[2:3], vcc, s[2:3]
	s_andn2_b64 exec, exec, s[2:3]
	s_cbranch_execnz .LBB56_130
.LBB56_133:
	s_or_b64 exec, exec, s[0:1]
	s_mul_i32 s0, s8, s25
	s_sub_i32 s0, s31, s0
	s_add_i32 s1, s8, 1
	s_sub_i32 s2, s0, s25
	s_cmp_ge_u32 s0, s25
	s_cselect_b32 s1, s1, s8
	s_cselect_b32 s0, s2, s0
	s_add_i32 s2, s1, 1
	s_cmp_ge_u32 s0, s25
	s_cselect_b32 s0, s2, s1
	s_add_i32 s0, s0, -1
	s_ashr_i32 s1, s0, 1
	s_or_b32 s0, s1, s0
	s_ashr_i32 s1, s0, 2
	s_or_b32 s0, s1, s0
	;; [unrolled: 2-line block ×5, first 2 shown]
	s_add_i32 s0, s0, 1
	s_ashr_i32 s11, s0, 1
	v_add_u32_e32 v1, s22, v0
	s_cmp_gt_i32 s11, 1
	s_mov_b64 s[0:1], -1
	s_barrier
	s_cbranch_scc1 .LBB56_144
; %bb.134:
	v_cmp_gt_i32_e32 vcc, s23, v1
	s_and_saveexec_b64 s[0:1], vcc
	s_cbranch_execz .LBB56_143
; %bb.135:
	s_sub_i32 s2, s9, s23
	s_lshl_b32 s2, s2, 2
	s_add_i32 s14, s2, 0x1000
	s_lshl_b32 s2, s30, 2
	s_sub_i32 s15, 0, s2
	s_mov_b64 s[2:3], 0
	v_mov_b32_e32 v7, s13
	v_mov_b32_e32 v8, s21
	;; [unrolled: 1-line block ×3, first 2 shown]
.LBB56_136:                             ; =>This Loop Header: Depth=1
                                        ;     Child Loop BB56_138 Depth 2
                                        ;     Child Loop BB56_141 Depth 2
	v_ashrrev_i32_e32 v3, 31, v2
	v_lshlrev_b64 v[3:4], 2, v[2:3]
	v_mov_b32_e32 v10, 0
	v_add_co_u32_e32 v5, vcc, s12, v3
	v_addc_co_u32_e32 v6, vcc, v7, v4, vcc
	global_load_dwordx2 v[5:6], v[5:6], off
	s_waitcnt vmcnt(0)
	v_cmp_lt_i32_e32 vcc, v5, v6
	s_and_saveexec_b64 s[4:5], vcc
	s_cbranch_execz .LBB56_140
; %bb.137:                              ;   in Loop: Header=BB56_136 Depth=1
	v_subrev_u32_e32 v6, s30, v6
	v_subrev_u32_e32 v11, s30, v5
	v_lshl_add_u32 v5, v5, 2, s15
	v_mov_b32_e32 v10, 0
	s_mov_b64 s[8:9], 0
.LBB56_138:                             ;   Parent Loop BB56_136 Depth=1
                                        ; =>  This Inner Loop Header: Depth=2
	ds_read_b32 v12, v5
	v_add_u32_e32 v11, 1, v11
	v_cmp_ge_i32_e32 vcc, v11, v6
	v_add_u32_e32 v5, 4, v5
	s_or_b64 s[8:9], vcc, s[8:9]
	s_waitcnt lgkmcnt(0)
	v_add_f32_e32 v10, v10, v12
	s_andn2_b64 exec, exec, s[8:9]
	s_cbranch_execnz .LBB56_138
; %bb.139:                              ;   in Loop: Header=BB56_136 Depth=1
	s_or_b64 exec, exec, s[8:9]
.LBB56_140:                             ;   in Loop: Header=BB56_136 Depth=1
	s_or_b64 exec, exec, s[4:5]
	v_add_co_u32_e32 v3, vcc, s20, v3
	v_addc_co_u32_e32 v4, vcc, v8, v4, vcc
	global_load_dword v6, v[3:4], off
	v_lshl_add_u32 v5, v2, 2, s14
	ds_read_b32 v5, v5
	s_mov_b64 s[4:5], 0
	s_waitcnt lgkmcnt(0)
	v_add_f32_e32 v10, v10, v5
.LBB56_141:                             ;   Parent Loop BB56_136 Depth=1
                                        ; =>  This Inner Loop Header: Depth=2
	s_waitcnt vmcnt(0)
	v_add_f32_e32 v5, v6, v10
	global_atomic_cmpswap v5, v[3:4], v[5:6], off glc
	s_waitcnt vmcnt(0)
	v_cmp_eq_u32_e32 vcc, v5, v6
	s_or_b64 s[4:5], vcc, s[4:5]
	v_mov_b32_e32 v6, v5
	s_andn2_b64 exec, exec, s[4:5]
	s_cbranch_execnz .LBB56_141
; %bb.142:                              ;   in Loop: Header=BB56_136 Depth=1
	s_or_b64 exec, exec, s[4:5]
	v_add_u32_e32 v2, s31, v2
	v_cmp_le_i32_e32 vcc, s23, v2
	s_or_b64 s[2:3], vcc, s[2:3]
	s_andn2_b64 exec, exec, s[2:3]
	s_cbranch_execnz .LBB56_136
.LBB56_143:
	s_or_b64 exec, exec, s[0:1]
	s_mov_b64 s[0:1], 0
.LBB56_144:
	s_andn2_b64 vcc, exec, s[0:1]
	s_cbranch_vccnz .LBB56_158
; %bb.145:
	v_cvt_f32_u32_e32 v2, s11
	s_sub_i32 s0, 0, s11
	v_rcp_iflag_f32_e32 v2, v2
	v_mul_f32_e32 v2, 0x4f7ffffe, v2
	v_cvt_u32_f32_e32 v2, v2
	v_mul_lo_u32 v3, s0, v2
	v_mul_hi_u32 v3, v2, v3
	v_add_u32_e32 v2, v2, v3
	v_mul_hi_u32 v2, v0, v2
	v_mul_lo_u32 v3, v2, s11
	v_add_u32_e32 v4, 1, v2
	v_sub_u32_e32 v3, v0, v3
	v_cmp_le_u32_e32 vcc, s11, v3
	v_cndmask_b32_e32 v2, v2, v4, vcc
	v_subrev_u32_e32 v4, s11, v3
	v_cndmask_b32_e32 v3, v3, v4, vcc
	v_add_u32_e32 v4, 1, v2
	v_cmp_le_u32_e32 vcc, s11, v3
	v_cndmask_b32_e32 v4, v2, v4, vcc
	v_lshlrev_b32_e32 v2, 2, v4
	global_load_dwordx2 v[2:3], v2, s[6:7]
	v_cmp_gt_i32_e32 vcc, s25, v4
	v_mov_b32_e32 v4, 0
	s_and_saveexec_b64 s[0:1], vcc
	s_cbranch_execz .LBB56_153
; %bb.146:
	s_abs_i32 s4, s11
	v_cvt_f32_u32_e32 v4, s4
	s_sub_i32 s2, 0, s4
	s_waitcnt vmcnt(0)
	v_subrev_u32_e32 v5, s30, v3
	v_subrev_u32_e32 v2, s30, v2
	v_rcp_iflag_f32_e32 v4, v4
	v_sub_u32_e32 v8, v5, v2
	s_ashr_i32 s5, s11, 31
	v_mul_f32_e32 v4, 0x4f7ffffe, v4
	v_cvt_u32_f32_e32 v4, v4
	v_mul_lo_u32 v6, s2, v4
	v_mul_hi_u32 v3, v4, v6
	v_sub_u32_e32 v6, 0, v8
	v_max_i32_e32 v10, v8, v6
	v_ashrrev_i32_e32 v8, 31, v8
	v_add_u32_e32 v3, v4, v3
	v_mad_u64_u32 v[6:7], s[2:3], v10, v3, 0
	v_xor_b32_e32 v8, s5, v8
	s_add_i32 s2, s11, -1
	v_mul_lo_u32 v3, v7, s4
	v_add_u32_e32 v11, 1, v7
	v_and_b32_e32 v6, s2, v0
	v_mov_b32_e32 v4, 0
	v_sub_u32_e32 v3, v10, v3
	v_cmp_le_u32_e32 vcc, s4, v3
	v_subrev_u32_e32 v10, s4, v3
	v_cndmask_b32_e32 v7, v7, v11, vcc
	v_cndmask_b32_e32 v3, v3, v10, vcc
	v_add_u32_e32 v10, 1, v7
	v_cmp_le_u32_e32 vcc, s4, v3
	v_cndmask_b32_e32 v3, v7, v10, vcc
	v_xor_b32_e32 v3, v3, v8
	v_sub_u32_e32 v3, v3, v8
	v_cmp_lt_i32_e32 vcc, 0, v3
	v_lshlrev_b32_e32 v7, 2, v6
	s_and_saveexec_b64 s[2:3], vcc
	s_cbranch_execz .LBB56_150
; %bb.147:
	v_lshl_add_u32 v8, v2, 2, v7
	s_lshl_b32 s6, s11, 2
	v_mov_b32_e32 v4, 0
	s_mov_b64 s[4:5], 0
	v_mov_b32_e32 v10, v3
.LBB56_148:                             ; =>This Inner Loop Header: Depth=1
	ds_read_b32 v11, v8
	v_add_u32_e32 v10, -1, v10
	v_cmp_eq_u32_e32 vcc, 0, v10
	v_add_u32_e32 v8, s6, v8
	s_or_b64 s[4:5], vcc, s[4:5]
	s_waitcnt lgkmcnt(0)
	v_add_f32_e32 v4, v4, v11
	s_andn2_b64 exec, exec, s[4:5]
	s_cbranch_execnz .LBB56_148
; %bb.149:
	s_or_b64 exec, exec, s[4:5]
.LBB56_150:
	s_or_b64 exec, exec, s[2:3]
	v_mad_u64_u32 v[2:3], s[2:3], v3, s11, v[2:3]
	v_sub_u32_e32 v3, v5, v2
	v_cmp_lt_i32_e32 vcc, v6, v3
	s_and_saveexec_b64 s[2:3], vcc
	s_cbranch_execz .LBB56_152
; %bb.151:
	v_lshl_add_u32 v2, v2, 2, v7
	ds_read_b32 v2, v2
	s_waitcnt lgkmcnt(0)
	v_add_f32_e32 v4, v4, v2
.LBB56_152:
	s_or_b64 exec, exec, s[2:3]
.LBB56_153:
	s_or_b64 exec, exec, s[0:1]
	v_cmp_gt_i32_e32 vcc, s25, v0
	s_waitcnt vmcnt(0)
	s_barrier
	ds_write_b32 v9, v4
	s_waitcnt lgkmcnt(0)
	s_barrier
	s_and_saveexec_b64 s[0:1], vcc
	s_cbranch_execz .LBB56_158
; %bb.154:
	v_mul_lo_u32 v2, s11, v0
	v_mov_b32_e32 v3, 0
	v_lshlrev_b32_e32 v2, 2, v2
.LBB56_155:                             ; =>This Inner Loop Header: Depth=1
	ds_read_b32 v4, v2
	s_add_i32 s11, s11, -1
	v_add_u32_e32 v2, 4, v2
	s_cmp_eq_u32 s11, 0
	s_waitcnt lgkmcnt(0)
	v_add_f32_e32 v3, v3, v4
	s_cbranch_scc0 .LBB56_155
; %bb.156:
	v_ashrrev_i32_e32 v2, 31, v1
	v_lshlrev_b64 v[1:2], 2, v[1:2]
	v_mov_b32_e32 v4, s21
	v_add_co_u32_e32 v1, vcc, s20, v1
	v_addc_co_u32_e32 v2, vcc, v4, v2, vcc
	global_load_dword v4, v[1:2], off
	s_lshl_b32 s0, s10, 2
	s_addk_i32 s0, 0x1000
	v_lshl_add_u32 v0, v0, 2, s0
	ds_read_b32 v0, v0
	s_mov_b64 s[0:1], 0
	s_waitcnt lgkmcnt(0)
	v_add_f32_e32 v0, v3, v0
.LBB56_157:                             ; =>This Inner Loop Header: Depth=1
	s_waitcnt vmcnt(0)
	v_add_f32_e32 v3, v4, v0
	global_atomic_cmpswap v3, v[1:2], v[3:4], off glc
	s_waitcnt vmcnt(0)
	v_cmp_eq_u32_e32 vcc, v3, v4
	s_or_b64 s[0:1], vcc, s[0:1]
	v_mov_b32_e32 v4, v3
	s_andn2_b64 exec, exec, s[0:1]
	s_cbranch_execnz .LBB56_157
.LBB56_158:
	s_endpgm
	.section	.rodata,"a",@progbits
	.p2align	6, 0x0
	.amdhsa_kernel _ZN9rocsparseL27csrmvn_symm_adaptive_kernelIiiaaffEEvbT_S1_PKS1_NS_24const_host_device_scalarIT4_EES3_PKT0_PKT1_PKT2_S6_PT3_21rocsparse_index_base_b
		.amdhsa_group_segment_fixed_size 4096
		.amdhsa_private_segment_fixed_size 0
		.amdhsa_kernarg_size 344
		.amdhsa_user_sgpr_count 6
		.amdhsa_user_sgpr_private_segment_buffer 1
		.amdhsa_user_sgpr_dispatch_ptr 0
		.amdhsa_user_sgpr_queue_ptr 0
		.amdhsa_user_sgpr_kernarg_segment_ptr 1
		.amdhsa_user_sgpr_dispatch_id 0
		.amdhsa_user_sgpr_flat_scratch_init 0
		.amdhsa_user_sgpr_private_segment_size 0
		.amdhsa_uses_dynamic_stack 0
		.amdhsa_system_sgpr_private_segment_wavefront_offset 0
		.amdhsa_system_sgpr_workgroup_id_x 1
		.amdhsa_system_sgpr_workgroup_id_y 0
		.amdhsa_system_sgpr_workgroup_id_z 0
		.amdhsa_system_sgpr_workgroup_info 0
		.amdhsa_system_vgpr_workitem_id 0
		.amdhsa_next_free_vgpr 16
		.amdhsa_next_free_sgpr 38
		.amdhsa_reserve_vcc 1
		.amdhsa_reserve_flat_scratch 0
		.amdhsa_float_round_mode_32 0
		.amdhsa_float_round_mode_16_64 0
		.amdhsa_float_denorm_mode_32 3
		.amdhsa_float_denorm_mode_16_64 3
		.amdhsa_dx10_clamp 1
		.amdhsa_ieee_mode 1
		.amdhsa_fp16_overflow 0
		.amdhsa_exception_fp_ieee_invalid_op 0
		.amdhsa_exception_fp_denorm_src 0
		.amdhsa_exception_fp_ieee_div_zero 0
		.amdhsa_exception_fp_ieee_overflow 0
		.amdhsa_exception_fp_ieee_underflow 0
		.amdhsa_exception_fp_ieee_inexact 0
		.amdhsa_exception_int_div_zero 0
	.end_amdhsa_kernel
	.section	.text._ZN9rocsparseL27csrmvn_symm_adaptive_kernelIiiaaffEEvbT_S1_PKS1_NS_24const_host_device_scalarIT4_EES3_PKT0_PKT1_PKT2_S6_PT3_21rocsparse_index_base_b,"axG",@progbits,_ZN9rocsparseL27csrmvn_symm_adaptive_kernelIiiaaffEEvbT_S1_PKS1_NS_24const_host_device_scalarIT4_EES3_PKT0_PKT1_PKT2_S6_PT3_21rocsparse_index_base_b,comdat
.Lfunc_end56:
	.size	_ZN9rocsparseL27csrmvn_symm_adaptive_kernelIiiaaffEEvbT_S1_PKS1_NS_24const_host_device_scalarIT4_EES3_PKT0_PKT1_PKT2_S6_PT3_21rocsparse_index_base_b, .Lfunc_end56-_ZN9rocsparseL27csrmvn_symm_adaptive_kernelIiiaaffEEvbT_S1_PKS1_NS_24const_host_device_scalarIT4_EES3_PKT0_PKT1_PKT2_S6_PT3_21rocsparse_index_base_b
                                        ; -- End function
	.set _ZN9rocsparseL27csrmvn_symm_adaptive_kernelIiiaaffEEvbT_S1_PKS1_NS_24const_host_device_scalarIT4_EES3_PKT0_PKT1_PKT2_S6_PT3_21rocsparse_index_base_b.num_vgpr, 16
	.set _ZN9rocsparseL27csrmvn_symm_adaptive_kernelIiiaaffEEvbT_S1_PKS1_NS_24const_host_device_scalarIT4_EES3_PKT0_PKT1_PKT2_S6_PT3_21rocsparse_index_base_b.num_agpr, 0
	.set _ZN9rocsparseL27csrmvn_symm_adaptive_kernelIiiaaffEEvbT_S1_PKS1_NS_24const_host_device_scalarIT4_EES3_PKT0_PKT1_PKT2_S6_PT3_21rocsparse_index_base_b.numbered_sgpr, 38
	.set _ZN9rocsparseL27csrmvn_symm_adaptive_kernelIiiaaffEEvbT_S1_PKS1_NS_24const_host_device_scalarIT4_EES3_PKT0_PKT1_PKT2_S6_PT3_21rocsparse_index_base_b.num_named_barrier, 0
	.set _ZN9rocsparseL27csrmvn_symm_adaptive_kernelIiiaaffEEvbT_S1_PKS1_NS_24const_host_device_scalarIT4_EES3_PKT0_PKT1_PKT2_S6_PT3_21rocsparse_index_base_b.private_seg_size, 0
	.set _ZN9rocsparseL27csrmvn_symm_adaptive_kernelIiiaaffEEvbT_S1_PKS1_NS_24const_host_device_scalarIT4_EES3_PKT0_PKT1_PKT2_S6_PT3_21rocsparse_index_base_b.uses_vcc, 1
	.set _ZN9rocsparseL27csrmvn_symm_adaptive_kernelIiiaaffEEvbT_S1_PKS1_NS_24const_host_device_scalarIT4_EES3_PKT0_PKT1_PKT2_S6_PT3_21rocsparse_index_base_b.uses_flat_scratch, 0
	.set _ZN9rocsparseL27csrmvn_symm_adaptive_kernelIiiaaffEEvbT_S1_PKS1_NS_24const_host_device_scalarIT4_EES3_PKT0_PKT1_PKT2_S6_PT3_21rocsparse_index_base_b.has_dyn_sized_stack, 0
	.set _ZN9rocsparseL27csrmvn_symm_adaptive_kernelIiiaaffEEvbT_S1_PKS1_NS_24const_host_device_scalarIT4_EES3_PKT0_PKT1_PKT2_S6_PT3_21rocsparse_index_base_b.has_recursion, 0
	.set _ZN9rocsparseL27csrmvn_symm_adaptive_kernelIiiaaffEEvbT_S1_PKS1_NS_24const_host_device_scalarIT4_EES3_PKT0_PKT1_PKT2_S6_PT3_21rocsparse_index_base_b.has_indirect_call, 0
	.section	.AMDGPU.csdata,"",@progbits
; Kernel info:
; codeLenInByte = 6020
; TotalNumSgprs: 42
; NumVgprs: 16
; ScratchSize: 0
; MemoryBound: 0
; FloatMode: 240
; IeeeMode: 1
; LDSByteSize: 4096 bytes/workgroup (compile time only)
; SGPRBlocks: 5
; VGPRBlocks: 3
; NumSGPRsForWavesPerEU: 42
; NumVGPRsForWavesPerEU: 16
; Occupancy: 10
; WaveLimiterHint : 1
; COMPUTE_PGM_RSRC2:SCRATCH_EN: 0
; COMPUTE_PGM_RSRC2:USER_SGPR: 6
; COMPUTE_PGM_RSRC2:TRAP_HANDLER: 0
; COMPUTE_PGM_RSRC2:TGID_X_EN: 1
; COMPUTE_PGM_RSRC2:TGID_Y_EN: 0
; COMPUTE_PGM_RSRC2:TGID_Z_EN: 0
; COMPUTE_PGM_RSRC2:TIDIG_COMP_CNT: 0
	.section	.text._ZL33csrmvn_symm_large_adaptive_kernelIiiaaffEvbT_PKS0_N9rocsparse24const_host_device_scalarIT4_EES2_PKT0_PKT1_PKT2_S6_PT3_21rocsparse_index_base_b,"axG",@progbits,_ZL33csrmvn_symm_large_adaptive_kernelIiiaaffEvbT_PKS0_N9rocsparse24const_host_device_scalarIT4_EES2_PKT0_PKT1_PKT2_S6_PT3_21rocsparse_index_base_b,comdat
	.globl	_ZL33csrmvn_symm_large_adaptive_kernelIiiaaffEvbT_PKS0_N9rocsparse24const_host_device_scalarIT4_EES2_PKT0_PKT1_PKT2_S6_PT3_21rocsparse_index_base_b ; -- Begin function _ZL33csrmvn_symm_large_adaptive_kernelIiiaaffEvbT_PKS0_N9rocsparse24const_host_device_scalarIT4_EES2_PKT0_PKT1_PKT2_S6_PT3_21rocsparse_index_base_b
	.p2align	8
	.type	_ZL33csrmvn_symm_large_adaptive_kernelIiiaaffEvbT_PKS0_N9rocsparse24const_host_device_scalarIT4_EES2_PKT0_PKT1_PKT2_S6_PT3_21rocsparse_index_base_b,@function
_ZL33csrmvn_symm_large_adaptive_kernelIiiaaffEvbT_PKS0_N9rocsparse24const_host_device_scalarIT4_EES2_PKT0_PKT1_PKT2_S6_PT3_21rocsparse_index_base_b: ; @_ZL33csrmvn_symm_large_adaptive_kernelIiiaaffEvbT_PKS0_N9rocsparse24const_host_device_scalarIT4_EES2_PKT0_PKT1_PKT2_S6_PT3_21rocsparse_index_base_b
; %bb.0:
	s_load_dwordx2 s[10:11], s[4:5], 0x48
	s_load_dwordx2 s[20:21], s[4:5], 0x10
	;; [unrolled: 1-line block ×3, first 2 shown]
	s_waitcnt lgkmcnt(0)
	s_bitcmp1_b32 s11, 0
	s_cselect_b64 s[8:9], -1, 0
	s_xor_b64 s[2:3], s[8:9], -1
	s_and_b64 vcc, exec, s[8:9]
	s_cbranch_vccnz .LBB57_2
; %bb.1:
	s_load_dword s20, s[20:21], 0x0
.LBB57_2:
	s_andn2_b64 vcc, exec, s[2:3]
	s_cbranch_vccnz .LBB57_4
; %bb.3:
	s_load_dword s0, s[0:1], 0x0
.LBB57_4:
	s_waitcnt lgkmcnt(0)
	v_cmp_neq_f32_e64 s[2:3], s20, 0
	v_cmp_neq_f32_e64 s[0:1], s0, 1.0
	s_or_b64 s[0:1], s[2:3], s[0:1]
	s_andn2_b64 vcc, exec, s[0:1]
	s_cbranch_vccnz .LBB57_34
; %bb.5:
	s_load_dwordx2 s[0:1], s[4:5], 0x8
	s_ashr_i32 s7, s6, 31
	s_lshl_b64 s[2:3], s[6:7], 2
	v_lshlrev_b32_e32 v7, 2, v0
	v_mov_b32_e32 v8, 0
	s_waitcnt lgkmcnt(0)
	s_add_u32 s0, s0, s2
	s_addc_u32 s1, s1, s3
	ds_write2st64_b32 v7, v8, v8 offset1:4
	ds_write2st64_b32 v7, v8, v8 offset0:8 offset1:12
	s_waitcnt lgkmcnt(0)
	s_barrier
	s_load_dwordx2 s[22:23], s[0:1], 0x0
	s_load_dwordx8 s[12:19], s[4:5], 0x18
	s_load_dwordx2 s[24:25], s[4:5], 0x40
	v_subrev_u32_e32 v6, s10, v0
	s_waitcnt lgkmcnt(0)
	s_cmp_ge_i32 s22, s23
	s_cbranch_scc1 .LBB57_24
; %bb.6:
	v_cmp_gt_u32_e64 s[0:1], 64, v0
	v_cmp_gt_u32_e64 s[2:3], 16, v0
	;; [unrolled: 1-line block ×3, first 2 shown]
	v_cmp_eq_u32_e64 s[6:7], 0, v0
	s_mov_b32 s26, s22
	s_branch .LBB57_8
.LBB57_7:                               ;   in Loop: Header=BB57_8 Depth=1
	s_or_b64 exec, exec, s[8:9]
	s_add_i32 s26, s26, 1
	s_cmp_ge_i32 s26, s23
	s_cbranch_scc1 .LBB57_24
.LBB57_8:                               ; =>This Loop Header: Depth=1
                                        ;     Child Loop BB57_10 Depth 2
                                        ;     Child Loop BB57_23 Depth 2
	s_ashr_i32 s27, s26, 31
	s_lshl_b64 s[28:29], s[26:27], 2
	s_add_u32 s8, s12, s28
	s_addc_u32 s9, s13, s29
	s_load_dwordx2 s[30:31], s[8:9], 0x0
	v_mov_b32_e32 v1, 0
	s_waitcnt lgkmcnt(0)
	s_sub_i32 s11, s31, s10
	v_add_u32_e32 v0, s30, v6
	v_cmp_gt_i32_e32 vcc, s11, v0
	s_and_saveexec_b64 s[30:31], vcc
	s_cbranch_execz .LBB57_12
; %bb.9:                                ;   in Loop: Header=BB57_8 Depth=1
	v_ashrrev_i32_e32 v1, 31, v0
	v_lshlrev_b64 v[2:3], 2, v[0:1]
	v_mov_b32_e32 v4, s15
	v_add_co_u32_e32 v2, vcc, s14, v2
	v_addc_co_u32_e32 v3, vcc, v4, v3, vcc
	v_mov_b32_e32 v5, s17
	v_add_co_u32_e32 v4, vcc, s16, v0
	v_addc_co_u32_e32 v5, vcc, v5, v1, vcc
	v_mov_b32_e32 v1, 0
	s_mov_b64 s[34:35], 0
.LBB57_10:                              ;   Parent Loop BB57_8 Depth=1
                                        ; =>  This Inner Loop Header: Depth=2
	global_load_dword v9, v[2:3], off
	global_load_sbyte v11, v[4:5], off
	v_mov_b32_e32 v10, s19
	v_add_u32_e32 v0, 0x100, v0
	v_cmp_le_i32_e64 s[8:9], s11, v0
	s_or_b64 s[34:35], s[8:9], s[34:35]
	s_waitcnt vmcnt(1)
	v_subrev_u32_e32 v9, s10, v9
	v_ashrrev_i32_e32 v12, 31, v9
	v_add_co_u32_e32 v9, vcc, s18, v9
	v_addc_co_u32_e32 v10, vcc, v10, v12, vcc
	global_load_sbyte v9, v[9:10], off
	s_waitcnt vmcnt(1)
	v_cvt_f32_i32_e32 v10, v11
	v_add_co_u32_e32 v2, vcc, 0x400, v2
	v_addc_co_u32_e32 v3, vcc, 0, v3, vcc
	v_add_co_u32_e32 v4, vcc, 0x100, v4
	v_addc_co_u32_e32 v5, vcc, 0, v5, vcc
	s_waitcnt vmcnt(0)
	v_cvt_f32_i32_e32 v9, v9
	v_fmac_f32_e32 v1, v10, v9
	s_andn2_b64 exec, exec, s[34:35]
	s_cbranch_execnz .LBB57_10
; %bb.11:                               ;   in Loop: Header=BB57_8 Depth=1
	s_or_b64 exec, exec, s[34:35]
.LBB57_12:                              ;   in Loop: Header=BB57_8 Depth=1
	s_or_b64 exec, exec, s[30:31]
	ds_write_b32 v7, v1
	s_waitcnt lgkmcnt(0)
	s_barrier
	ds_read2st64_b32 v[0:1], v7 offset1:4
	ds_read2st64_b32 v[2:3], v7 offset0:8 offset1:12
	s_waitcnt lgkmcnt(0)
	v_add_f32_e32 v1, v1, v2
	v_add_f32_e32 v1, v1, v3
	;; [unrolled: 1-line block ×3, first 2 shown]
	ds_write_b32 v7, v0
	s_waitcnt lgkmcnt(0)
	s_barrier
	s_and_saveexec_b64 s[8:9], s[0:1]
	s_cbranch_execz .LBB57_14
; %bb.13:                               ;   in Loop: Header=BB57_8 Depth=1
	ds_read2st64_b32 v[0:1], v7 offset1:1
	ds_read2st64_b32 v[2:3], v7 offset0:2 offset1:3
	s_waitcnt lgkmcnt(0)
	v_add_f32_e32 v1, v1, v2
	v_add_f32_e32 v1, v1, v3
	;; [unrolled: 1-line block ×3, first 2 shown]
	ds_write_b32 v7, v0
.LBB57_14:                              ;   in Loop: Header=BB57_8 Depth=1
	s_or_b64 exec, exec, s[8:9]
	s_waitcnt lgkmcnt(0)
	s_barrier
	s_and_saveexec_b64 s[8:9], s[2:3]
	s_cbranch_execz .LBB57_16
; %bb.15:                               ;   in Loop: Header=BB57_8 Depth=1
	ds_read2_b32 v[0:1], v7 offset1:16
	ds_read2_b32 v[2:3], v7 offset0:32 offset1:48
	s_waitcnt lgkmcnt(0)
	v_add_f32_e32 v1, v1, v2
	v_add_f32_e32 v1, v1, v3
	;; [unrolled: 1-line block ×3, first 2 shown]
	ds_write_b32 v7, v0
.LBB57_16:                              ;   in Loop: Header=BB57_8 Depth=1
	s_or_b64 exec, exec, s[8:9]
	s_waitcnt lgkmcnt(0)
	s_barrier
	s_and_saveexec_b64 s[8:9], s[4:5]
	s_cbranch_execz .LBB57_18
; %bb.17:                               ;   in Loop: Header=BB57_8 Depth=1
	ds_read2_b32 v[0:1], v7 offset1:4
	ds_read2_b32 v[2:3], v7 offset0:8 offset1:12
	s_waitcnt lgkmcnt(0)
	v_add_f32_e32 v1, v1, v2
	v_add_f32_e32 v1, v1, v3
	v_add_f32_e32 v0, v0, v1
	ds_write_b32 v7, v0
.LBB57_18:                              ;   in Loop: Header=BB57_8 Depth=1
	s_or_b64 exec, exec, s[8:9]
	s_waitcnt lgkmcnt(0)
	s_barrier
	s_and_saveexec_b64 s[8:9], s[6:7]
	s_cbranch_execz .LBB57_20
; %bb.19:                               ;   in Loop: Header=BB57_8 Depth=1
	ds_read2_b32 v[0:1], v8 offset0:1 offset1:2
	ds_read_b32 v2, v8 offset:12
	ds_read_b32 v3, v7
	s_waitcnt lgkmcnt(2)
	v_add_f32_e32 v0, v0, v1
	s_waitcnt lgkmcnt(1)
	v_add_f32_e32 v0, v0, v2
	;; [unrolled: 2-line block ×3, first 2 shown]
	ds_write_b32 v7, v0
.LBB57_20:                              ;   in Loop: Header=BB57_8 Depth=1
	s_or_b64 exec, exec, s[8:9]
	s_waitcnt lgkmcnt(0)
	s_barrier
	s_and_saveexec_b64 s[8:9], s[6:7]
	s_cbranch_execz .LBB57_7
; %bb.21:                               ;   in Loop: Header=BB57_8 Depth=1
	s_mov_b64 s[30:31], exec
	v_mbcnt_lo_u32_b32 v0, s30, 0
	v_mbcnt_hi_u32_b32 v0, s31, v0
	v_cmp_eq_u32_e32 vcc, 0, v0
	s_and_b64 s[34:35], exec, vcc
	s_mov_b64 exec, s[34:35]
	s_cbranch_execz .LBB57_7
; %bb.22:                               ;   in Loop: Header=BB57_8 Depth=1
	s_add_u32 s28, s24, s28
	s_addc_u32 s29, s25, s29
	global_load_dword v1, v8, s[28:29]
	ds_read_b32 v0, v8
	s_bcnt1_i32_b64 s11, s[30:31]
	v_cvt_f32_ubyte0_e32 v2, s11
	s_mov_b64 s[30:31], 0
	s_waitcnt lgkmcnt(0)
	v_mul_f32_e32 v0, s20, v0
	v_mul_f32_e32 v2, v0, v2
.LBB57_23:                              ;   Parent Loop BB57_8 Depth=1
                                        ; =>  This Inner Loop Header: Depth=2
	s_waitcnt vmcnt(0)
	v_add_f32_e32 v0, v1, v2
	global_atomic_cmpswap v0, v8, v[0:1], s[28:29] glc
	s_waitcnt vmcnt(0)
	v_cmp_eq_u32_e32 vcc, v0, v1
	s_or_b64 s[30:31], vcc, s[30:31]
	v_mov_b32_e32 v1, v0
	s_andn2_b64 exec, exec, s[30:31]
	s_cbranch_execnz .LBB57_23
	s_branch .LBB57_7
.LBB57_24:
	s_ashr_i32 s1, s22, 31
	s_mov_b32 s0, s22
	s_lshl_b64 s[0:1], s[0:1], 2
	s_add_u32 s0, s12, s0
	s_addc_u32 s1, s13, s1
	s_ashr_i32 s3, s23, 31
	s_mov_b32 s2, s23
	s_lshl_b64 s[2:3], s[2:3], 2
	s_add_u32 s2, s12, s2
	s_addc_u32 s3, s13, s3
	s_load_dword s4, s[2:3], 0x0
	s_load_dword s5, s[0:1], 0x0
	s_waitcnt lgkmcnt(0)
	s_sub_i32 s8, s4, s10
	v_add_u32_e32 v0, s5, v6
	v_cmp_gt_i32_e32 vcc, s8, v0
	s_and_saveexec_b64 s[0:1], vcc
	s_cbranch_execz .LBB57_34
; %bb.25:
	s_add_i32 s9, s23, -1
	s_cmp_lt_i32 s22, s9
	s_cselect_b64 s[0:1], -1, 0
	s_add_i32 s2, s23, -2
	s_cmp_lg_u32 s22, s2
	s_cselect_b64 s[2:3], -1, 0
	s_and_b64 s[0:1], s[0:1], s[2:3]
	v_cndmask_b32_e64 v1, 0, 1, s[0:1]
	s_mov_b64 s[4:5], 0
	v_cmp_ne_u32_e64 s[0:1], 1, v1
	v_mov_b32_e32 v5, s13
	v_mov_b32_e32 v6, s15
	s_branch .LBB57_27
.LBB57_26:                              ;   in Loop: Header=BB57_27 Depth=1
	s_or_b64 exec, exec, s[2:3]
	v_add_u32_e32 v0, 0x100, v0
	v_cmp_le_i32_e32 vcc, s8, v0
	s_or_b64 s[4:5], vcc, s[4:5]
	s_andn2_b64 exec, exec, s[4:5]
	s_cbranch_execz .LBB57_34
.LBB57_27:                              ; =>This Loop Header: Depth=1
                                        ;     Child Loop BB57_29 Depth 2
                                        ;     Child Loop BB57_33 Depth 2
	s_and_b64 vcc, exec, s[0:1]
	v_mov_b32_e32 v4, s22
	v_mov_b32_e32 v2, s9
	s_cbranch_vccnz .LBB57_31
; %bb.28:                               ;   in Loop: Header=BB57_27 Depth=1
	s_mov_b64 s[6:7], 0
	v_mov_b32_e32 v4, s22
	v_mov_b32_e32 v2, s9
.LBB57_29:                              ;   Parent Loop BB57_27 Depth=1
                                        ; =>  This Inner Loop Header: Depth=2
	v_add_u32_e32 v1, v2, v4
	v_lshrrev_b32_e32 v7, 31, v1
	v_add_u32_e32 v1, v1, v7
	v_ashrrev_i32_e32 v7, 1, v1
	v_ashrrev_i32_e32 v8, 31, v7
	v_lshlrev_b64 v[8:9], 2, v[7:8]
	v_mov_b32_e32 v3, s13
	v_add_co_u32_e32 v8, vcc, s12, v8
	v_addc_co_u32_e32 v9, vcc, v3, v9, vcc
	global_load_dword v1, v[8:9], off
	s_waitcnt vmcnt(0)
	v_subrev_u32_e32 v1, s10, v1
	v_cmp_lt_i32_e32 vcc, v0, v1
	v_cndmask_b32_e32 v2, v2, v7, vcc
	v_cndmask_b32_e32 v4, v7, v4, vcc
	v_add_u32_e32 v1, -1, v2
	v_cmp_ge_i32_e32 vcc, v4, v2
	v_cmp_eq_u32_e64 s[2:3], v4, v1
	s_or_b64 s[2:3], vcc, s[2:3]
	s_and_b64 s[2:3], exec, s[2:3]
	s_or_b64 s[6:7], s[2:3], s[6:7]
	s_andn2_b64 exec, exec, s[6:7]
	s_cbranch_execnz .LBB57_29
; %bb.30:                               ;   in Loop: Header=BB57_27 Depth=1
	s_or_b64 exec, exec, s[6:7]
.LBB57_31:                              ;   in Loop: Header=BB57_27 Depth=1
	v_ashrrev_i32_e32 v3, 31, v2
	v_lshlrev_b64 v[7:8], 2, v[2:3]
	v_ashrrev_i32_e32 v1, 31, v0
	v_add_co_u32_e32 v7, vcc, s12, v7
	v_addc_co_u32_e32 v8, vcc, v5, v8, vcc
	global_load_dword v3, v[7:8], off
	v_lshlrev_b64 v[7:8], 2, v[0:1]
	v_add_co_u32_e32 v7, vcc, s14, v7
	v_addc_co_u32_e32 v8, vcc, v6, v8, vcc
	global_load_dword v7, v[7:8], off
	s_waitcnt vmcnt(1)
	v_subrev_u32_e32 v3, s10, v3
	v_cmp_lt_i32_e32 vcc, v0, v3
	v_cndmask_b32_e32 v4, v2, v4, vcc
	s_waitcnt vmcnt(0)
	v_subrev_u32_e32 v2, s10, v7
	v_cmp_ne_u32_e32 vcc, v2, v4
	s_and_saveexec_b64 s[2:3], vcc
	s_cbranch_execz .LBB57_26
; %bb.32:                               ;   in Loop: Header=BB57_27 Depth=1
	v_mov_b32_e32 v8, s17
	v_add_co_u32_e32 v7, vcc, s16, v0
	v_addc_co_u32_e32 v8, vcc, v8, v1, vcc
	global_load_sbyte v9, v[7:8], off
	v_ashrrev_i32_e32 v1, 31, v4
	v_mov_b32_e32 v8, s19
	v_add_co_u32_e32 v7, vcc, s18, v4
	v_addc_co_u32_e32 v8, vcc, v8, v1, vcc
	v_ashrrev_i32_e32 v3, 31, v2
	global_load_sbyte v7, v[7:8], off
	v_lshlrev_b64 v[2:3], 2, v[2:3]
	v_mov_b32_e32 v4, s25
	v_add_co_u32_e32 v1, vcc, s24, v2
	v_addc_co_u32_e32 v2, vcc, v4, v3, vcc
	global_load_dword v4, v[1:2], off
	s_mov_b64 s[6:7], 0
	s_waitcnt vmcnt(2)
	v_cvt_f32_i32_e32 v3, v9
	v_mul_f32_e32 v3, s20, v3
	s_waitcnt vmcnt(1)
	v_cvt_f32_i32_e32 v7, v7
	v_mul_f32_e32 v7, v3, v7
.LBB57_33:                              ;   Parent Loop BB57_27 Depth=1
                                        ; =>  This Inner Loop Header: Depth=2
	s_waitcnt vmcnt(0)
	v_add_f32_e32 v3, v4, v7
	global_atomic_cmpswap v3, v[1:2], v[3:4], off glc
	s_waitcnt vmcnt(0)
	v_cmp_eq_u32_e32 vcc, v3, v4
	s_or_b64 s[6:7], vcc, s[6:7]
	v_mov_b32_e32 v4, v3
	s_andn2_b64 exec, exec, s[6:7]
	s_cbranch_execnz .LBB57_33
	s_branch .LBB57_26
.LBB57_34:
	s_endpgm
	.section	.rodata,"a",@progbits
	.p2align	6, 0x0
	.amdhsa_kernel _ZL33csrmvn_symm_large_adaptive_kernelIiiaaffEvbT_PKS0_N9rocsparse24const_host_device_scalarIT4_EES2_PKT0_PKT1_PKT2_S6_PT3_21rocsparse_index_base_b
		.amdhsa_group_segment_fixed_size 4096
		.amdhsa_private_segment_fixed_size 0
		.amdhsa_kernarg_size 80
		.amdhsa_user_sgpr_count 6
		.amdhsa_user_sgpr_private_segment_buffer 1
		.amdhsa_user_sgpr_dispatch_ptr 0
		.amdhsa_user_sgpr_queue_ptr 0
		.amdhsa_user_sgpr_kernarg_segment_ptr 1
		.amdhsa_user_sgpr_dispatch_id 0
		.amdhsa_user_sgpr_flat_scratch_init 0
		.amdhsa_user_sgpr_private_segment_size 0
		.amdhsa_uses_dynamic_stack 0
		.amdhsa_system_sgpr_private_segment_wavefront_offset 0
		.amdhsa_system_sgpr_workgroup_id_x 1
		.amdhsa_system_sgpr_workgroup_id_y 0
		.amdhsa_system_sgpr_workgroup_id_z 0
		.amdhsa_system_sgpr_workgroup_info 0
		.amdhsa_system_vgpr_workitem_id 0
		.amdhsa_next_free_vgpr 13
		.amdhsa_next_free_sgpr 36
		.amdhsa_reserve_vcc 1
		.amdhsa_reserve_flat_scratch 0
		.amdhsa_float_round_mode_32 0
		.amdhsa_float_round_mode_16_64 0
		.amdhsa_float_denorm_mode_32 3
		.amdhsa_float_denorm_mode_16_64 3
		.amdhsa_dx10_clamp 1
		.amdhsa_ieee_mode 1
		.amdhsa_fp16_overflow 0
		.amdhsa_exception_fp_ieee_invalid_op 0
		.amdhsa_exception_fp_denorm_src 0
		.amdhsa_exception_fp_ieee_div_zero 0
		.amdhsa_exception_fp_ieee_overflow 0
		.amdhsa_exception_fp_ieee_underflow 0
		.amdhsa_exception_fp_ieee_inexact 0
		.amdhsa_exception_int_div_zero 0
	.end_amdhsa_kernel
	.section	.text._ZL33csrmvn_symm_large_adaptive_kernelIiiaaffEvbT_PKS0_N9rocsparse24const_host_device_scalarIT4_EES2_PKT0_PKT1_PKT2_S6_PT3_21rocsparse_index_base_b,"axG",@progbits,_ZL33csrmvn_symm_large_adaptive_kernelIiiaaffEvbT_PKS0_N9rocsparse24const_host_device_scalarIT4_EES2_PKT0_PKT1_PKT2_S6_PT3_21rocsparse_index_base_b,comdat
.Lfunc_end57:
	.size	_ZL33csrmvn_symm_large_adaptive_kernelIiiaaffEvbT_PKS0_N9rocsparse24const_host_device_scalarIT4_EES2_PKT0_PKT1_PKT2_S6_PT3_21rocsparse_index_base_b, .Lfunc_end57-_ZL33csrmvn_symm_large_adaptive_kernelIiiaaffEvbT_PKS0_N9rocsparse24const_host_device_scalarIT4_EES2_PKT0_PKT1_PKT2_S6_PT3_21rocsparse_index_base_b
                                        ; -- End function
	.set _ZL33csrmvn_symm_large_adaptive_kernelIiiaaffEvbT_PKS0_N9rocsparse24const_host_device_scalarIT4_EES2_PKT0_PKT1_PKT2_S6_PT3_21rocsparse_index_base_b.num_vgpr, 13
	.set _ZL33csrmvn_symm_large_adaptive_kernelIiiaaffEvbT_PKS0_N9rocsparse24const_host_device_scalarIT4_EES2_PKT0_PKT1_PKT2_S6_PT3_21rocsparse_index_base_b.num_agpr, 0
	.set _ZL33csrmvn_symm_large_adaptive_kernelIiiaaffEvbT_PKS0_N9rocsparse24const_host_device_scalarIT4_EES2_PKT0_PKT1_PKT2_S6_PT3_21rocsparse_index_base_b.numbered_sgpr, 36
	.set _ZL33csrmvn_symm_large_adaptive_kernelIiiaaffEvbT_PKS0_N9rocsparse24const_host_device_scalarIT4_EES2_PKT0_PKT1_PKT2_S6_PT3_21rocsparse_index_base_b.num_named_barrier, 0
	.set _ZL33csrmvn_symm_large_adaptive_kernelIiiaaffEvbT_PKS0_N9rocsparse24const_host_device_scalarIT4_EES2_PKT0_PKT1_PKT2_S6_PT3_21rocsparse_index_base_b.private_seg_size, 0
	.set _ZL33csrmvn_symm_large_adaptive_kernelIiiaaffEvbT_PKS0_N9rocsparse24const_host_device_scalarIT4_EES2_PKT0_PKT1_PKT2_S6_PT3_21rocsparse_index_base_b.uses_vcc, 1
	.set _ZL33csrmvn_symm_large_adaptive_kernelIiiaaffEvbT_PKS0_N9rocsparse24const_host_device_scalarIT4_EES2_PKT0_PKT1_PKT2_S6_PT3_21rocsparse_index_base_b.uses_flat_scratch, 0
	.set _ZL33csrmvn_symm_large_adaptive_kernelIiiaaffEvbT_PKS0_N9rocsparse24const_host_device_scalarIT4_EES2_PKT0_PKT1_PKT2_S6_PT3_21rocsparse_index_base_b.has_dyn_sized_stack, 0
	.set _ZL33csrmvn_symm_large_adaptive_kernelIiiaaffEvbT_PKS0_N9rocsparse24const_host_device_scalarIT4_EES2_PKT0_PKT1_PKT2_S6_PT3_21rocsparse_index_base_b.has_recursion, 0
	.set _ZL33csrmvn_symm_large_adaptive_kernelIiiaaffEvbT_PKS0_N9rocsparse24const_host_device_scalarIT4_EES2_PKT0_PKT1_PKT2_S6_PT3_21rocsparse_index_base_b.has_indirect_call, 0
	.section	.AMDGPU.csdata,"",@progbits
; Kernel info:
; codeLenInByte = 1488
; TotalNumSgprs: 40
; NumVgprs: 13
; ScratchSize: 0
; MemoryBound: 0
; FloatMode: 240
; IeeeMode: 1
; LDSByteSize: 4096 bytes/workgroup (compile time only)
; SGPRBlocks: 4
; VGPRBlocks: 3
; NumSGPRsForWavesPerEU: 40
; NumVGPRsForWavesPerEU: 13
; Occupancy: 10
; WaveLimiterHint : 1
; COMPUTE_PGM_RSRC2:SCRATCH_EN: 0
; COMPUTE_PGM_RSRC2:USER_SGPR: 6
; COMPUTE_PGM_RSRC2:TRAP_HANDLER: 0
; COMPUTE_PGM_RSRC2:TGID_X_EN: 1
; COMPUTE_PGM_RSRC2:TGID_Y_EN: 0
; COMPUTE_PGM_RSRC2:TGID_Z_EN: 0
; COMPUTE_PGM_RSRC2:TIDIG_COMP_CNT: 0
	.section	.text._ZN9rocsparseL22csrmvn_adaptive_kernelIliaaffEEvbT_PKS1_PjPKT0_NS_24const_host_device_scalarIT4_EES3_S7_PKT1_PKT2_SA_PT3_21rocsparse_index_base_b,"axG",@progbits,_ZN9rocsparseL22csrmvn_adaptive_kernelIliaaffEEvbT_PKS1_PjPKT0_NS_24const_host_device_scalarIT4_EES3_S7_PKT1_PKT2_SA_PT3_21rocsparse_index_base_b,comdat
	.globl	_ZN9rocsparseL22csrmvn_adaptive_kernelIliaaffEEvbT_PKS1_PjPKT0_NS_24const_host_device_scalarIT4_EES3_S7_PKT1_PKT2_SA_PT3_21rocsparse_index_base_b ; -- Begin function _ZN9rocsparseL22csrmvn_adaptive_kernelIliaaffEEvbT_PKS1_PjPKT0_NS_24const_host_device_scalarIT4_EES3_S7_PKT1_PKT2_SA_PT3_21rocsparse_index_base_b
	.p2align	8
	.type	_ZN9rocsparseL22csrmvn_adaptive_kernelIliaaffEEvbT_PKS1_PjPKT0_NS_24const_host_device_scalarIT4_EES3_S7_PKT1_PKT2_SA_PT3_21rocsparse_index_base_b,@function
_ZN9rocsparseL22csrmvn_adaptive_kernelIliaaffEEvbT_PKS1_PjPKT0_NS_24const_host_device_scalarIT4_EES3_S7_PKT1_PKT2_SA_PT3_21rocsparse_index_base_b: ; @_ZN9rocsparseL22csrmvn_adaptive_kernelIliaaffEEvbT_PKS1_PjPKT0_NS_24const_host_device_scalarIT4_EES3_S7_PKT1_PKT2_SA_PT3_21rocsparse_index_base_b
; %bb.0:
	s_load_dwordx2 s[48:49], s[4:5], 0x60
	s_load_dwordx2 s[46:47], s[4:5], 0x28
	s_load_dwordx2 s[34:35], s[4:5], 0x50
	s_waitcnt lgkmcnt(0)
	s_bitcmp1_b32 s49, 0
	s_cselect_b64 s[2:3], -1, 0
	s_xor_b64 s[0:1], s[2:3], -1
	s_and_b64 vcc, exec, s[2:3]
	s_cbranch_vccnz .LBB58_2
; %bb.1:
	s_load_dword s46, s[46:47], 0x0
.LBB58_2:
	s_andn2_b64 vcc, exec, s[0:1]
	s_cbranch_vccnz .LBB58_4
; %bb.3:
	s_load_dword s34, s[34:35], 0x0
.LBB58_4:
	s_waitcnt lgkmcnt(0)
	v_cmp_neq_f32_e64 s[0:1], s46, 0
	v_cmp_neq_f32_e64 s[2:3], s34, 1.0
	s_or_b64 s[0:1], s[0:1], s[2:3]
	s_andn2_b64 vcc, exec, s[0:1]
	s_cbranch_vccnz .LBB58_116
; %bb.5:
	s_load_dwordx2 s[0:1], s[4:5], 0x10
	s_load_dwordx2 s[8:9], s[4:5], 0x20
	s_ashr_i32 s7, s6, 31
	s_lshl_b64 s[2:3], s[6:7], 3
	s_waitcnt lgkmcnt(0)
	s_add_u32 s0, s0, s2
	s_addc_u32 s1, s1, s3
	s_load_dwordx4 s[36:39], s[0:1], 0x0
	s_load_dwordx2 s[40:41], s[4:5], 0x58
	s_load_dwordx8 s[24:31], s[4:5], 0x30
	s_lshl_b64 s[50:51], s[6:7], 2
	s_waitcnt lgkmcnt(0)
	s_sub_i32 s2, s38, s36
	s_add_u32 s0, s8, s50
	s_addc_u32 s1, s9, s51
	s_lshl_b64 s[8:9], s[36:37], 3
	s_add_u32 s42, s24, s8
	s_addc_u32 s43, s25, s9
	s_load_dword s33, s[0:1], 0x0
	s_load_dwordx2 s[44:45], s[42:43], 0x0
	s_cmp_lt_i32 s2, 2
	s_mov_b64 s[0:1], -1
	s_cbranch_scc0 .LBB58_72
; %bb.6:
	s_cmp_lg_u32 s2, 1
	s_cselect_b64 s[0:1], -1, 0
	s_waitcnt lgkmcnt(0)
	s_cmp_lg_u32 s33, 0
	s_cselect_b64 s[2:3], -1, 0
	s_or_b64 s[2:3], s[0:1], s[2:3]
	s_mov_b64 s[0:1], -1
	s_and_b64 vcc, exec, s[2:3]
	s_cbranch_vccnz .LBB58_35
; %bb.7:
	v_mov_b32_e32 v1, s36
	v_mov_b32_e32 v2, s37
	v_cmp_le_i64_e32 vcc, s[38:39], v[1:2]
	s_cbranch_vccnz .LBB58_34
; %bb.8:
	v_subrev_co_u32_e32 v8, vcc, s48, v0
	v_cmp_neq_f32_e64 s[20:21], s34, 0
	v_subb_co_u32_e64 v9, s[0:1], 0, 0, vcc
	v_cndmask_b32_e64 v1, 0, 1, s[20:21]
	s_movk_i32 s0, 0x80
	v_cmp_ne_u32_e64 s[20:21], 1, v1
	v_mov_b32_e32 v1, s38
	v_mov_b32_e32 v7, 0
	v_lshlrev_b32_e32 v10, 2, v0
	v_cmp_gt_u32_e64 s[0:1], s0, v0
	v_cmp_gt_u32_e64 s[2:3], 64, v0
	;; [unrolled: 1-line block ×7, first 2 shown]
	v_cmp_eq_u32_e64 s[18:19], 0, v0
	v_mov_b32_e32 v2, s39
	s_mov_b64 s[52:53], s[36:37]
	s_branch .LBB58_11
.LBB58_9:                               ;   in Loop: Header=BB58_11 Depth=1
	s_lshl_b64 s[54:55], s[52:53], 2
	s_add_u32 s54, s40, s54
	s_addc_u32 s55, s41, s55
	s_waitcnt lgkmcnt(0)
	global_store_dword v7, v3, s[54:55]
.LBB58_10:                              ;   in Loop: Header=BB58_11 Depth=1
	s_or_b64 exec, exec, s[22:23]
	s_add_u32 s52, s52, 1
	s_addc_u32 s53, s53, 0
	v_cmp_ge_i64_e32 vcc, s[52:53], v[1:2]
	s_cbranch_vccnz .LBB58_34
.LBB58_11:                              ; =>This Loop Header: Depth=1
                                        ;     Child Loop BB58_13 Depth 2
	s_lshl_b64 s[22:23], s[52:53], 3
	s_add_u32 s22, s24, s22
	s_addc_u32 s23, s25, s23
	s_load_dwordx4 s[56:59], s[22:23], 0x0
	v_mov_b32_e32 v11, 0
	s_waitcnt lgkmcnt(0)
	s_sub_u32 s54, s58, s48
	v_mov_b32_e32 v4, s57
	v_add_co_u32_e32 v3, vcc, s56, v8
	s_subb_u32 s55, s59, 0
	v_addc_co_u32_e32 v4, vcc, v4, v9, vcc
	v_cmp_gt_i64_e32 vcc, s[54:55], v[3:4]
	s_and_saveexec_b64 s[56:57], vcc
	s_cbranch_execz .LBB58_15
; %bb.12:                               ;   in Loop: Header=BB58_11 Depth=1
	v_lshlrev_b64 v[5:6], 2, v[3:4]
	v_mov_b32_e32 v11, s27
	v_add_co_u32_e32 v5, vcc, s26, v5
	v_addc_co_u32_e32 v6, vcc, v11, v6, vcc
	v_mov_b32_e32 v11, 0
	s_mov_b64 s[58:59], 0
.LBB58_13:                              ;   Parent Loop BB58_11 Depth=1
                                        ; =>  This Inner Loop Header: Depth=2
	global_load_dword v14, v[5:6], off
	v_mov_b32_e32 v13, s29
	v_add_co_u32_e32 v12, vcc, s28, v3
	v_addc_co_u32_e32 v13, vcc, v13, v4, vcc
	global_load_sbyte v16, v[12:13], off
	v_mov_b32_e32 v15, s31
	s_waitcnt vmcnt(1)
	v_subrev_u32_e32 v12, s48, v14
	v_ashrrev_i32_e32 v13, 31, v12
	v_add_co_u32_e32 v12, vcc, s30, v12
	v_addc_co_u32_e32 v13, vcc, v15, v13, vcc
	global_load_sbyte v12, v[12:13], off
	s_waitcnt vmcnt(1)
	v_cvt_f32_i32_e32 v13, v16
	v_add_co_u32_e32 v3, vcc, 0x100, v3
	v_addc_co_u32_e32 v4, vcc, 0, v4, vcc
	v_cmp_le_i64_e64 s[22:23], s[54:55], v[3:4]
	v_add_co_u32_e32 v5, vcc, 0x400, v5
	v_mul_f32_e32 v13, s46, v13
	v_addc_co_u32_e32 v6, vcc, 0, v6, vcc
	s_or_b64 s[58:59], s[22:23], s[58:59]
	s_waitcnt vmcnt(0)
	v_cvt_f32_i32_e32 v12, v12
	v_fmac_f32_e32 v11, v13, v12
	s_andn2_b64 exec, exec, s[58:59]
	s_cbranch_execnz .LBB58_13
; %bb.14:                               ;   in Loop: Header=BB58_11 Depth=1
	s_or_b64 exec, exec, s[58:59]
.LBB58_15:                              ;   in Loop: Header=BB58_11 Depth=1
	s_or_b64 exec, exec, s[56:57]
	ds_write_b32 v10, v11
	s_waitcnt vmcnt(0) lgkmcnt(0)
	s_barrier
	s_and_saveexec_b64 s[22:23], s[0:1]
	s_cbranch_execz .LBB58_17
; %bb.16:                               ;   in Loop: Header=BB58_11 Depth=1
	ds_read2st64_b32 v[3:4], v10 offset1:2
	s_waitcnt lgkmcnt(0)
	v_add_f32_e32 v3, v3, v4
	ds_write_b32 v10, v3
.LBB58_17:                              ;   in Loop: Header=BB58_11 Depth=1
	s_or_b64 exec, exec, s[22:23]
	s_waitcnt lgkmcnt(0)
	s_barrier
	s_and_saveexec_b64 s[22:23], s[2:3]
	s_cbranch_execz .LBB58_19
; %bb.18:                               ;   in Loop: Header=BB58_11 Depth=1
	ds_read2st64_b32 v[3:4], v10 offset1:1
	s_waitcnt lgkmcnt(0)
	v_add_f32_e32 v3, v3, v4
	ds_write_b32 v10, v3
.LBB58_19:                              ;   in Loop: Header=BB58_11 Depth=1
	s_or_b64 exec, exec, s[22:23]
	s_waitcnt lgkmcnt(0)
	s_barrier
	s_and_saveexec_b64 s[22:23], s[8:9]
	s_cbranch_execz .LBB58_21
; %bb.20:                               ;   in Loop: Header=BB58_11 Depth=1
	ds_read2_b32 v[3:4], v10 offset1:32
	s_waitcnt lgkmcnt(0)
	v_add_f32_e32 v3, v3, v4
	ds_write_b32 v10, v3
.LBB58_21:                              ;   in Loop: Header=BB58_11 Depth=1
	s_or_b64 exec, exec, s[22:23]
	s_waitcnt lgkmcnt(0)
	s_barrier
	s_and_saveexec_b64 s[22:23], s[10:11]
	s_cbranch_execz .LBB58_23
; %bb.22:                               ;   in Loop: Header=BB58_11 Depth=1
	ds_read2_b32 v[3:4], v10 offset1:16
	s_waitcnt lgkmcnt(0)
	v_add_f32_e32 v3, v3, v4
	ds_write_b32 v10, v3
.LBB58_23:                              ;   in Loop: Header=BB58_11 Depth=1
	;; [unrolled: 11-line block ×5, first 2 shown]
	s_or_b64 exec, exec, s[22:23]
	s_waitcnt lgkmcnt(0)
	s_barrier
	s_and_saveexec_b64 s[22:23], s[18:19]
	s_cbranch_execz .LBB58_31
; %bb.30:                               ;   in Loop: Header=BB58_11 Depth=1
	ds_read_b64 v[3:4], v7
	s_waitcnt lgkmcnt(0)
	v_add_f32_e32 v3, v3, v4
	ds_write_b32 v7, v3
.LBB58_31:                              ;   in Loop: Header=BB58_11 Depth=1
	s_or_b64 exec, exec, s[22:23]
	s_waitcnt lgkmcnt(0)
	s_barrier
	s_and_saveexec_b64 s[22:23], s[18:19]
	s_cbranch_execz .LBB58_10
; %bb.32:                               ;   in Loop: Header=BB58_11 Depth=1
	ds_read_b32 v3, v7
	s_and_b64 vcc, exec, s[20:21]
	s_cbranch_vccnz .LBB58_9
; %bb.33:                               ;   in Loop: Header=BB58_11 Depth=1
	s_lshl_b64 s[54:55], s[52:53], 2
	s_add_u32 s54, s40, s54
	s_addc_u32 s55, s41, s55
	global_load_dword v4, v7, s[54:55]
	s_waitcnt vmcnt(0) lgkmcnt(0)
	v_fmac_f32_e32 v3, s34, v4
	s_branch .LBB58_9
.LBB58_34:
	s_mov_b64 s[0:1], 0
.LBB58_35:
	s_andn2_b64 vcc, exec, s[0:1]
	s_cbranch_vccnz .LBB58_71
; %bb.36:
	s_load_dwordx2 s[8:9], s[4:5], 0x18
	s_sub_i32 s6, s6, s33
	v_mov_b32_e32 v6, 0
	v_or_b32_e32 v1, s33, v0
	v_cmp_eq_u32_e32 vcc, 0, v1
	s_waitcnt lgkmcnt(0)
	s_add_u32 s2, s8, s50
	s_addc_u32 s3, s9, s51
	global_load_dword v5, v6, s[2:3]
	s_and_saveexec_b64 s[0:1], vcc
	s_cbranch_execz .LBB58_40
; %bb.37:
	s_lshl_b64 s[12:13], s[36:37], 2
	s_add_u32 s12, s40, s12
	s_addc_u32 s13, s41, s13
	v_mov_b32_e32 v3, 0
	global_load_dword v1, v3, s[12:13]
	s_mov_b64 s[10:11], exec
	v_mbcnt_lo_u32_b32 v4, s10, 0
	v_mbcnt_hi_u32_b32 v4, s11, v4
	v_add_f32_e64 v2, s34, -1.0
	v_cmp_eq_u32_e32 vcc, 0, v4
	s_waitcnt vmcnt(0) expcnt(0) lgkmcnt(0)
	s_and_saveexec_b64 s[12:13], vcc
	s_cbranch_execz .LBB58_39
; %bb.38:
	s_ashr_i32 s7, s6, 31
	s_lshl_b64 s[14:15], s[6:7], 2
	s_add_u32 s14, s8, s14
	s_addc_u32 s15, s9, s15
	s_bcnt1_i32_b64 s7, s[10:11]
	s_and_b32 s7, s7, 1
	v_mov_b32_e32 v4, s7
	global_atomic_xor v3, v4, s[14:15]
.LBB58_39:
	s_or_b64 exec, exec, s[12:13]
	v_mul_f32_e32 v6, v2, v1
.LBB58_40:
	s_or_b64 exec, exec, s[0:1]
	s_load_dwordx2 s[0:1], s[42:43], 0x8
	s_sub_u32 s11, s44, s48
	s_mul_i32 s7, s33, 0xc00
	s_subb_u32 s12, s45, 0
	s_mul_hi_i32 s10, s33, 0xc00
	s_add_u32 s7, s11, s7
	s_addc_u32 s12, s12, s10
	s_waitcnt lgkmcnt(0)
	s_sub_u32 s0, s0, s48
	v_mov_b32_e32 v2, s12
	v_add_co_u32_e32 v1, vcc, s7, v0
	s_subb_u32 s1, s1, 0
	v_addc_co_u32_e32 v2, vcc, 0, v2, vcc
	v_cmp_gt_i64_e32 vcc, s[0:1], v[1:2]
	s_and_saveexec_b64 s[10:11], vcc
	s_cbranch_execz .LBB58_44
; %bb.41:
	s_add_u32 s14, s7, 0xc00
	v_mov_b32_e32 v4, s1
	s_addc_u32 s15, s12, 0
	v_mov_b32_e32 v3, s0
	v_cmp_lt_i64_e32 vcc, s[14:15], v[3:4]
	v_lshlrev_b64 v[3:4], 2, v[1:2]
	s_and_b64 s[12:13], vcc, exec
	v_mov_b32_e32 v7, s27
	v_add_co_u32_e32 v3, vcc, s26, v3
	s_cselect_b32 s13, s15, s1
	s_cselect_b32 s12, s14, s0
	v_addc_co_u32_e32 v4, vcc, v7, v4, vcc
	s_mov_b64 s[14:15], 0
	v_mov_b32_e32 v7, s29
	v_mov_b32_e32 v8, s31
.LBB58_42:                              ; =>This Inner Loop Header: Depth=1
	global_load_dword v11, v[3:4], off
	v_add_co_u32_e32 v9, vcc, s28, v1
	v_addc_co_u32_e32 v10, vcc, v7, v2, vcc
	global_load_sbyte v12, v[9:10], off
	s_waitcnt vmcnt(1)
	v_subrev_u32_e32 v9, s48, v11
	v_ashrrev_i32_e32 v10, 31, v9
	v_add_co_u32_e32 v9, vcc, s30, v9
	v_addc_co_u32_e32 v10, vcc, v8, v10, vcc
	global_load_sbyte v9, v[9:10], off
	s_waitcnt vmcnt(1)
	v_cvt_f32_i32_e32 v10, v12
	v_add_co_u32_e32 v1, vcc, 0x100, v1
	v_addc_co_u32_e32 v2, vcc, 0, v2, vcc
	v_cmp_le_i64_e64 s[0:1], s[12:13], v[1:2]
	v_add_co_u32_e32 v3, vcc, 0x400, v3
	v_mul_f32_e32 v10, s46, v10
	v_addc_co_u32_e32 v4, vcc, 0, v4, vcc
	s_or_b64 s[14:15], s[0:1], s[14:15]
	s_waitcnt vmcnt(0)
	v_cvt_f32_i32_e32 v9, v9
	v_fmac_f32_e32 v6, v10, v9
	s_andn2_b64 exec, exec, s[14:15]
	s_cbranch_execnz .LBB58_42
; %bb.43:
	s_or_b64 exec, exec, s[14:15]
.LBB58_44:
	s_or_b64 exec, exec, s[10:11]
	s_movk_i32 s0, 0x80
	v_lshlrev_b32_e32 v1, 2, v0
	v_cmp_gt_u32_e32 vcc, s0, v0
	ds_write_b32 v1, v6
	s_waitcnt vmcnt(0) lgkmcnt(0)
	s_barrier
	s_and_saveexec_b64 s[0:1], vcc
	s_cbranch_execz .LBB58_46
; %bb.45:
	ds_read2st64_b32 v[2:3], v1 offset1:2
	s_waitcnt lgkmcnt(0)
	v_add_f32_e32 v2, v2, v3
	ds_write_b32 v1, v2
.LBB58_46:
	s_or_b64 exec, exec, s[0:1]
	v_cmp_gt_u32_e32 vcc, 64, v0
	s_waitcnt lgkmcnt(0)
	s_barrier
	s_and_saveexec_b64 s[0:1], vcc
	s_cbranch_execz .LBB58_48
; %bb.47:
	ds_read2st64_b32 v[2:3], v1 offset1:1
	s_waitcnt lgkmcnt(0)
	v_add_f32_e32 v2, v2, v3
	ds_write_b32 v1, v2
.LBB58_48:
	s_or_b64 exec, exec, s[0:1]
	v_cmp_gt_u32_e32 vcc, 32, v0
	s_waitcnt lgkmcnt(0)
	s_barrier
	s_and_saveexec_b64 s[0:1], vcc
	s_cbranch_execz .LBB58_50
; %bb.49:
	ds_read2_b32 v[2:3], v1 offset1:32
	s_waitcnt lgkmcnt(0)
	v_add_f32_e32 v2, v2, v3
	ds_write_b32 v1, v2
.LBB58_50:
	s_or_b64 exec, exec, s[0:1]
	v_cmp_gt_u32_e32 vcc, 16, v0
	s_waitcnt lgkmcnt(0)
	s_barrier
	s_and_saveexec_b64 s[0:1], vcc
	s_cbranch_execz .LBB58_52
; %bb.51:
	ds_read2_b32 v[2:3], v1 offset1:16
	s_waitcnt lgkmcnt(0)
	v_add_f32_e32 v2, v2, v3
	ds_write_b32 v1, v2
.LBB58_52:
	;; [unrolled: 12-line block ×5, first 2 shown]
	s_or_b64 exec, exec, s[0:1]
	v_cmp_eq_u32_e32 vcc, 0, v0
	s_waitcnt lgkmcnt(0)
	s_barrier
	s_and_saveexec_b64 s[0:1], vcc
	s_cbranch_execz .LBB58_60
; %bb.59:
	v_mov_b32_e32 v3, 0
	ds_read_b64 v[1:2], v3
	s_waitcnt lgkmcnt(0)
	v_add_f32_e32 v1, v1, v2
	ds_write_b32 v3, v1
.LBB58_60:
	s_or_b64 exec, exec, s[0:1]
	s_waitcnt lgkmcnt(0)
	s_barrier
	s_and_saveexec_b64 s[0:1], vcc
	s_cbranch_execz .LBB58_70
; %bb.61:
	s_cmp_eq_u32 s33, 0
	s_cbranch_scc1 .LBB58_67
; %bb.62:
	s_ashr_i32 s7, s6, 31
	s_lshl_b64 s[6:7], s[6:7], 2
	s_add_u32 s6, s8, s6
	s_addc_u32 s7, s9, s7
	v_mov_b32_e32 v1, 0
	s_branch .LBB58_64
.LBB58_63:                              ;   in Loop: Header=BB58_64 Depth=1
	s_or_b64 exec, exec, s[8:9]
	s_waitcnt vmcnt(0)
	v_readfirstlane_b32 s8, v2
	v_cmp_eq_u32_e32 vcc, s8, v5
	s_cbranch_vccz .LBB58_66
.LBB58_64:                              ; =>This Inner Loop Header: Depth=1
	v_mbcnt_lo_u32_b32 v2, exec_lo, 0
	v_mbcnt_hi_u32_b32 v2, exec_hi, v2
	v_cmp_eq_u32_e32 vcc, 0, v2
                                        ; implicit-def: $vgpr2
	s_and_saveexec_b64 s[8:9], vcc
	s_cbranch_execz .LBB58_63
; %bb.65:                               ;   in Loop: Header=BB58_64 Depth=1
	global_load_dword v2, v1, s[6:7] glc
	s_branch .LBB58_63
.LBB58_66:
	v_mov_b32_e32 v1, 0
	global_load_ushort v2, v1, s[2:3]
	s_waitcnt vmcnt(0)
	v_xor_b32_e32 v2, 1, v2
	global_store_short v1, v2, s[2:3]
.LBB58_67:
	s_mov_b64 s[6:7], exec
	v_mbcnt_lo_u32_b32 v1, s6, 0
	v_mbcnt_hi_u32_b32 v1, s7, v1
	v_cmp_eq_u32_e32 vcc, 0, v1
	s_and_b64 s[2:3], exec, vcc
	s_mov_b64 exec, s[2:3]
	s_cbranch_execz .LBB58_70
; %bb.68:
	s_lshl_b64 s[2:3], s[36:37], 2
	s_add_u32 s2, s40, s2
	s_addc_u32 s3, s41, s3
	v_mov_b32_e32 v3, 0
	global_load_dword v2, v3, s[2:3]
	ds_read_b32 v1, v3
	s_bcnt1_i32_b64 s6, s[6:7]
	v_cvt_f32_ubyte0_e32 v4, s6
	s_mov_b64 s[6:7], 0
	s_waitcnt lgkmcnt(0)
	v_mul_f32_e32 v4, v1, v4
.LBB58_69:                              ; =>This Inner Loop Header: Depth=1
	s_waitcnt vmcnt(0)
	v_add_f32_e32 v1, v2, v4
	global_atomic_cmpswap v1, v3, v[1:2], s[2:3] glc
	s_waitcnt vmcnt(0)
	v_cmp_eq_u32_e32 vcc, v1, v2
	s_or_b64 s[6:7], vcc, s[6:7]
	v_mov_b32_e32 v2, v1
	s_andn2_b64 exec, exec, s[6:7]
	s_cbranch_execnz .LBB58_69
.LBB58_70:
	s_or_b64 exec, exec, s[0:1]
.LBB58_71:
	s_mov_b64 s[0:1], 0
.LBB58_72:
	s_andn2_b64 vcc, exec, s[0:1]
	s_cbranch_vccnz .LBB58_116
; %bb.73:
	s_load_dwordx2 s[0:1], s[4:5], 0x8
	v_subrev_co_u32_e32 v1, vcc, s48, v0
	v_subb_co_u32_e64 v2, s[2:3], 0, 0, vcc
	s_waitcnt lgkmcnt(0)
	v_mov_b32_e32 v3, s45
	v_add_co_u32_e32 v1, vcc, s44, v1
	v_addc_co_u32_e32 v2, vcc, v3, v2, vcc
	v_add_co_u32_e32 v3, vcc, 0x300, v1
	v_addc_co_u32_e32 v4, vcc, 0, v2, vcc
	v_cmp_le_i64_e32 vcc, s[0:1], v[3:4]
	s_and_saveexec_b64 s[0:1], vcc
	s_xor_b64 s[0:1], exec, s[0:1]
	s_cbranch_execz .LBB58_78
; %bb.74:
	s_lshl_b64 s[2:3], s[38:39], 3
	s_add_u32 s2, s24, s2
	s_addc_u32 s3, s25, s3
	s_load_dwordx2 s[2:3], s[2:3], 0x0
	s_waitcnt lgkmcnt(0)
	s_sub_u32 s2, s2, s48
	s_subb_u32 s3, s3, 0
	v_cmp_gt_i64_e32 vcc, s[2:3], v[1:2]
	s_and_saveexec_b64 s[4:5], vcc
	s_cbranch_execz .LBB58_77
; %bb.75:
	v_lshlrev_b64 v[3:4], 2, v[1:2]
	v_mov_b32_e32 v6, s27
	v_add_co_u32_e32 v3, vcc, s26, v3
	v_lshlrev_b32_e32 v5, 2, v0
	v_addc_co_u32_e32 v4, vcc, v6, v4, vcc
	s_mov_b64 s[6:7], 0
	v_mov_b32_e32 v6, s29
	v_mov_b32_e32 v7, s31
.LBB58_76:                              ; =>This Inner Loop Header: Depth=1
	global_load_dword v10, v[3:4], off
	v_add_co_u32_e32 v8, vcc, s28, v1
	v_addc_co_u32_e32 v9, vcc, v6, v2, vcc
	global_load_sbyte v11, v[8:9], off
	s_waitcnt vmcnt(1)
	v_subrev_u32_e32 v8, s48, v10
	v_ashrrev_i32_e32 v9, 31, v8
	v_add_co_u32_e32 v8, vcc, s30, v8
	v_addc_co_u32_e32 v9, vcc, v7, v9, vcc
	global_load_sbyte v8, v[8:9], off
	v_add_co_u32_e32 v1, vcc, 0x100, v1
	s_waitcnt vmcnt(1)
	v_cvt_f32_i32_e32 v9, v11
	v_addc_co_u32_e32 v2, vcc, 0, v2, vcc
	v_add_co_u32_e32 v3, vcc, 0x400, v3
	v_addc_co_u32_e32 v4, vcc, 0, v4, vcc
	v_cmp_le_i64_e32 vcc, s[2:3], v[1:2]
	v_mul_f32_e32 v9, s46, v9
	s_or_b64 s[6:7], vcc, s[6:7]
	s_waitcnt vmcnt(0)
	v_cvt_f32_i32_e32 v8, v8
	v_mul_f32_e32 v8, v9, v8
	ds_write_b32 v5, v8
	v_add_u32_e32 v5, 0x400, v5
	s_andn2_b64 exec, exec, s[6:7]
	s_cbranch_execnz .LBB58_76
.LBB58_77:
	s_or_b64 exec, exec, s[4:5]
                                        ; implicit-def: $vgpr1
.LBB58_78:
	s_or_saveexec_b64 s[0:1], s[0:1]
	v_lshlrev_b32_e32 v7, 2, v0
	s_xor_b64 exec, exec, s[0:1]
	s_cbranch_execz .LBB58_80
; %bb.79:
	v_lshlrev_b64 v[3:4], 2, v[1:2]
	v_mov_b32_e32 v5, s27
	v_add_co_u32_e32 v3, vcc, s26, v3
	v_addc_co_u32_e32 v4, vcc, v5, v4, vcc
	global_load_dword v5, v[3:4], off
	global_load_dword v6, v[3:4], off offset:1024
	global_load_dword v8, v[3:4], off offset:2048
	;; [unrolled: 1-line block ×3, first 2 shown]
	v_mov_b32_e32 v3, s29
	v_add_co_u32_e32 v1, vcc, s28, v1
	v_addc_co_u32_e32 v2, vcc, v3, v2, vcc
	global_load_sbyte v13, v[1:2], off
	global_load_sbyte v14, v[1:2], off offset:256
	global_load_sbyte v15, v[1:2], off offset:512
	;; [unrolled: 1-line block ×3, first 2 shown]
	v_mov_b32_e32 v4, s31
	v_mov_b32_e32 v10, s31
	;; [unrolled: 1-line block ×4, first 2 shown]
	s_waitcnt vmcnt(7)
	v_subrev_u32_e32 v1, s48, v5
	v_ashrrev_i32_e32 v2, 31, v1
	v_add_co_u32_e32 v1, vcc, s30, v1
	s_waitcnt vmcnt(6)
	v_subrev_u32_e32 v3, s48, v6
	v_addc_co_u32_e32 v2, vcc, v4, v2, vcc
	v_ashrrev_i32_e32 v6, 31, v3
	v_add_co_u32_e32 v3, vcc, s30, v3
	s_waitcnt vmcnt(5)
	v_subrev_u32_e32 v5, s48, v8
	v_addc_co_u32_e32 v4, vcc, v10, v6, vcc
	s_waitcnt vmcnt(4)
	v_subrev_u32_e32 v8, s48, v9
	v_ashrrev_i32_e32 v9, 31, v5
	v_add_co_u32_e32 v5, vcc, s30, v5
	v_addc_co_u32_e32 v6, vcc, v11, v9, vcc
	v_ashrrev_i32_e32 v17, 31, v8
	v_add_co_u32_e32 v8, vcc, s30, v8
	v_addc_co_u32_e32 v9, vcc, v12, v17, vcc
	global_load_sbyte v10, v[1:2], off
	global_load_sbyte v11, v[3:4], off
	;; [unrolled: 1-line block ×4, first 2 shown]
	s_waitcnt vmcnt(7)
	v_cvt_f32_i32_e32 v1, v13
	s_waitcnt vmcnt(6)
	v_cvt_f32_i32_e32 v2, v14
	;; [unrolled: 2-line block ×4, first 2 shown]
	v_mul_f32_e32 v1, s46, v1
	v_mul_f32_e32 v2, s46, v2
	v_mul_f32_e32 v3, s46, v3
	v_mul_f32_e32 v4, s46, v4
	s_waitcnt vmcnt(3)
	v_cvt_f32_i32_e32 v5, v10
	s_waitcnt vmcnt(2)
	v_cvt_f32_i32_e32 v6, v11
	;; [unrolled: 2-line block ×4, first 2 shown]
	v_mul_f32_e32 v1, v1, v5
	v_mul_f32_e32 v2, v2, v6
	;; [unrolled: 1-line block ×4, first 2 shown]
	ds_write2st64_b32 v7, v1, v2 offset1:4
	ds_write2st64_b32 v7, v3, v4 offset0:8 offset1:12
.LBB58_80:
	s_or_b64 exec, exec, s[0:1]
	s_cmp_lt_i32 s33, 2
	s_mov_b64 s[0:1], -1
	s_waitcnt vmcnt(0) lgkmcnt(0)
	s_barrier
	s_cbranch_scc0 .LBB58_91
; %bb.81:
	v_mov_b32_e32 v1, s37
	v_add_co_u32_e32 v5, vcc, s36, v0
	v_addc_co_u32_e32 v6, vcc, 0, v1, vcc
	v_cmp_gt_i64_e32 vcc, s[38:39], v[5:6]
	s_and_saveexec_b64 s[2:3], vcc
	s_cbranch_execz .LBB58_90
; %bb.82:
	s_lshl_b32 s0, s44, 2
	v_cmp_neq_f32_e64 s[4:5], s34, 0
	s_sub_i32 s10, 0, s0
	s_mov_b64 s[6:7], 0
	v_mov_b32_e32 v8, s25
	v_mov_b32_e32 v9, s41
	s_branch .LBB58_84
.LBB58_83:                              ;   in Loop: Header=BB58_84 Depth=1
	v_add_co_u32_e32 v5, vcc, 0x100, v5
	v_addc_co_u32_e32 v6, vcc, 0, v6, vcc
	v_cmp_le_i64_e32 vcc, s[38:39], v[5:6]
	v_add_co_u32_e64 v1, s[0:1], s40, v1
	v_addc_co_u32_e64 v2, s[0:1], v9, v2, s[0:1]
	s_or_b64 s[6:7], vcc, s[6:7]
	global_store_dword v[1:2], v3, off
	s_andn2_b64 exec, exec, s[6:7]
	s_cbranch_execz .LBB58_90
.LBB58_84:                              ; =>This Loop Header: Depth=1
                                        ;     Child Loop BB58_86 Depth 2
	v_lshlrev_b64 v[1:2], 3, v[5:6]
	v_add_co_u32_e32 v1, vcc, s24, v1
	v_addc_co_u32_e32 v2, vcc, v8, v2, vcc
	global_load_dwordx4 v[1:4], v[1:2], off
	s_waitcnt vmcnt(0)
	v_subrev_u32_e32 v2, s44, v1
	v_subrev_u32_e32 v4, s44, v3
	v_cmp_lt_i32_e32 vcc, v2, v4
	v_mov_b32_e32 v3, 0
	s_and_saveexec_b64 s[0:1], vcc
	s_cbranch_execz .LBB58_88
; %bb.85:                               ;   in Loop: Header=BB58_84 Depth=1
	v_lshl_add_u32 v1, v1, 2, s10
	v_mov_b32_e32 v3, 0
	s_mov_b64 s[8:9], 0
.LBB58_86:                              ;   Parent Loop BB58_84 Depth=1
                                        ; =>  This Inner Loop Header: Depth=2
	ds_read_b32 v10, v1
	v_add_u32_e32 v2, 1, v2
	v_cmp_ge_i32_e32 vcc, v2, v4
	v_add_u32_e32 v1, 4, v1
	s_or_b64 s[8:9], vcc, s[8:9]
	s_waitcnt lgkmcnt(0)
	v_add_f32_e32 v3, v3, v10
	s_andn2_b64 exec, exec, s[8:9]
	s_cbranch_execnz .LBB58_86
; %bb.87:                               ;   in Loop: Header=BB58_84 Depth=1
	s_or_b64 exec, exec, s[8:9]
.LBB58_88:                              ;   in Loop: Header=BB58_84 Depth=1
	s_or_b64 exec, exec, s[0:1]
	v_lshlrev_b64 v[1:2], 2, v[5:6]
	s_and_b64 vcc, exec, s[4:5]
	s_cbranch_vccz .LBB58_83
; %bb.89:                               ;   in Loop: Header=BB58_84 Depth=1
	v_mov_b32_e32 v4, s41
	v_add_co_u32_e32 v10, vcc, s40, v1
	v_addc_co_u32_e32 v11, vcc, v4, v2, vcc
	global_load_dword v4, v[10:11], off
	s_waitcnt vmcnt(0)
	v_fmac_f32_e32 v3, s34, v4
	s_branch .LBB58_83
.LBB58_90:
	s_or_b64 exec, exec, s[2:3]
	s_mov_b64 s[0:1], 0
.LBB58_91:
	s_andn2_b64 vcc, exec, s[0:1]
	s_cbranch_vccnz .LBB58_116
; %bb.92:
	s_flbit_i32_b32 s0, s33
	s_xor_b32 s0, s0, 31
	v_lshrrev_b32_e32 v4, s0, v0
	v_mov_b32_e32 v2, s37
	v_add_co_u32_e32 v1, vcc, s36, v4
	v_addc_co_u32_e32 v2, vcc, 0, v2, vcc
	s_add_i32 s2, s33, -1
	v_cmp_le_i64_e32 vcc, s[38:39], v[1:2]
	v_cmp_gt_i64_e64 s[0:1], s[38:39], v[1:2]
	v_mov_b32_e32 v3, 0
	v_and_b32_e32 v0, s2, v0
	s_and_saveexec_b64 s[2:3], s[0:1]
	s_cbranch_execz .LBB58_98
; %bb.93:
	v_lshlrev_b32_e32 v3, 3, v4
	global_load_dword v4, v3, s[42:43] offset:8
	global_load_dword v5, v3, s[42:43]
	s_waitcnt vmcnt(1)
	v_subrev_u32_e32 v4, s44, v4
	s_waitcnt vmcnt(0)
	v_subrev_u32_e32 v3, s44, v5
	v_add_u32_e32 v5, v0, v3
	v_cmp_lt_i32_e64 s[0:1], v5, v4
	v_mov_b32_e32 v3, 0
	s_and_saveexec_b64 s[4:5], s[0:1]
	s_cbranch_execz .LBB58_97
; %bb.94:
	v_lshlrev_b32_e32 v6, 2, v5
	s_lshl_b32 s8, s33, 2
	v_mov_b32_e32 v3, 0
	s_mov_b64 s[6:7], 0
.LBB58_95:                              ; =>This Inner Loop Header: Depth=1
	ds_read_b32 v8, v6
	v_add_u32_e32 v5, s33, v5
	v_cmp_ge_i32_e64 s[0:1], v5, v4
	v_add_u32_e32 v6, s8, v6
	s_or_b64 s[6:7], s[0:1], s[6:7]
	s_waitcnt lgkmcnt(0)
	v_add_f32_e32 v3, v3, v8
	s_andn2_b64 exec, exec, s[6:7]
	s_cbranch_execnz .LBB58_95
; %bb.96:
	s_or_b64 exec, exec, s[6:7]
.LBB58_97:
	s_or_b64 exec, exec, s[4:5]
.LBB58_98:
	s_or_b64 exec, exec, s[2:3]
	s_cmpk_lt_u32 s33, 0x81
	s_waitcnt vmcnt(0)
	s_barrier
	ds_write_b32 v7, v3
	s_waitcnt lgkmcnt(0)
	s_barrier
	s_cbranch_scc1 .LBB58_100
; %bb.99:
	ds_read_b32 v4, v7 offset:512
	s_waitcnt lgkmcnt(0)
	s_barrier
	v_add_f32_e32 v3, v3, v4
	ds_write_b32 v7, v3
.LBB58_100:
	s_cmpk_lt_u32 s33, 0x41
	s_waitcnt lgkmcnt(0)
	s_barrier
	s_cbranch_scc1 .LBB58_102
; %bb.101:
	ds_read_b32 v4, v7 offset:256
	s_waitcnt lgkmcnt(0)
	s_barrier
	v_add_f32_e32 v3, v3, v4
	ds_write_b32 v7, v3
.LBB58_102:
	s_cmp_lt_u32 s33, 33
	s_waitcnt lgkmcnt(0)
	s_barrier
	s_cbranch_scc1 .LBB58_104
; %bb.103:
	ds_read_b32 v4, v7 offset:128
	s_waitcnt lgkmcnt(0)
	s_barrier
	v_add_f32_e32 v3, v3, v4
	ds_write_b32 v7, v3
.LBB58_104:
	s_cmp_lt_u32 s33, 17
	;; [unrolled: 11-line block ×4, first 2 shown]
	s_waitcnt lgkmcnt(0)
	s_barrier
	s_cbranch_scc1 .LBB58_110
; %bb.109:
	ds_read_b32 v4, v7 offset:16
	s_waitcnt lgkmcnt(0)
	s_barrier
	v_add_f32_e32 v3, v3, v4
	ds_write_b32 v7, v3
.LBB58_110:
	s_cmp_eq_u32 s33, 2
	s_waitcnt lgkmcnt(0)
	s_barrier
	s_cbranch_scc1 .LBB58_112
; %bb.111:
	ds_read_b32 v4, v7 offset:8
	s_waitcnt lgkmcnt(0)
	s_barrier
	v_add_f32_e32 v3, v3, v4
	ds_write_b32 v7, v3
.LBB58_112:
	s_waitcnt lgkmcnt(0)
	s_barrier
	ds_read_b32 v4, v7 offset:4
	v_cmp_eq_u32_e64 s[0:1], 0, v0
	s_xor_b64 s[2:3], vcc, -1
	s_and_b64 s[0:1], s[0:1], s[2:3]
	s_waitcnt lgkmcnt(0)
	v_add_f32_e32 v3, v3, v4
	s_barrier
	ds_write_b32 v7, v3
	s_and_saveexec_b64 s[2:3], s[0:1]
	s_cbranch_execz .LBB58_116
; %bb.113:
	v_cmp_eq_f32_e64 s[0:1], s34, 0
	v_lshlrev_b64 v[0:1], 2, v[1:2]
	s_and_b64 vcc, exec, s[0:1]
	s_cbranch_vccnz .LBB58_115
; %bb.114:
	v_mov_b32_e32 v2, s41
	v_add_co_u32_e32 v4, vcc, s40, v0
	v_addc_co_u32_e32 v5, vcc, v2, v1, vcc
	global_load_dword v2, v[4:5], off
	s_waitcnt vmcnt(0)
	v_fmac_f32_e32 v3, s34, v2
.LBB58_115:
	v_mov_b32_e32 v2, s41
	v_add_co_u32_e32 v0, vcc, s40, v0
	v_addc_co_u32_e32 v1, vcc, v2, v1, vcc
	global_store_dword v[0:1], v3, off
.LBB58_116:
	s_endpgm
	.section	.rodata,"a",@progbits
	.p2align	6, 0x0
	.amdhsa_kernel _ZN9rocsparseL22csrmvn_adaptive_kernelIliaaffEEvbT_PKS1_PjPKT0_NS_24const_host_device_scalarIT4_EES3_S7_PKT1_PKT2_SA_PT3_21rocsparse_index_base_b
		.amdhsa_group_segment_fixed_size 4096
		.amdhsa_private_segment_fixed_size 0
		.amdhsa_kernarg_size 104
		.amdhsa_user_sgpr_count 6
		.amdhsa_user_sgpr_private_segment_buffer 1
		.amdhsa_user_sgpr_dispatch_ptr 0
		.amdhsa_user_sgpr_queue_ptr 0
		.amdhsa_user_sgpr_kernarg_segment_ptr 1
		.amdhsa_user_sgpr_dispatch_id 0
		.amdhsa_user_sgpr_flat_scratch_init 0
		.amdhsa_user_sgpr_private_segment_size 0
		.amdhsa_uses_dynamic_stack 0
		.amdhsa_system_sgpr_private_segment_wavefront_offset 0
		.amdhsa_system_sgpr_workgroup_id_x 1
		.amdhsa_system_sgpr_workgroup_id_y 0
		.amdhsa_system_sgpr_workgroup_id_z 0
		.amdhsa_system_sgpr_workgroup_info 0
		.amdhsa_system_vgpr_workitem_id 0
		.amdhsa_next_free_vgpr 18
		.amdhsa_next_free_sgpr 60
		.amdhsa_reserve_vcc 1
		.amdhsa_reserve_flat_scratch 0
		.amdhsa_float_round_mode_32 0
		.amdhsa_float_round_mode_16_64 0
		.amdhsa_float_denorm_mode_32 3
		.amdhsa_float_denorm_mode_16_64 3
		.amdhsa_dx10_clamp 1
		.amdhsa_ieee_mode 1
		.amdhsa_fp16_overflow 0
		.amdhsa_exception_fp_ieee_invalid_op 0
		.amdhsa_exception_fp_denorm_src 0
		.amdhsa_exception_fp_ieee_div_zero 0
		.amdhsa_exception_fp_ieee_overflow 0
		.amdhsa_exception_fp_ieee_underflow 0
		.amdhsa_exception_fp_ieee_inexact 0
		.amdhsa_exception_int_div_zero 0
	.end_amdhsa_kernel
	.section	.text._ZN9rocsparseL22csrmvn_adaptive_kernelIliaaffEEvbT_PKS1_PjPKT0_NS_24const_host_device_scalarIT4_EES3_S7_PKT1_PKT2_SA_PT3_21rocsparse_index_base_b,"axG",@progbits,_ZN9rocsparseL22csrmvn_adaptive_kernelIliaaffEEvbT_PKS1_PjPKT0_NS_24const_host_device_scalarIT4_EES3_S7_PKT1_PKT2_SA_PT3_21rocsparse_index_base_b,comdat
.Lfunc_end58:
	.size	_ZN9rocsparseL22csrmvn_adaptive_kernelIliaaffEEvbT_PKS1_PjPKT0_NS_24const_host_device_scalarIT4_EES3_S7_PKT1_PKT2_SA_PT3_21rocsparse_index_base_b, .Lfunc_end58-_ZN9rocsparseL22csrmvn_adaptive_kernelIliaaffEEvbT_PKS1_PjPKT0_NS_24const_host_device_scalarIT4_EES3_S7_PKT1_PKT2_SA_PT3_21rocsparse_index_base_b
                                        ; -- End function
	.set _ZN9rocsparseL22csrmvn_adaptive_kernelIliaaffEEvbT_PKS1_PjPKT0_NS_24const_host_device_scalarIT4_EES3_S7_PKT1_PKT2_SA_PT3_21rocsparse_index_base_b.num_vgpr, 18
	.set _ZN9rocsparseL22csrmvn_adaptive_kernelIliaaffEEvbT_PKS1_PjPKT0_NS_24const_host_device_scalarIT4_EES3_S7_PKT1_PKT2_SA_PT3_21rocsparse_index_base_b.num_agpr, 0
	.set _ZN9rocsparseL22csrmvn_adaptive_kernelIliaaffEEvbT_PKS1_PjPKT0_NS_24const_host_device_scalarIT4_EES3_S7_PKT1_PKT2_SA_PT3_21rocsparse_index_base_b.numbered_sgpr, 60
	.set _ZN9rocsparseL22csrmvn_adaptive_kernelIliaaffEEvbT_PKS1_PjPKT0_NS_24const_host_device_scalarIT4_EES3_S7_PKT1_PKT2_SA_PT3_21rocsparse_index_base_b.num_named_barrier, 0
	.set _ZN9rocsparseL22csrmvn_adaptive_kernelIliaaffEEvbT_PKS1_PjPKT0_NS_24const_host_device_scalarIT4_EES3_S7_PKT1_PKT2_SA_PT3_21rocsparse_index_base_b.private_seg_size, 0
	.set _ZN9rocsparseL22csrmvn_adaptive_kernelIliaaffEEvbT_PKS1_PjPKT0_NS_24const_host_device_scalarIT4_EES3_S7_PKT1_PKT2_SA_PT3_21rocsparse_index_base_b.uses_vcc, 1
	.set _ZN9rocsparseL22csrmvn_adaptive_kernelIliaaffEEvbT_PKS1_PjPKT0_NS_24const_host_device_scalarIT4_EES3_S7_PKT1_PKT2_SA_PT3_21rocsparse_index_base_b.uses_flat_scratch, 0
	.set _ZN9rocsparseL22csrmvn_adaptive_kernelIliaaffEEvbT_PKS1_PjPKT0_NS_24const_host_device_scalarIT4_EES3_S7_PKT1_PKT2_SA_PT3_21rocsparse_index_base_b.has_dyn_sized_stack, 0
	.set _ZN9rocsparseL22csrmvn_adaptive_kernelIliaaffEEvbT_PKS1_PjPKT0_NS_24const_host_device_scalarIT4_EES3_S7_PKT1_PKT2_SA_PT3_21rocsparse_index_base_b.has_recursion, 0
	.set _ZN9rocsparseL22csrmvn_adaptive_kernelIliaaffEEvbT_PKS1_PjPKT0_NS_24const_host_device_scalarIT4_EES3_S7_PKT1_PKT2_SA_PT3_21rocsparse_index_base_b.has_indirect_call, 0
	.section	.AMDGPU.csdata,"",@progbits
; Kernel info:
; codeLenInByte = 3824
; TotalNumSgprs: 64
; NumVgprs: 18
; ScratchSize: 0
; MemoryBound: 0
; FloatMode: 240
; IeeeMode: 1
; LDSByteSize: 4096 bytes/workgroup (compile time only)
; SGPRBlocks: 7
; VGPRBlocks: 4
; NumSGPRsForWavesPerEU: 64
; NumVGPRsForWavesPerEU: 18
; Occupancy: 10
; WaveLimiterHint : 1
; COMPUTE_PGM_RSRC2:SCRATCH_EN: 0
; COMPUTE_PGM_RSRC2:USER_SGPR: 6
; COMPUTE_PGM_RSRC2:TRAP_HANDLER: 0
; COMPUTE_PGM_RSRC2:TGID_X_EN: 1
; COMPUTE_PGM_RSRC2:TGID_Y_EN: 0
; COMPUTE_PGM_RSRC2:TGID_Z_EN: 0
; COMPUTE_PGM_RSRC2:TIDIG_COMP_CNT: 0
	.section	.text._ZN9rocsparseL27csrmvn_symm_adaptive_kernelIliaaffEEvbT_S1_PKS1_NS_24const_host_device_scalarIT4_EES3_PKT0_PKT1_PKT2_S6_PT3_21rocsparse_index_base_b,"axG",@progbits,_ZN9rocsparseL27csrmvn_symm_adaptive_kernelIliaaffEEvbT_S1_PKS1_NS_24const_host_device_scalarIT4_EES3_PKT0_PKT1_PKT2_S6_PT3_21rocsparse_index_base_b,comdat
	.globl	_ZN9rocsparseL27csrmvn_symm_adaptive_kernelIliaaffEEvbT_S1_PKS1_NS_24const_host_device_scalarIT4_EES3_PKT0_PKT1_PKT2_S6_PT3_21rocsparse_index_base_b ; -- Begin function _ZN9rocsparseL27csrmvn_symm_adaptive_kernelIliaaffEEvbT_S1_PKS1_NS_24const_host_device_scalarIT4_EES3_PKT0_PKT1_PKT2_S6_PT3_21rocsparse_index_base_b
	.p2align	8
	.type	_ZN9rocsparseL27csrmvn_symm_adaptive_kernelIliaaffEEvbT_S1_PKS1_NS_24const_host_device_scalarIT4_EES3_PKT0_PKT1_PKT2_S6_PT3_21rocsparse_index_base_b,@function
_ZN9rocsparseL27csrmvn_symm_adaptive_kernelIliaaffEEvbT_S1_PKS1_NS_24const_host_device_scalarIT4_EES3_PKT0_PKT1_PKT2_S6_PT3_21rocsparse_index_base_b: ; @_ZN9rocsparseL27csrmvn_symm_adaptive_kernelIliaaffEEvbT_S1_PKS1_NS_24const_host_device_scalarIT4_EES3_PKT0_PKT1_PKT2_S6_PT3_21rocsparse_index_base_b
; %bb.0:
	s_load_dwordx2 s[30:31], s[4:5], 0x58
	s_load_dwordx2 s[38:39], s[4:5], 0x20
	;; [unrolled: 1-line block ×3, first 2 shown]
	s_waitcnt lgkmcnt(0)
	s_bitcmp1_b32 s31, 0
	s_cselect_b64 s[8:9], -1, 0
	s_xor_b64 s[2:3], s[8:9], -1
	s_and_b64 vcc, exec, s[8:9]
	s_cbranch_vccnz .LBB59_2
; %bb.1:
	s_load_dword s38, s[38:39], 0x0
.LBB59_2:
	s_andn2_b64 vcc, exec, s[2:3]
	s_cbranch_vccnz .LBB59_4
; %bb.3:
	s_load_dword s0, s[0:1], 0x0
.LBB59_4:
	s_waitcnt lgkmcnt(0)
	v_cmp_neq_f32_e64 s[2:3], s38, 0
	v_cmp_neq_f32_e64 s[0:1], s0, 1.0
	s_or_b64 s[0:1], s[2:3], s[0:1]
	s_andn2_b64 vcc, exec, s[0:1]
	s_cbranch_vccnz .LBB59_154
; %bb.5:
	s_load_dwordx2 s[0:1], s[4:5], 0x18
	s_ashr_i32 s7, s6, 31
	s_lshl_b64 s[2:3], s[6:7], 3
	v_lshlrev_b32_e32 v15, 2, v0
	v_mov_b32_e32 v1, 0
	s_waitcnt lgkmcnt(0)
	s_add_u32 s0, s0, s2
	s_addc_u32 s1, s1, s3
	ds_write2st64_b32 v15, v1, v1 offset1:4
	ds_write2st64_b32 v15, v1, v1 offset0:8 offset1:12
	s_waitcnt lgkmcnt(0)
	s_barrier
	s_load_dwordx4 s[24:27], s[0:1], 0x0
	s_load_dwordx8 s[16:23], s[4:5], 0x28
	s_load_dwordx2 s[14:15], s[4:5], 0x50
	s_mov_b64 s[0:1], -1
	s_waitcnt lgkmcnt(0)
	s_sub_u32 s28, s26, s24
	s_subb_u32 s29, s27, s25
	v_cmp_gt_i64_e64 s[2:3], s[28:29], 2
	s_and_b64 vcc, exec, s[2:3]
	s_cbranch_vccnz .LBB59_38
; %bb.6:
	v_mov_b32_e32 v1, s24
	v_mov_b32_e32 v2, s25
	v_cmp_le_i64_e32 vcc, s[26:27], v[1:2]
	v_subrev_co_u32_e64 v7, s[0:1], s30, v0
	v_subb_co_u32_e64 v8, s[0:1], 0, 0, s[0:1]
	s_cbranch_vccnz .LBB59_27
; %bb.7:
	s_movk_i32 s0, 0x100
	v_mov_b32_e32 v1, s26
	v_cmp_gt_u32_e64 s[0:1], s0, v0
	v_cmp_gt_u32_e64 s[2:3], 64, v0
	;; [unrolled: 1-line block ×4, first 2 shown]
	v_cmp_eq_u32_e64 s[10:11], 0, v0
	v_mov_b32_e32 v9, 0
	v_mov_b32_e32 v2, s27
	s_mov_b64 s[34:35], s[24:25]
	s_branch .LBB59_9
.LBB59_8:                               ;   in Loop: Header=BB59_9 Depth=1
	s_or_b64 exec, exec, s[12:13]
	s_add_u32 s34, s34, 1
	s_addc_u32 s35, s35, 0
	v_cmp_ge_i64_e32 vcc, s[34:35], v[1:2]
	s_cbranch_vccnz .LBB59_27
.LBB59_9:                               ; =>This Loop Header: Depth=1
                                        ;     Child Loop BB59_11 Depth 2
                                        ;     Child Loop BB59_26 Depth 2
	s_lshl_b64 s[12:13], s[34:35], 3
	s_add_u32 s12, s16, s12
	s_addc_u32 s13, s17, s13
	s_load_dwordx4 s[40:43], s[12:13], 0x0
	v_mov_b32_e32 v10, 0
	s_waitcnt lgkmcnt(0)
	s_sub_u32 s36, s42, s30
	v_mov_b32_e32 v4, s41
	v_add_co_u32_e32 v3, vcc, s40, v7
	s_subb_u32 s37, s43, 0
	v_addc_co_u32_e32 v4, vcc, v4, v8, vcc
	v_cmp_gt_i64_e32 vcc, s[36:37], v[3:4]
	s_and_saveexec_b64 s[40:41], vcc
	s_cbranch_execz .LBB59_13
; %bb.10:                               ;   in Loop: Header=BB59_9 Depth=1
	v_lshlrev_b64 v[5:6], 2, v[3:4]
	v_mov_b32_e32 v10, s19
	v_add_co_u32_e32 v5, vcc, s18, v5
	v_addc_co_u32_e32 v6, vcc, v10, v6, vcc
	v_mov_b32_e32 v10, 0
	s_mov_b64 s[42:43], 0
.LBB59_11:                              ;   Parent Loop BB59_9 Depth=1
                                        ; =>  This Inner Loop Header: Depth=2
	global_load_dword v13, v[5:6], off
	v_mov_b32_e32 v12, s21
	v_add_co_u32_e32 v11, vcc, s20, v3
	v_addc_co_u32_e32 v12, vcc, v12, v4, vcc
	global_load_sbyte v16, v[11:12], off
	v_mov_b32_e32 v14, s23
	s_waitcnt vmcnt(1)
	v_subrev_u32_e32 v11, s30, v13
	v_ashrrev_i32_e32 v12, 31, v11
	v_add_co_u32_e32 v11, vcc, s22, v11
	v_addc_co_u32_e32 v12, vcc, v14, v12, vcc
	global_load_sbyte v11, v[11:12], off
	v_add_co_u32_e32 v3, vcc, 0x100, v3
	s_waitcnt vmcnt(1)
	v_cvt_f32_i32_e32 v12, v16
	v_addc_co_u32_e32 v4, vcc, 0, v4, vcc
	v_cmp_le_i64_e64 s[12:13], s[36:37], v[3:4]
	v_add_co_u32_e32 v5, vcc, 0x400, v5
	v_addc_co_u32_e32 v6, vcc, 0, v6, vcc
	s_or_b64 s[42:43], s[12:13], s[42:43]
	s_waitcnt vmcnt(0)
	v_cvt_f32_i32_e32 v11, v11
	v_fmac_f32_e32 v10, v12, v11
	s_andn2_b64 exec, exec, s[42:43]
	s_cbranch_execnz .LBB59_11
; %bb.12:                               ;   in Loop: Header=BB59_9 Depth=1
	s_or_b64 exec, exec, s[42:43]
.LBB59_13:                              ;   in Loop: Header=BB59_9 Depth=1
	s_or_b64 exec, exec, s[40:41]
	ds_write_b32 v15, v10
	s_waitcnt lgkmcnt(0)
	s_barrier
	s_and_saveexec_b64 s[12:13], s[0:1]
	s_cbranch_execz .LBB59_15
; %bb.14:                               ;   in Loop: Header=BB59_9 Depth=1
	ds_read2st64_b32 v[3:4], v15 offset1:4
	ds_read2st64_b32 v[5:6], v15 offset0:8 offset1:12
	s_waitcnt lgkmcnt(0)
	v_add_f32_e32 v4, v4, v5
	v_add_f32_e32 v4, v4, v6
	;; [unrolled: 1-line block ×3, first 2 shown]
	ds_write_b32 v15, v3
.LBB59_15:                              ;   in Loop: Header=BB59_9 Depth=1
	s_or_b64 exec, exec, s[12:13]
	s_waitcnt lgkmcnt(0)
	s_barrier
	s_and_saveexec_b64 s[12:13], s[2:3]
	s_cbranch_execz .LBB59_17
; %bb.16:                               ;   in Loop: Header=BB59_9 Depth=1
	ds_read2st64_b32 v[3:4], v15 offset1:1
	ds_read2st64_b32 v[5:6], v15 offset0:2 offset1:3
	s_waitcnt lgkmcnt(0)
	v_add_f32_e32 v4, v4, v5
	v_add_f32_e32 v4, v4, v6
	;; [unrolled: 1-line block ×3, first 2 shown]
	ds_write_b32 v15, v3
.LBB59_17:                              ;   in Loop: Header=BB59_9 Depth=1
	s_or_b64 exec, exec, s[12:13]
	s_waitcnt lgkmcnt(0)
	s_barrier
	s_and_saveexec_b64 s[12:13], s[6:7]
	s_cbranch_execz .LBB59_19
; %bb.18:                               ;   in Loop: Header=BB59_9 Depth=1
	ds_read2_b32 v[3:4], v15 offset1:16
	ds_read2_b32 v[5:6], v15 offset0:32 offset1:48
	s_waitcnt lgkmcnt(0)
	v_add_f32_e32 v4, v4, v5
	v_add_f32_e32 v4, v4, v6
	;; [unrolled: 1-line block ×3, first 2 shown]
	ds_write_b32 v15, v3
.LBB59_19:                              ;   in Loop: Header=BB59_9 Depth=1
	s_or_b64 exec, exec, s[12:13]
	s_waitcnt lgkmcnt(0)
	s_barrier
	s_and_saveexec_b64 s[12:13], s[8:9]
	s_cbranch_execz .LBB59_21
; %bb.20:                               ;   in Loop: Header=BB59_9 Depth=1
	ds_read2_b32 v[3:4], v15 offset1:4
	ds_read2_b32 v[5:6], v15 offset0:8 offset1:12
	s_waitcnt lgkmcnt(0)
	v_add_f32_e32 v4, v4, v5
	v_add_f32_e32 v4, v4, v6
	;; [unrolled: 1-line block ×3, first 2 shown]
	ds_write_b32 v15, v3
.LBB59_21:                              ;   in Loop: Header=BB59_9 Depth=1
	s_or_b64 exec, exec, s[12:13]
	s_waitcnt lgkmcnt(0)
	s_barrier
	s_and_saveexec_b64 s[12:13], s[10:11]
	s_cbranch_execz .LBB59_23
; %bb.22:                               ;   in Loop: Header=BB59_9 Depth=1
	ds_read2_b32 v[3:4], v9 offset0:1 offset1:2
	ds_read_b32 v5, v9 offset:12
	ds_read_b32 v6, v15
	s_waitcnt lgkmcnt(2)
	v_add_f32_e32 v3, v3, v4
	s_waitcnt lgkmcnt(1)
	v_add_f32_e32 v3, v3, v5
	;; [unrolled: 2-line block ×3, first 2 shown]
	ds_write_b32 v15, v3
.LBB59_23:                              ;   in Loop: Header=BB59_9 Depth=1
	s_or_b64 exec, exec, s[12:13]
	s_waitcnt lgkmcnt(0)
	s_barrier
	s_and_saveexec_b64 s[12:13], s[10:11]
	s_cbranch_execz .LBB59_8
; %bb.24:                               ;   in Loop: Header=BB59_9 Depth=1
	s_mov_b64 s[40:41], exec
	v_mbcnt_lo_u32_b32 v3, s40, 0
	v_mbcnt_hi_u32_b32 v3, s41, v3
	v_cmp_eq_u32_e32 vcc, 0, v3
	s_and_b64 s[36:37], exec, vcc
	s_mov_b64 exec, s[36:37]
	s_cbranch_execz .LBB59_8
; %bb.25:                               ;   in Loop: Header=BB59_9 Depth=1
	s_lshl_b64 s[36:37], s[34:35], 2
	s_add_u32 s36, s14, s36
	s_addc_u32 s37, s15, s37
	global_load_dword v4, v9, s[36:37]
	ds_read_b32 v3, v9
	s_bcnt1_i32_b64 s31, s[40:41]
	v_cvt_f32_ubyte0_e32 v5, s31
	s_mov_b64 s[40:41], 0
	s_waitcnt lgkmcnt(0)
	v_mul_f32_e32 v3, s38, v3
	v_mul_f32_e32 v5, v3, v5
.LBB59_26:                              ;   Parent Loop BB59_9 Depth=1
                                        ; =>  This Inner Loop Header: Depth=2
	s_waitcnt vmcnt(0)
	v_add_f32_e32 v3, v4, v5
	global_atomic_cmpswap v3, v9, v[3:4], s[36:37] glc
	s_waitcnt vmcnt(0)
	v_cmp_eq_u32_e32 vcc, v3, v4
	s_or_b64 s[40:41], vcc, s[40:41]
	v_mov_b32_e32 v4, v3
	s_andn2_b64 exec, exec, s[40:41]
	s_cbranch_execnz .LBB59_26
	s_branch .LBB59_8
.LBB59_27:
	s_lshl_b64 s[0:1], s[24:25], 3
	s_add_u32 s0, s16, s0
	s_addc_u32 s1, s17, s1
	s_lshl_b64 s[2:3], s[26:27], 3
	s_add_u32 s2, s16, s2
	s_addc_u32 s3, s17, s3
	s_load_dwordx2 s[8:9], s[0:1], 0x0
	s_load_dwordx2 s[6:7], s[2:3], 0x0
	s_waitcnt lgkmcnt(0)
	v_mov_b32_e32 v2, s9
	s_sub_u32 s6, s6, s30
	v_add_co_u32_e32 v1, vcc, s8, v7
	s_subb_u32 s7, s7, 0
	v_addc_co_u32_e32 v2, vcc, v2, v8, vcc
	v_cmp_gt_i64_e32 vcc, s[6:7], v[1:2]
	s_and_saveexec_b64 s[8:9], vcc
	s_cbranch_execz .LBB59_37
; %bb.28:
	s_add_u32 s10, s26, -1
	s_addc_u32 s11, s27, -1
	v_mov_b32_e32 v3, s10
	s_add_u32 s0, s26, -2
	v_mov_b32_e32 v4, s11
	s_addc_u32 s1, s27, -1
	v_cmp_lt_i64_e32 vcc, s[24:25], v[3:4]
	s_cmp_lg_u64 s[24:25], s[0:1]
	s_cselect_b64 s[0:1], -1, 0
	s_and_b64 s[0:1], vcc, s[0:1]
	v_cndmask_b32_e64 v3, 0, 1, s[0:1]
	s_mov_b64 s[12:13], 0
	v_cmp_ne_u32_e64 s[0:1], 1, v3
	v_mov_b32_e32 v9, s17
	v_mov_b32_e32 v10, s19
	s_branch .LBB59_30
.LBB59_29:                              ;   in Loop: Header=BB59_30 Depth=1
	s_or_b64 exec, exec, s[2:3]
	v_add_co_u32_e32 v1, vcc, 0x100, v1
	v_addc_co_u32_e32 v2, vcc, 0, v2, vcc
	v_cmp_le_i64_e32 vcc, s[6:7], v[1:2]
	s_or_b64 s[12:13], vcc, s[12:13]
	s_andn2_b64 exec, exec, s[12:13]
	s_cbranch_execz .LBB59_37
.LBB59_30:                              ; =>This Loop Header: Depth=1
                                        ;     Child Loop BB59_32 Depth 2
                                        ;     Child Loop BB59_36 Depth 2
	v_mov_b32_e32 v3, s24
	v_mov_b32_e32 v5, s10
	s_and_b64 vcc, exec, s[0:1]
	v_mov_b32_e32 v4, s25
	v_mov_b32_e32 v6, s11
	s_cbranch_vccnz .LBB59_34
; %bb.31:                               ;   in Loop: Header=BB59_30 Depth=1
	v_mov_b32_e32 v3, s24
	v_mov_b32_e32 v5, s10
	s_mov_b64 s[34:35], 0
	v_mov_b32_e32 v4, s25
	v_mov_b32_e32 v6, s11
.LBB59_32:                              ;   Parent Loop BB59_30 Depth=1
                                        ; =>  This Inner Loop Header: Depth=2
	v_add_co_u32_e32 v7, vcc, v5, v3
	v_addc_co_u32_e32 v8, vcc, v6, v4, vcc
	v_lshrrev_b32_e32 v11, 31, v8
	v_add_co_u32_e32 v7, vcc, v7, v11
	v_addc_co_u32_e32 v8, vcc, 0, v8, vcc
	v_ashrrev_i64 v[7:8], 1, v[7:8]
	v_mov_b32_e32 v13, s17
	v_lshlrev_b64 v[11:12], 3, v[7:8]
	v_add_co_u32_e32 v11, vcc, s16, v11
	v_addc_co_u32_e32 v12, vcc, v13, v12, vcc
	global_load_dwordx2 v[11:12], v[11:12], off
	s_waitcnt vmcnt(0)
	v_subrev_co_u32_e32 v11, vcc, s30, v11
	v_subbrev_co_u32_e32 v12, vcc, 0, v12, vcc
	v_cmp_lt_i64_e32 vcc, v[1:2], v[11:12]
	v_cndmask_b32_e32 v5, v5, v7, vcc
	v_cndmask_b32_e32 v6, v6, v8, vcc
	;; [unrolled: 1-line block ×3, first 2 shown]
	v_add_co_u32_e64 v7, s[2:3], -1, v5
	v_cndmask_b32_e32 v4, v8, v4, vcc
	v_addc_co_u32_e64 v8, s[2:3], -1, v6, s[2:3]
	v_cmp_ge_i64_e32 vcc, v[3:4], v[5:6]
	v_cmp_eq_u64_e64 s[2:3], v[3:4], v[7:8]
	s_or_b64 s[2:3], vcc, s[2:3]
	s_and_b64 s[2:3], exec, s[2:3]
	s_or_b64 s[34:35], s[2:3], s[34:35]
	s_andn2_b64 exec, exec, s[34:35]
	s_cbranch_execnz .LBB59_32
; %bb.33:                               ;   in Loop: Header=BB59_30 Depth=1
	s_or_b64 exec, exec, s[34:35]
.LBB59_34:                              ;   in Loop: Header=BB59_30 Depth=1
	v_lshlrev_b64 v[7:8], 3, v[5:6]
	v_lshlrev_b64 v[11:12], 2, v[1:2]
	v_add_co_u32_e32 v7, vcc, s16, v7
	v_addc_co_u32_e32 v8, vcc, v9, v8, vcc
	global_load_dwordx2 v[7:8], v[7:8], off
	v_add_co_u32_e32 v11, vcc, s18, v11
	v_addc_co_u32_e32 v12, vcc, v10, v12, vcc
	global_load_dword v13, v[11:12], off
	s_waitcnt vmcnt(1)
	v_subrev_co_u32_e32 v11, vcc, s30, v7
	v_subbrev_co_u32_e32 v12, vcc, 0, v8, vcc
	v_cmp_lt_i64_e32 vcc, v[1:2], v[11:12]
	s_waitcnt vmcnt(0)
	v_subrev_u32_e32 v7, s30, v13
	v_cndmask_b32_e32 v4, v6, v4, vcc
	v_cndmask_b32_e32 v3, v5, v3, vcc
	v_ashrrev_i32_e32 v8, 31, v7
	v_cmp_ne_u64_e32 vcc, v[3:4], v[7:8]
	s_and_saveexec_b64 s[2:3], vcc
	s_cbranch_execz .LBB59_29
; %bb.35:                               ;   in Loop: Header=BB59_30 Depth=1
	v_lshlrev_b64 v[5:6], 2, v[7:8]
	v_mov_b32_e32 v8, s21
	v_add_co_u32_e32 v7, vcc, s20, v1
	v_addc_co_u32_e32 v8, vcc, v8, v2, vcc
	global_load_sbyte v7, v[7:8], off
	v_mov_b32_e32 v8, s23
	v_add_co_u32_e32 v3, vcc, s22, v3
	v_addc_co_u32_e32 v4, vcc, v8, v4, vcc
	global_load_sbyte v8, v[3:4], off
	v_mov_b32_e32 v4, s15
	v_add_co_u32_e32 v3, vcc, s14, v5
	v_addc_co_u32_e32 v4, vcc, v4, v6, vcc
	global_load_dword v6, v[3:4], off
	s_mov_b64 s[34:35], 0
	s_waitcnt vmcnt(2)
	v_cvt_f32_i32_e32 v5, v7
	v_mul_f32_e32 v5, s38, v5
	s_waitcnt vmcnt(1)
	v_cvt_f32_i32_e32 v7, v8
	v_mul_f32_e32 v7, v5, v7
.LBB59_36:                              ;   Parent Loop BB59_30 Depth=1
                                        ; =>  This Inner Loop Header: Depth=2
	s_waitcnt vmcnt(0)
	v_add_f32_e32 v5, v6, v7
	global_atomic_cmpswap v5, v[3:4], v[5:6], off glc
	s_waitcnt vmcnt(0)
	v_cmp_eq_u32_e32 vcc, v5, v6
	s_or_b64 s[34:35], vcc, s[34:35]
	v_mov_b32_e32 v6, v5
	s_andn2_b64 exec, exec, s[34:35]
	s_cbranch_execnz .LBB59_36
	s_branch .LBB59_29
.LBB59_37:
	s_or_b64 exec, exec, s[8:9]
	s_mov_b64 s[0:1], 0
.LBB59_38:
	s_and_b64 vcc, exec, s[0:1]
	s_cbranch_vccz .LBB59_154
; %bb.39:
	s_load_dword s0, s[4:5], 0x6c
	v_mov_b32_e32 v1, s28
	s_mov_b32 s13, 0
	v_mov_b32_e32 v2, s29
	s_mov_b64 s[36:37], 0
	s_waitcnt lgkmcnt(0)
	s_and_b32 s12, s0, 0xffff
	v_cmp_lt_u64_e32 vcc, s[12:13], v[1:2]
	s_cbranch_vccnz .LBB59_41
; %bb.40:
	v_cvt_f32_u32_e32 v1, s28
	s_sub_i32 s0, 0, s28
	v_rcp_iflag_f32_e32 v1, v1
	v_mul_f32_e32 v1, 0x4f7ffffe, v1
	v_cvt_u32_f32_e32 v1, v1
	v_readfirstlane_b32 s1, v1
	s_mul_i32 s0, s0, s1
	s_mul_hi_u32 s0, s1, s0
	s_add_i32 s1, s1, s0
	s_mul_hi_u32 s0, s12, s1
	s_mul_i32 s2, s0, s28
	s_sub_i32 s2, s12, s2
	s_add_i32 s1, s0, 1
	s_sub_i32 s3, s2, s28
	s_cmp_ge_u32 s2, s28
	s_cselect_b32 s0, s1, s0
	s_cselect_b32 s2, s3, s2
	s_add_i32 s1, s0, 1
	s_cmp_ge_u32 s2, s28
	s_cselect_b32 s36, s1, s0
.LBB59_41:
	s_lshl_b64 s[0:1], s[24:25], 3
	s_add_u32 s34, s16, s0
	s_addc_u32 s35, s17, s1
	s_load_dwordx2 s[6:7], s[34:35], 0x0
	s_load_dwordx4 s[8:11], s[4:5], 0x8
	v_subrev_co_u32_e32 v1, vcc, s30, v0
	v_subb_co_u32_e64 v3, s[0:1], 0, 0, vcc
	s_waitcnt lgkmcnt(0)
	v_mov_b32_e32 v4, s7
	v_add_co_u32_e32 v2, vcc, s6, v1
	v_addc_co_u32_e32 v3, vcc, v4, v3, vcc
	v_add_co_u32_e32 v4, vcc, 0x300, v2
	v_addc_co_u32_e32 v5, vcc, 0, v3, vcc
	v_cmp_le_i64_e64 s[0:1], s[8:9], v[4:5]
	v_mov_b32_e32 v1, 0
	s_and_saveexec_b64 s[2:3], s[0:1]
	s_xor_b64 s[2:3], exec, s[2:3]
	s_cbranch_execnz .LBB59_44
; %bb.42:
	s_andn2_saveexec_b64 s[2:3], s[2:3]
	s_cbranch_execnz .LBB59_48
.LBB59_43:
	s_or_b64 exec, exec, s[2:3]
	v_cmp_gt_i64_e32 vcc, s[10:11], v[0:1]
	s_and_saveexec_b64 s[2:3], vcc
	s_cbranch_execnz .LBB59_49
	s_branch .LBB59_51
.LBB59_44:
	s_lshl_b64 s[4:5], s[26:27], 3
	s_add_u32 s4, s16, s4
	s_addc_u32 s5, s17, s5
	s_load_dwordx2 s[4:5], s[4:5], 0x0
	s_waitcnt lgkmcnt(0)
	s_sub_u32 s4, s4, s6
	s_subb_u32 s5, s5, s7
	v_cmp_gt_i64_e32 vcc, s[4:5], v[0:1]
	s_and_saveexec_b64 s[8:9], vcc
	s_cbranch_execz .LBB59_47
; %bb.45:
	s_sub_u32 s13, s6, s30
	s_subb_u32 s31, s7, 0
	s_add_u32 s13, s20, s13
	s_addc_u32 s31, s21, s31
	v_mov_b32_e32 v7, v1
	s_mov_b64 s[40:41], 0
	v_mov_b32_e32 v8, s31
	v_mov_b32_e32 v9, v15
	;; [unrolled: 1-line block ×3, first 2 shown]
.LBB59_46:                              ; =>This Inner Loop Header: Depth=1
	v_add_co_u32_e32 v10, vcc, s13, v6
	v_addc_co_u32_e32 v11, vcc, v8, v7, vcc
	global_load_sbyte v10, v[10:11], off
	v_add_co_u32_e32 v6, vcc, 0x100, v6
	v_addc_co_u32_e32 v7, vcc, 0, v7, vcc
	v_cmp_le_i64_e32 vcc, s[4:5], v[6:7]
	s_or_b64 s[40:41], vcc, s[40:41]
	s_waitcnt vmcnt(0)
	v_cvt_f32_i32_e32 v10, v10
	v_mul_f32_e32 v10, s38, v10
	ds_write_b32 v9, v10
	v_add_u32_e32 v9, 0x400, v9
	s_andn2_b64 exec, exec, s[40:41]
	s_cbranch_execnz .LBB59_46
.LBB59_47:
	s_or_b64 exec, exec, s[8:9]
	s_andn2_saveexec_b64 s[2:3], s[2:3]
	s_cbranch_execz .LBB59_43
.LBB59_48:
	v_mov_b32_e32 v7, s21
	v_add_co_u32_e32 v6, vcc, s20, v2
	v_addc_co_u32_e32 v7, vcc, v7, v3, vcc
	global_load_sbyte v8, v[6:7], off
	global_load_sbyte v9, v[6:7], off offset:256
	global_load_sbyte v10, v[6:7], off offset:512
	;; [unrolled: 1-line block ×3, first 2 shown]
	s_waitcnt vmcnt(3)
	v_cvt_f32_i32_e32 v6, v8
	s_waitcnt vmcnt(2)
	v_cvt_f32_i32_e32 v7, v9
	;; [unrolled: 2-line block ×4, first 2 shown]
	v_mul_f32_e32 v6, s38, v6
	v_mul_f32_e32 v7, s38, v7
	;; [unrolled: 1-line block ×4, first 2 shown]
	ds_write2st64_b32 v15, v6, v7 offset1:4
	ds_write2st64_b32 v15, v8, v9 offset0:8 offset1:12
	s_or_b64 exec, exec, s[2:3]
	v_cmp_gt_i64_e32 vcc, s[10:11], v[0:1]
	s_and_saveexec_b64 s[2:3], vcc
	s_cbranch_execz .LBB59_51
.LBB59_49:
	v_mov_b32_e32 v6, 0x1000
	v_lshl_add_u32 v8, v0, 2, v6
	v_mov_b32_e32 v7, v1
	s_mov_b64 s[4:5], 0
	v_mov_b32_e32 v9, 0
	v_mov_b32_e32 v6, v0
.LBB59_50:                              ; =>This Inner Loop Header: Depth=1
	v_add_co_u32_e32 v6, vcc, 0x100, v6
	v_addc_co_u32_e32 v7, vcc, 0, v7, vcc
	v_cmp_le_i64_e32 vcc, s[10:11], v[6:7]
	ds_write_b32 v8, v9
	s_or_b64 s[4:5], vcc, s[4:5]
	v_add_u32_e32 v8, 0x400, v8
	s_andn2_b64 exec, exec, s[4:5]
	s_cbranch_execnz .LBB59_50
.LBB59_51:
	s_or_b64 exec, exec, s[2:3]
	v_mov_b32_e32 v6, s10
	v_mov_b32_e32 v7, s11
	s_sub_u32 s4, s26, s10
	v_cmp_ge_i64_e32 vcc, s[26:27], v[6:7]
	s_subb_u32 s5, s27, s11
	s_and_b64 s[2:3], vcc, exec
	s_cselect_b32 s9, s5, 0
	s_cselect_b32 s8, s4, 0
	s_waitcnt lgkmcnt(0)
	s_barrier
	s_and_saveexec_b64 s[2:3], s[0:1]
	s_xor_b64 s[20:21], exec, s[2:3]
	s_cbranch_execz .LBB59_70
; %bb.52:
	s_lshl_b64 s[0:1], s[26:27], 3
	s_add_u32 s0, s16, s0
	s_addc_u32 s1, s17, s1
	s_load_dwordx2 s[0:1], s[0:1], 0x0
	s_waitcnt lgkmcnt(0)
	s_sub_u32 s38, s0, s6
	s_subb_u32 s39, s1, s7
	v_cmp_gt_i64_e32 vcc, s[38:39], v[0:1]
	s_and_saveexec_b64 s[40:41], vcc
	s_cbranch_execz .LBB59_69
; %bb.53:
	s_add_u32 s42, s26, -1
	s_addc_u32 s43, s27, -1
	s_add_u32 s2, s26, -2
	s_addc_u32 s3, s27, -1
	s_cmp_lg_u64 s[24:25], s[2:3]
	s_cselect_b64 s[2:3], -1, 0
	s_sub_u32 s44, s0, s30
	v_cndmask_b32_e64 v4, 0, 1, s[2:3]
	s_subb_u32 s45, s1, 0
	s_mov_b64 s[46:47], 0
	v_cmp_ne_u32_e64 s[0:1], 1, v4
	v_mov_b32_e32 v11, s17
	v_mov_b32_e32 v12, s19
	;; [unrolled: 1-line block ×3, first 2 shown]
	s_mov_b64 s[48:49], 0
	s_branch .LBB59_56
.LBB59_54:                              ;   in Loop: Header=BB59_56 Depth=1
	s_or_b64 exec, exec, s[2:3]
.LBB59_55:                              ;   in Loop: Header=BB59_56 Depth=1
	s_or_b64 exec, exec, s[4:5]
	v_mov_b32_e32 v6, s23
	v_add_co_u32_e32 v4, vcc, s22, v4
	v_addc_co_u32_e32 v5, vcc, v6, v5, vcc
	global_load_sbyte v4, v[4:5], off
	s_add_u32 s48, s48, 0x100
	s_addc_u32 s49, s49, 0
	v_mov_b32_e32 v5, s49
	v_lshlrev_b32_e32 v6, 2, v10
	s_waitcnt vmcnt(0)
	v_cvt_f32_i32_e32 v7, v4
	v_add_co_u32_e32 v4, vcc, s48, v0
	v_addc_co_u32_e32 v5, vcc, 0, v5, vcc
	v_cmp_le_i64_e32 vcc, s[38:39], v[4:5]
	s_waitcnt lgkmcnt(0)
	v_mul_f32_e32 v4, v14, v7
	s_or_b64 s[46:47], vcc, s[46:47]
	ds_write_b32 v6, v4
	s_andn2_b64 exec, exec, s[46:47]
	s_cbranch_execz .LBB59_69
.LBB59_56:                              ; =>This Loop Header: Depth=1
                                        ;     Child Loop BB59_58 Depth 2
                                        ;     Child Loop BB59_65 Depth 2
	v_mov_b32_e32 v4, s49
	v_add_co_u32_e32 v5, vcc, s48, v2
	v_addc_co_u32_e32 v6, vcc, v4, v3, vcc
	v_mov_b32_e32 v7, s24
	v_mov_b32_e32 v9, s42
	s_and_b64 vcc, exec, s[0:1]
	v_mov_b32_e32 v8, s25
	v_mov_b32_e32 v10, s43
	s_cbranch_vccnz .LBB59_60
; %bb.57:                               ;   in Loop: Header=BB59_56 Depth=1
	v_mov_b32_e32 v7, s24
	v_mov_b32_e32 v9, s42
	s_mov_b64 s[4:5], 0
	v_mov_b32_e32 v8, s25
	v_mov_b32_e32 v10, s43
.LBB59_58:                              ;   Parent Loop BB59_56 Depth=1
                                        ; =>  This Inner Loop Header: Depth=2
	v_add_co_u32_e32 v4, vcc, v9, v7
	v_addc_co_u32_e32 v14, vcc, v10, v8, vcc
	v_lshrrev_b32_e32 v16, 31, v14
	v_add_co_u32_e32 v16, vcc, v4, v16
	v_addc_co_u32_e32 v17, vcc, 0, v14, vcc
	v_ashrrev_i64 v[16:17], 1, v[16:17]
	v_mov_b32_e32 v20, s17
	v_lshlrev_b64 v[18:19], 3, v[16:17]
	v_add_co_u32_e32 v18, vcc, s16, v18
	v_addc_co_u32_e32 v19, vcc, v20, v19, vcc
	global_load_dwordx2 v[18:19], v[18:19], off
	s_waitcnt vmcnt(0)
	v_subrev_co_u32_e32 v18, vcc, s30, v18
	v_subbrev_co_u32_e32 v19, vcc, 0, v19, vcc
	v_cmp_lt_i64_e32 vcc, v[5:6], v[18:19]
	v_cndmask_b32_e32 v9, v9, v16, vcc
	v_cndmask_b32_e32 v10, v10, v17, vcc
	;; [unrolled: 1-line block ×3, first 2 shown]
	v_add_co_u32_e64 v16, s[2:3], -1, v9
	v_cndmask_b32_e32 v8, v17, v8, vcc
	v_addc_co_u32_e64 v17, s[2:3], -1, v10, s[2:3]
	v_cmp_ge_i64_e32 vcc, v[7:8], v[9:10]
	v_cmp_eq_u64_e64 s[2:3], v[7:8], v[16:17]
	s_or_b64 s[2:3], vcc, s[2:3]
	s_and_b64 s[2:3], exec, s[2:3]
	s_or_b64 s[4:5], s[2:3], s[4:5]
	s_andn2_b64 exec, exec, s[4:5]
	s_cbranch_execnz .LBB59_58
; %bb.59:                               ;   in Loop: Header=BB59_56 Depth=1
	s_or_b64 exec, exec, s[4:5]
.LBB59_60:                              ;   in Loop: Header=BB59_56 Depth=1
	v_lshlrev_b64 v[16:17], 3, v[9:10]
	v_lshlrev_b64 v[18:19], 2, v[5:6]
	v_add_co_u32_e32 v16, vcc, s16, v16
	v_addc_co_u32_e32 v17, vcc, v11, v17, vcc
	global_load_dwordx2 v[16:17], v[16:17], off
	v_add_co_u32_e32 v18, vcc, s18, v18
	v_addc_co_u32_e32 v19, vcc, v12, v19, vcc
	global_load_dword v4, v[18:19], off
	v_cmp_le_i64_e32 vcc, s[44:45], v[5:6]
                                        ; implicit-def: $vgpr14
	s_waitcnt vmcnt(1)
	v_subrev_co_u32_e64 v16, s[2:3], s30, v16
	v_subbrev_co_u32_e64 v17, s[2:3], 0, v17, s[2:3]
	v_cmp_lt_i64_e64 s[2:3], v[5:6], v[16:17]
	s_waitcnt vmcnt(0)
	v_subrev_u32_e32 v4, s30, v4
	v_cndmask_b32_e64 v8, v10, v8, s[2:3]
	v_ashrrev_i32_e32 v5, 31, v4
	v_cndmask_b32_e64 v7, v9, v7, s[2:3]
	v_cmp_eq_u64_e64 s[2:3], v[7:8], v[4:5]
	v_add_co_u32_e64 v10, s[4:5], s48, v0
	s_or_b64 s[2:3], s[2:3], vcc
	v_lshlrev_b32_e32 v16, 2, v10
	s_and_saveexec_b64 s[4:5], s[2:3]
	s_xor_b64 s[2:3], exec, s[4:5]
; %bb.61:                               ;   in Loop: Header=BB59_56 Depth=1
	ds_read_b32 v14, v16
                                        ; implicit-def: $vgpr16
                                        ; implicit-def: $vgpr7_vgpr8
; %bb.62:                               ;   in Loop: Header=BB59_56 Depth=1
	s_andn2_saveexec_b64 s[4:5], s[2:3]
	s_cbranch_execz .LBB59_55
; %bb.63:                               ;   in Loop: Header=BB59_56 Depth=1
	v_cmp_gt_i64_e32 vcc, s[8:9], v[4:5]
	v_cmp_le_i64_e64 s[2:3], s[26:27], v[4:5]
                                        ; implicit-def: $vgpr14
	s_or_b64 s[2:3], vcc, s[2:3]
	s_and_saveexec_b64 s[50:51], s[2:3]
	s_xor_b64 s[2:3], exec, s[50:51]
	s_cbranch_execz .LBB59_67
; %bb.64:                               ;   in Loop: Header=BB59_56 Depth=1
	v_mov_b32_e32 v9, s23
	v_add_co_u32_e32 v6, vcc, s22, v7
	v_addc_co_u32_e32 v7, vcc, v9, v8, vcc
	global_load_sbyte v8, v[6:7], off
	v_lshlrev_b64 v[17:18], 2, v[4:5]
	v_mov_b32_e32 v7, s15
	v_add_co_u32_e32 v6, vcc, s14, v17
	v_addc_co_u32_e32 v7, vcc, v7, v18, vcc
	global_load_dword v9, v[6:7], off
	s_waitcnt lgkmcnt(0)
	ds_read_b32 v14, v16
	s_mov_b64 s[50:51], 0
	s_waitcnt vmcnt(1)
	v_cvt_f32_i32_e32 v8, v8
	s_waitcnt lgkmcnt(0)
	v_mul_f32_e32 v16, v14, v8
.LBB59_65:                              ;   Parent Loop BB59_56 Depth=1
                                        ; =>  This Inner Loop Header: Depth=2
	s_waitcnt vmcnt(0)
	v_add_f32_e32 v8, v9, v16
	global_atomic_cmpswap v8, v[6:7], v[8:9], off glc
	s_waitcnt vmcnt(0)
	v_cmp_eq_u32_e32 vcc, v8, v9
	s_or_b64 s[50:51], vcc, s[50:51]
	v_mov_b32_e32 v9, v8
	s_andn2_b64 exec, exec, s[50:51]
	s_cbranch_execnz .LBB59_65
; %bb.66:                               ;   in Loop: Header=BB59_56 Depth=1
	s_or_b64 exec, exec, s[50:51]
                                        ; implicit-def: $vgpr16
                                        ; implicit-def: $vgpr7_vgpr8
.LBB59_67:                              ;   in Loop: Header=BB59_56 Depth=1
	s_andn2_saveexec_b64 s[2:3], s[2:3]
	s_cbranch_execz .LBB59_54
; %bb.68:                               ;   in Loop: Header=BB59_56 Depth=1
	v_mov_b32_e32 v9, s23
	v_add_co_u32_e32 v6, vcc, s22, v7
	v_addc_co_u32_e32 v7, vcc, v9, v8, vcc
	global_load_sbyte v6, v[6:7], off
	s_waitcnt lgkmcnt(0)
	ds_read_b32 v14, v16
	v_subrev_u32_e32 v7, s8, v4
	v_lshl_add_u32 v7, v7, 2, v13
	s_waitcnt vmcnt(0)
	v_cvt_f32_i32_e32 v6, v6
	s_waitcnt lgkmcnt(0)
	v_mul_f32_e32 v6, v14, v6
	ds_add_f32 v7, v6
	s_branch .LBB59_54
.LBB59_69:
	s_or_b64 exec, exec, s[40:41]
                                        ; implicit-def: $vgpr4_vgpr5
                                        ; implicit-def: $vgpr2
.LBB59_70:
	s_andn2_saveexec_b64 s[4:5], s[20:21]
	s_cbranch_execz .LBB59_120
; %bb.71:
	s_add_u32 s20, s26, -1
	s_addc_u32 s21, s27, -1
	s_add_u32 s0, s26, -2
	s_addc_u32 s1, s27, -1
	s_cmp_lg_u64 s[24:25], s[0:1]
	v_mov_b32_e32 v9, s24
	v_mov_b32_e32 v11, s20
	s_cselect_b64 s[2:3], -1, 0
	s_cmp_eq_u64 s[24:25], s[0:1]
	v_mov_b32_e32 v10, s25
	v_mov_b32_e32 v12, s21
	s_cbranch_scc1 .LBB59_75
; %bb.72:
	v_mov_b32_e32 v9, s24
	v_mov_b32_e32 v11, s20
	s_mov_b64 s[38:39], 0
	v_mov_b32_e32 v10, s25
	v_mov_b32_e32 v12, s21
	;; [unrolled: 1-line block ×3, first 2 shown]
.LBB59_73:                              ; =>This Inner Loop Header: Depth=1
	v_add_co_u32_e32 v7, vcc, v11, v9
	v_addc_co_u32_e32 v8, vcc, v12, v10, vcc
	v_lshrrev_b32_e32 v13, 31, v8
	v_add_co_u32_e32 v7, vcc, v7, v13
	v_addc_co_u32_e32 v8, vcc, 0, v8, vcc
	v_ashrrev_i64 v[7:8], 1, v[7:8]
	v_lshlrev_b64 v[13:14], 3, v[7:8]
	v_add_co_u32_e32 v13, vcc, s16, v13
	v_addc_co_u32_e32 v14, vcc, v6, v14, vcc
	global_load_dwordx2 v[13:14], v[13:14], off
	s_waitcnt vmcnt(0)
	v_subrev_co_u32_e32 v13, vcc, s30, v13
	v_subbrev_co_u32_e32 v14, vcc, 0, v14, vcc
	v_cmp_lt_i64_e32 vcc, v[2:3], v[13:14]
	v_cndmask_b32_e32 v11, v11, v7, vcc
	v_cndmask_b32_e32 v12, v12, v8, vcc
	;; [unrolled: 1-line block ×3, first 2 shown]
	v_add_co_u32_e64 v7, s[0:1], -1, v11
	v_cndmask_b32_e32 v10, v8, v10, vcc
	v_addc_co_u32_e64 v8, s[0:1], -1, v12, s[0:1]
	v_cmp_ge_i64_e32 vcc, v[9:10], v[11:12]
	v_cmp_eq_u64_e64 s[0:1], v[9:10], v[7:8]
	s_or_b64 s[0:1], vcc, s[0:1]
	s_and_b64 s[0:1], exec, s[0:1]
	s_or_b64 s[38:39], s[0:1], s[38:39]
	s_andn2_b64 exec, exec, s[38:39]
	s_cbranch_execnz .LBB59_73
; %bb.74:
	s_or_b64 exec, exec, s[38:39]
.LBB59_75:
	v_lshlrev_b64 v[6:7], 3, v[11:12]
	v_mov_b32_e32 v8, s17
	v_add_co_u32_e32 v6, vcc, s16, v6
	v_addc_co_u32_e32 v7, vcc, v8, v7, vcc
	global_load_dwordx2 v[13:14], v[6:7], off
	v_lshlrev_b64 v[6:7], 2, v[2:3]
	v_mov_b32_e32 v8, s19
	v_add_co_u32_e32 v6, vcc, s18, v6
	v_addc_co_u32_e32 v7, vcc, v8, v7, vcc
	global_load_dword v8, v[6:7], off
	s_lshl_b64 s[0:1], s[26:27], 3
	s_add_u32 s18, s16, s0
	s_addc_u32 s19, s17, s1
	s_waitcnt vmcnt(1)
	v_subrev_co_u32_e32 v13, vcc, s30, v13
	v_subbrev_co_u32_e32 v14, vcc, 0, v14, vcc
	v_cmp_lt_i64_e32 vcc, v[2:3], v[13:14]
	v_cndmask_b32_e32 v12, v12, v10, vcc
	s_waitcnt vmcnt(0)
	v_subrev_u32_e32 v8, s30, v8
	v_cndmask_b32_e32 v11, v11, v9, vcc
	v_ashrrev_i32_e32 v9, 31, v8
	v_cmp_ne_u64_e32 vcc, v[11:12], v[8:9]
	s_and_saveexec_b64 s[38:39], vcc
	s_cbranch_execz .LBB59_83
; %bb.76:
	s_load_dwordx2 s[0:1], s[18:19], 0x0
	s_waitcnt lgkmcnt(0)
	s_sub_u32 s0, s0, s30
	s_subb_u32 s1, s1, 0
	v_cmp_gt_i64_e32 vcc, s[0:1], v[2:3]
	s_and_b64 exec, exec, vcc
	s_cbranch_execz .LBB59_83
; %bb.77:
	v_cmp_gt_i64_e32 vcc, s[8:9], v[8:9]
	v_cmp_le_i64_e64 s[0:1], s[26:27], v[8:9]
	s_or_b64 s[0:1], vcc, s[0:1]
	s_and_saveexec_b64 s[40:41], s[0:1]
	s_xor_b64 s[0:1], exec, s[40:41]
	s_cbranch_execz .LBB59_81
; %bb.78:
	v_mov_b32_e32 v16, s23
	v_add_co_u32_e32 v10, vcc, s22, v11
	v_addc_co_u32_e32 v11, vcc, v16, v12, vcc
	global_load_sbyte v12, v[10:11], off
	v_lshlrev_b64 v[13:14], 2, v[8:9]
	v_mov_b32_e32 v11, s15
	v_add_co_u32_e32 v10, vcc, s14, v13
	v_addc_co_u32_e32 v11, vcc, v11, v14, vcc
	global_load_dword v13, v[10:11], off
	ds_read_b32 v14, v15
	s_mov_b64 s[40:41], 0
	s_waitcnt vmcnt(1)
	v_cvt_f32_i32_e32 v12, v12
	s_waitcnt lgkmcnt(0)
	v_mul_f32_e32 v14, v14, v12
.LBB59_79:                              ; =>This Inner Loop Header: Depth=1
	s_waitcnt vmcnt(0)
	v_add_f32_e32 v12, v13, v14
	global_atomic_cmpswap v12, v[10:11], v[12:13], off glc
	s_waitcnt vmcnt(0)
	v_cmp_eq_u32_e32 vcc, v12, v13
	s_or_b64 s[40:41], vcc, s[40:41]
	v_mov_b32_e32 v13, v12
	s_andn2_b64 exec, exec, s[40:41]
	s_cbranch_execnz .LBB59_79
; %bb.80:
	s_or_b64 exec, exec, s[40:41]
                                        ; implicit-def: $vgpr11_vgpr12
.LBB59_81:
	s_andn2_saveexec_b64 s[0:1], s[0:1]
	s_cbranch_execz .LBB59_83
; %bb.82:
	v_mov_b32_e32 v13, s23
	v_add_co_u32_e32 v10, vcc, s22, v11
	v_addc_co_u32_e32 v11, vcc, v13, v12, vcc
	global_load_sbyte v10, v[10:11], off
	ds_read_b32 v11, v15
	v_subrev_u32_e32 v12, s8, v8
	v_mov_b32_e32 v13, 0x1000
	v_lshl_add_u32 v12, v12, 2, v13
	s_waitcnt vmcnt(0)
	v_cvt_f32_i32_e32 v10, v10
	s_waitcnt lgkmcnt(0)
	v_mul_f32_e32 v10, v11, v10
	ds_add_f32 v12, v10
.LBB59_83:
	s_or_b64 exec, exec, s[38:39]
	v_mov_b32_e32 v10, s23
	v_add_co_u32_e32 v8, vcc, s22, v8
	v_addc_co_u32_e32 v9, vcc, v10, v9, vcc
	global_load_sbyte v9, v[8:9], off
	ds_read_b32 v10, v15
	v_add_co_u32_e32 v8, vcc, 0x100, v2
	v_cndmask_b32_e64 v13, 0, 1, s[2:3]
	v_mov_b32_e32 v11, s24
	v_cmp_ne_u32_e64 s[0:1], 1, v13
	v_mov_b32_e32 v12, s25
	s_waitcnt vmcnt(0)
	v_cvt_f32_i32_e32 v14, v9
	v_addc_co_u32_e32 v9, vcc, 0, v3, vcc
	s_andn2_b64 vcc, exec, s[2:3]
	s_waitcnt lgkmcnt(0)
	v_mul_f32_e32 v10, v10, v14
	v_mov_b32_e32 v13, s20
	v_mov_b32_e32 v14, s21
	ds_write_b32 v15, v10
	s_cbranch_vccnz .LBB59_87
; %bb.84:
	v_mov_b32_e32 v11, s24
	v_mov_b32_e32 v13, s20
	s_mov_b64 s[38:39], 0
	v_mov_b32_e32 v12, s25
	v_mov_b32_e32 v14, s21
	;; [unrolled: 1-line block ×3, first 2 shown]
.LBB59_85:                              ; =>This Inner Loop Header: Depth=1
	v_add_co_u32_e32 v16, vcc, v13, v11
	v_addc_co_u32_e32 v17, vcc, v14, v12, vcc
	v_lshrrev_b32_e32 v18, 31, v17
	v_add_co_u32_e32 v16, vcc, v16, v18
	v_addc_co_u32_e32 v17, vcc, 0, v17, vcc
	v_ashrrev_i64 v[16:17], 1, v[16:17]
	v_lshlrev_b64 v[18:19], 3, v[16:17]
	v_add_co_u32_e32 v18, vcc, s16, v18
	v_addc_co_u32_e32 v19, vcc, v10, v19, vcc
	global_load_dwordx2 v[18:19], v[18:19], off
	s_waitcnt vmcnt(0)
	v_subrev_co_u32_e32 v18, vcc, s30, v18
	v_subbrev_co_u32_e32 v19, vcc, 0, v19, vcc
	v_cmp_lt_i64_e32 vcc, v[8:9], v[18:19]
	v_cndmask_b32_e32 v13, v13, v16, vcc
	v_cndmask_b32_e32 v14, v14, v17, vcc
	;; [unrolled: 1-line block ×3, first 2 shown]
	v_add_co_u32_e64 v16, s[2:3], -1, v13
	v_cndmask_b32_e32 v12, v17, v12, vcc
	v_addc_co_u32_e64 v17, s[2:3], -1, v14, s[2:3]
	v_cmp_ge_i64_e32 vcc, v[11:12], v[13:14]
	v_cmp_eq_u64_e64 s[2:3], v[11:12], v[16:17]
	s_or_b64 s[2:3], vcc, s[2:3]
	s_and_b64 s[2:3], exec, s[2:3]
	s_or_b64 s[38:39], s[2:3], s[38:39]
	s_andn2_b64 exec, exec, s[38:39]
	s_cbranch_execnz .LBB59_85
; %bb.86:
	s_or_b64 exec, exec, s[38:39]
.LBB59_87:
	v_lshlrev_b64 v[16:17], 3, v[13:14]
	v_mov_b32_e32 v10, s17
	v_add_co_u32_e32 v16, vcc, s16, v16
	v_addc_co_u32_e32 v17, vcc, v10, v17, vcc
	global_load_dwordx2 v[16:17], v[16:17], off
	s_waitcnt vmcnt(0)
	v_subrev_co_u32_e32 v16, vcc, s30, v16
	global_load_dword v18, v[6:7], off offset:1024
	v_subbrev_co_u32_e32 v17, vcc, 0, v17, vcc
	v_cmp_lt_i64_e32 vcc, v[8:9], v[16:17]
	v_cndmask_b32_e32 v14, v14, v12, vcc
	v_cndmask_b32_e32 v13, v13, v11, vcc
	s_waitcnt vmcnt(0)
	v_subrev_u32_e32 v10, s30, v18
	v_ashrrev_i32_e32 v11, 31, v10
	v_cmp_ne_u64_e32 vcc, v[13:14], v[10:11]
	s_and_saveexec_b64 s[38:39], vcc
	s_cbranch_execz .LBB59_95
; %bb.88:
	s_load_dwordx2 s[2:3], s[18:19], 0x0
	s_waitcnt lgkmcnt(0)
	s_sub_u32 s2, s2, s30
	s_subb_u32 s3, s3, 0
	v_cmp_gt_i64_e32 vcc, s[2:3], v[8:9]
	s_and_b64 exec, exec, vcc
	s_cbranch_execz .LBB59_95
; %bb.89:
	v_cmp_gt_i64_e32 vcc, s[8:9], v[10:11]
	v_cmp_le_i64_e64 s[2:3], s[26:27], v[10:11]
	s_or_b64 s[2:3], vcc, s[2:3]
	s_and_saveexec_b64 s[40:41], s[2:3]
	s_xor_b64 s[2:3], exec, s[40:41]
	s_cbranch_execz .LBB59_93
; %bb.90:
	v_mov_b32_e32 v16, s23
	v_add_co_u32_e32 v12, vcc, s22, v13
	v_addc_co_u32_e32 v13, vcc, v16, v14, vcc
	global_load_sbyte v12, v[12:13], off
	v_lshlrev_b64 v[8:9], 2, v[10:11]
	v_mov_b32_e32 v13, s15
	v_add_co_u32_e32 v8, vcc, s14, v8
	v_addc_co_u32_e32 v9, vcc, v13, v9, vcc
	global_load_dword v13, v[8:9], off
	ds_read_b32 v14, v15 offset:1024
	s_mov_b64 s[40:41], 0
	s_waitcnt vmcnt(1)
	v_cvt_f32_i32_e32 v12, v12
	s_waitcnt lgkmcnt(0)
	v_mul_f32_e32 v14, v14, v12
.LBB59_91:                              ; =>This Inner Loop Header: Depth=1
	s_waitcnt vmcnt(0)
	v_add_f32_e32 v12, v13, v14
	global_atomic_cmpswap v12, v[8:9], v[12:13], off glc
	s_waitcnt vmcnt(0)
	v_cmp_eq_u32_e32 vcc, v12, v13
	s_or_b64 s[40:41], vcc, s[40:41]
	v_mov_b32_e32 v13, v12
	s_andn2_b64 exec, exec, s[40:41]
	s_cbranch_execnz .LBB59_91
; %bb.92:
	s_or_b64 exec, exec, s[40:41]
                                        ; implicit-def: $vgpr13_vgpr14
.LBB59_93:
	s_andn2_saveexec_b64 s[2:3], s[2:3]
	s_cbranch_execz .LBB59_95
; %bb.94:
	v_mov_b32_e32 v9, s23
	v_add_co_u32_e32 v8, vcc, s22, v13
	v_addc_co_u32_e32 v9, vcc, v9, v14, vcc
	global_load_sbyte v8, v[8:9], off
	ds_read_b32 v9, v15 offset:1024
	v_subrev_u32_e32 v12, s8, v10
	v_mov_b32_e32 v13, 0x1000
	v_lshl_add_u32 v12, v12, 2, v13
	s_waitcnt vmcnt(0)
	v_cvt_f32_i32_e32 v8, v8
	s_waitcnt lgkmcnt(0)
	v_mul_f32_e32 v8, v9, v8
	ds_add_f32 v12, v8
.LBB59_95:
	s_or_b64 exec, exec, s[38:39]
	v_mov_b32_e32 v9, s23
	v_add_co_u32_e32 v8, vcc, s22, v10
	v_addc_co_u32_e32 v9, vcc, v9, v11, vcc
	global_load_sbyte v8, v[8:9], off
	ds_read_b32 v11, v15 offset:1024
	v_add_co_u32_e32 v2, vcc, 0x200, v2
	v_mov_b32_e32 v9, s24
	v_addc_co_u32_e32 v3, vcc, 0, v3, vcc
	v_mov_b32_e32 v10, s25
	s_and_b64 vcc, exec, s[0:1]
	s_waitcnt vmcnt(0)
	v_cvt_f32_i32_e32 v8, v8
	s_waitcnt lgkmcnt(0)
	v_mul_f32_e32 v8, v11, v8
	v_mov_b32_e32 v11, s20
	v_mov_b32_e32 v12, s21
	ds_write_b32 v15, v8 offset:1024
	s_cbranch_vccnz .LBB59_99
; %bb.96:
	v_mov_b32_e32 v9, s24
	v_mov_b32_e32 v11, s20
	s_mov_b64 s[38:39], 0
	v_mov_b32_e32 v10, s25
	v_mov_b32_e32 v12, s21
	;; [unrolled: 1-line block ×3, first 2 shown]
.LBB59_97:                              ; =>This Inner Loop Header: Depth=1
	v_add_co_u32_e32 v13, vcc, v11, v9
	v_addc_co_u32_e32 v14, vcc, v12, v10, vcc
	v_lshrrev_b32_e32 v16, 31, v14
	v_add_co_u32_e32 v13, vcc, v13, v16
	v_addc_co_u32_e32 v14, vcc, 0, v14, vcc
	v_ashrrev_i64 v[13:14], 1, v[13:14]
	v_lshlrev_b64 v[16:17], 3, v[13:14]
	v_add_co_u32_e32 v16, vcc, s16, v16
	v_addc_co_u32_e32 v17, vcc, v8, v17, vcc
	global_load_dwordx2 v[16:17], v[16:17], off
	s_waitcnt vmcnt(0)
	v_subrev_co_u32_e32 v16, vcc, s30, v16
	v_subbrev_co_u32_e32 v17, vcc, 0, v17, vcc
	v_cmp_lt_i64_e32 vcc, v[2:3], v[16:17]
	v_cndmask_b32_e32 v11, v11, v13, vcc
	v_cndmask_b32_e32 v12, v12, v14, vcc
	;; [unrolled: 1-line block ×3, first 2 shown]
	v_add_co_u32_e64 v13, s[2:3], -1, v11
	v_cndmask_b32_e32 v10, v14, v10, vcc
	v_addc_co_u32_e64 v14, s[2:3], -1, v12, s[2:3]
	v_cmp_ge_i64_e32 vcc, v[9:10], v[11:12]
	v_cmp_eq_u64_e64 s[2:3], v[9:10], v[13:14]
	s_or_b64 s[2:3], vcc, s[2:3]
	s_and_b64 s[2:3], exec, s[2:3]
	s_or_b64 s[38:39], s[2:3], s[38:39]
	s_andn2_b64 exec, exec, s[38:39]
	s_cbranch_execnz .LBB59_97
; %bb.98:
	s_or_b64 exec, exec, s[38:39]
.LBB59_99:
	v_lshlrev_b64 v[13:14], 3, v[11:12]
	v_mov_b32_e32 v8, s17
	v_add_co_u32_e32 v13, vcc, s16, v13
	v_addc_co_u32_e32 v14, vcc, v8, v14, vcc
	global_load_dwordx2 v[13:14], v[13:14], off
	s_waitcnt vmcnt(0)
	v_subrev_co_u32_e32 v13, vcc, s30, v13
	global_load_dword v16, v[6:7], off offset:2048
	v_subbrev_co_u32_e32 v14, vcc, 0, v14, vcc
	v_cmp_lt_i64_e32 vcc, v[2:3], v[13:14]
	v_cndmask_b32_e32 v12, v12, v10, vcc
	v_cndmask_b32_e32 v11, v11, v9, vcc
	s_waitcnt vmcnt(0)
	v_subrev_u32_e32 v8, s30, v16
	v_ashrrev_i32_e32 v9, 31, v8
	v_cmp_ne_u64_e32 vcc, v[11:12], v[8:9]
	s_and_saveexec_b64 s[38:39], vcc
	s_cbranch_execz .LBB59_107
; %bb.100:
	s_load_dwordx2 s[2:3], s[18:19], 0x0
	s_waitcnt lgkmcnt(0)
	s_sub_u32 s2, s2, s30
	s_subb_u32 s3, s3, 0
	v_cmp_gt_i64_e32 vcc, s[2:3], v[2:3]
	s_and_b64 exec, exec, vcc
	s_cbranch_execz .LBB59_107
; %bb.101:
	v_cmp_gt_i64_e32 vcc, s[8:9], v[8:9]
	v_cmp_le_i64_e64 s[2:3], s[26:27], v[8:9]
	s_or_b64 s[2:3], vcc, s[2:3]
	s_and_saveexec_b64 s[40:41], s[2:3]
	s_xor_b64 s[2:3], exec, s[40:41]
	s_cbranch_execz .LBB59_105
; %bb.102:
	v_mov_b32_e32 v13, s23
	v_add_co_u32_e32 v10, vcc, s22, v11
	v_addc_co_u32_e32 v11, vcc, v13, v12, vcc
	global_load_sbyte v10, v[10:11], off
	v_lshlrev_b64 v[2:3], 2, v[8:9]
	v_mov_b32_e32 v11, s15
	v_add_co_u32_e32 v2, vcc, s14, v2
	v_addc_co_u32_e32 v3, vcc, v11, v3, vcc
	global_load_dword v11, v[2:3], off
	ds_read_b32 v12, v15 offset:2048
	s_mov_b64 s[40:41], 0
	s_waitcnt vmcnt(1)
	v_cvt_f32_i32_e32 v10, v10
	s_waitcnt lgkmcnt(0)
	v_mul_f32_e32 v12, v12, v10
.LBB59_103:                             ; =>This Inner Loop Header: Depth=1
	s_waitcnt vmcnt(0)
	v_add_f32_e32 v10, v11, v12
	global_atomic_cmpswap v10, v[2:3], v[10:11], off glc
	s_waitcnt vmcnt(0)
	v_cmp_eq_u32_e32 vcc, v10, v11
	s_or_b64 s[40:41], vcc, s[40:41]
	v_mov_b32_e32 v11, v10
	s_andn2_b64 exec, exec, s[40:41]
	s_cbranch_execnz .LBB59_103
; %bb.104:
	s_or_b64 exec, exec, s[40:41]
                                        ; implicit-def: $vgpr11_vgpr12
.LBB59_105:
	s_andn2_saveexec_b64 s[2:3], s[2:3]
	s_cbranch_execz .LBB59_107
; %bb.106:
	v_mov_b32_e32 v3, s23
	v_add_co_u32_e32 v2, vcc, s22, v11
	v_addc_co_u32_e32 v3, vcc, v3, v12, vcc
	global_load_sbyte v2, v[2:3], off
	ds_read_b32 v3, v15 offset:2048
	v_subrev_u32_e32 v10, s8, v8
	v_mov_b32_e32 v11, 0x1000
	v_lshl_add_u32 v10, v10, 2, v11
	s_waitcnt vmcnt(0)
	v_cvt_f32_i32_e32 v2, v2
	s_waitcnt lgkmcnt(0)
	v_mul_f32_e32 v2, v3, v2
	ds_add_f32 v10, v2
.LBB59_107:
	s_or_b64 exec, exec, s[38:39]
	v_mov_b32_e32 v3, s23
	v_add_co_u32_e32 v2, vcc, s22, v8
	v_addc_co_u32_e32 v3, vcc, v3, v9, vcc
	global_load_sbyte v2, v[2:3], off
	ds_read_b32 v3, v15 offset:2048
	v_mov_b32_e32 v8, s24
	v_mov_b32_e32 v10, s20
	s_and_b64 vcc, exec, s[0:1]
	v_mov_b32_e32 v9, s25
	v_mov_b32_e32 v11, s21
	s_waitcnt vmcnt(0)
	v_cvt_f32_i32_e32 v2, v2
	s_waitcnt lgkmcnt(0)
	v_mul_f32_e32 v2, v3, v2
	ds_write_b32 v15, v2 offset:2048
	s_cbranch_vccnz .LBB59_111
; %bb.108:
	v_mov_b32_e32 v8, s24
	v_mov_b32_e32 v10, s20
	s_mov_b64 s[2:3], 0
	v_mov_b32_e32 v9, s25
	v_mov_b32_e32 v11, s21
	;; [unrolled: 1-line block ×3, first 2 shown]
.LBB59_109:                             ; =>This Inner Loop Header: Depth=1
	v_add_co_u32_e32 v3, vcc, v10, v8
	v_addc_co_u32_e32 v13, vcc, v11, v9, vcc
	v_lshrrev_b32_e32 v12, 31, v13
	v_add_co_u32_e32 v12, vcc, v3, v12
	v_addc_co_u32_e32 v13, vcc, 0, v13, vcc
	v_ashrrev_i64 v[12:13], 1, v[12:13]
	v_lshlrev_b64 v[16:17], 3, v[12:13]
	v_add_co_u32_e32 v16, vcc, s16, v16
	v_addc_co_u32_e32 v17, vcc, v2, v17, vcc
	global_load_dwordx2 v[16:17], v[16:17], off
	s_waitcnt vmcnt(0)
	v_subrev_co_u32_e32 v16, vcc, s30, v16
	v_subbrev_co_u32_e32 v17, vcc, 0, v17, vcc
	v_cmp_lt_i64_e32 vcc, v[4:5], v[16:17]
	v_cndmask_b32_e32 v10, v10, v12, vcc
	v_cndmask_b32_e32 v11, v11, v13, vcc
	;; [unrolled: 1-line block ×3, first 2 shown]
	v_add_co_u32_e64 v12, s[0:1], -1, v10
	v_cndmask_b32_e32 v9, v13, v9, vcc
	v_addc_co_u32_e64 v13, s[0:1], -1, v11, s[0:1]
	v_cmp_ge_i64_e32 vcc, v[8:9], v[10:11]
	v_cmp_eq_u64_e64 s[0:1], v[8:9], v[12:13]
	s_or_b64 s[0:1], vcc, s[0:1]
	s_and_b64 s[0:1], exec, s[0:1]
	s_or_b64 s[2:3], s[0:1], s[2:3]
	s_andn2_b64 exec, exec, s[2:3]
	s_cbranch_execnz .LBB59_109
; %bb.110:
	s_or_b64 exec, exec, s[2:3]
.LBB59_111:
	v_lshlrev_b64 v[2:3], 3, v[10:11]
	v_mov_b32_e32 v12, s17
	v_add_co_u32_e32 v2, vcc, s16, v2
	v_addc_co_u32_e32 v3, vcc, v12, v3, vcc
	global_load_dword v13, v[6:7], off offset:3072
	s_nop 0
	global_load_dwordx2 v[6:7], v[2:3], off
	s_waitcnt vmcnt(1)
	v_subrev_u32_e32 v2, s30, v13
	v_ashrrev_i32_e32 v3, 31, v2
	s_waitcnt vmcnt(0)
	v_subrev_co_u32_e32 v6, vcc, s30, v6
	v_subbrev_co_u32_e32 v7, vcc, 0, v7, vcc
	v_cmp_lt_i64_e32 vcc, v[4:5], v[6:7]
	v_cndmask_b32_e32 v7, v11, v9, vcc
	v_cndmask_b32_e32 v6, v10, v8, vcc
	v_cmp_ne_u64_e32 vcc, v[6:7], v[2:3]
	s_and_saveexec_b64 s[2:3], vcc
	s_cbranch_execz .LBB59_119
; %bb.112:
	s_load_dwordx2 s[0:1], s[18:19], 0x0
	s_waitcnt lgkmcnt(0)
	s_sub_u32 s0, s0, s30
	s_subb_u32 s1, s1, 0
	v_cmp_gt_i64_e32 vcc, s[0:1], v[4:5]
	s_and_b64 exec, exec, vcc
	s_cbranch_execz .LBB59_119
; %bb.113:
	v_cmp_gt_i64_e32 vcc, s[8:9], v[2:3]
	v_cmp_le_i64_e64 s[0:1], s[26:27], v[2:3]
	s_or_b64 s[0:1], vcc, s[0:1]
	s_and_saveexec_b64 s[18:19], s[0:1]
	s_xor_b64 s[0:1], exec, s[18:19]
	s_cbranch_execz .LBB59_117
; %bb.114:
	v_mov_b32_e32 v8, s23
	v_add_co_u32_e32 v6, vcc, s22, v6
	v_addc_co_u32_e32 v7, vcc, v8, v7, vcc
	global_load_sbyte v6, v[6:7], off
	v_lshlrev_b64 v[4:5], 2, v[2:3]
	v_mov_b32_e32 v7, s15
	v_add_co_u32_e32 v4, vcc, s14, v4
	v_addc_co_u32_e32 v5, vcc, v7, v5, vcc
	global_load_dword v7, v[4:5], off
	ds_read_b32 v8, v15 offset:3072
	s_mov_b64 s[18:19], 0
	s_waitcnt vmcnt(1)
	v_cvt_f32_i32_e32 v6, v6
	s_waitcnt lgkmcnt(0)
	v_mul_f32_e32 v8, v8, v6
.LBB59_115:                             ; =>This Inner Loop Header: Depth=1
	s_waitcnt vmcnt(0)
	v_add_f32_e32 v6, v7, v8
	global_atomic_cmpswap v6, v[4:5], v[6:7], off glc
	s_waitcnt vmcnt(0)
	v_cmp_eq_u32_e32 vcc, v6, v7
	s_or_b64 s[18:19], vcc, s[18:19]
	v_mov_b32_e32 v7, v6
	s_andn2_b64 exec, exec, s[18:19]
	s_cbranch_execnz .LBB59_115
; %bb.116:
	s_or_b64 exec, exec, s[18:19]
                                        ; implicit-def: $vgpr6_vgpr7
.LBB59_117:
	s_andn2_saveexec_b64 s[0:1], s[0:1]
	s_cbranch_execz .LBB59_119
; %bb.118:
	v_mov_b32_e32 v5, s23
	v_add_co_u32_e32 v4, vcc, s22, v6
	v_addc_co_u32_e32 v5, vcc, v5, v7, vcc
	global_load_sbyte v4, v[4:5], off
	ds_read_b32 v5, v15 offset:3072
	v_subrev_u32_e32 v6, s8, v2
	v_mov_b32_e32 v7, 0x1000
	v_lshl_add_u32 v6, v6, 2, v7
	s_waitcnt vmcnt(0)
	v_cvt_f32_i32_e32 v4, v4
	s_waitcnt lgkmcnt(0)
	v_mul_f32_e32 v4, v5, v4
	ds_add_f32 v6, v4
.LBB59_119:
	s_or_b64 exec, exec, s[2:3]
	v_mov_b32_e32 v4, s23
	v_add_co_u32_e32 v2, vcc, s22, v2
	v_addc_co_u32_e32 v3, vcc, v4, v3, vcc
	global_load_sbyte v2, v[2:3], off
	ds_read_b32 v3, v15 offset:3072
	s_waitcnt vmcnt(0)
	v_cvt_f32_i32_e32 v2, v2
	s_waitcnt lgkmcnt(0)
	v_mul_f32_e32 v2, v3, v2
	ds_write_b32 v15, v2 offset:3072
.LBB59_120:
	s_or_b64 exec, exec, s[4:5]
	v_mov_b32_e32 v2, s10
	v_mov_b32_e32 v3, s11
	v_cmp_lt_i64_e32 vcc, s[26:27], v[2:3]
	s_waitcnt lgkmcnt(0)
	s_and_b64 s[0:1], vcc, exec
	s_cselect_b32 s10, s26, s10
	s_cselect_b32 s0, s27, s11
	s_sub_u32 s2, s10, s28
	s_subb_u32 s3, s0, s29
	v_cmp_gt_i64_e32 vcc, s[2:3], v[0:1]
	s_barrier
	s_and_saveexec_b64 s[0:1], vcc
	s_cbranch_execz .LBB59_125
; %bb.121:
	s_lshl_b64 s[4:5], s[8:9], 2
	s_add_u32 s11, s14, s4
	s_addc_u32 s8, s15, s5
	v_mov_b32_e32 v3, v1
	s_mov_b64 s[4:5], 0
	v_mov_b32_e32 v8, s8
	v_mov_b32_e32 v9, 0x1000
	;; [unrolled: 1-line block ×3, first 2 shown]
.LBB59_122:                             ; =>This Loop Header: Depth=1
                                        ;     Child Loop BB59_123 Depth 2
	v_lshlrev_b64 v[4:5], 2, v[2:3]
	v_lshl_add_u32 v6, v2, 2, v9
	v_add_co_u32_e32 v4, vcc, s11, v4
	v_addc_co_u32_e32 v5, vcc, v8, v5, vcc
	global_load_dword v7, v[4:5], off
	ds_read_b32 v10, v6
	s_mov_b64 s[8:9], 0
.LBB59_123:                             ;   Parent Loop BB59_122 Depth=1
                                        ; =>  This Inner Loop Header: Depth=2
	s_waitcnt vmcnt(0) lgkmcnt(0)
	v_add_f32_e32 v6, v7, v10
	global_atomic_cmpswap v6, v[4:5], v[6:7], off glc
	s_waitcnt vmcnt(0)
	v_cmp_eq_u32_e32 vcc, v6, v7
	s_or_b64 s[8:9], vcc, s[8:9]
	v_mov_b32_e32 v7, v6
	s_andn2_b64 exec, exec, s[8:9]
	s_cbranch_execnz .LBB59_123
; %bb.124:                              ;   in Loop: Header=BB59_122 Depth=1
	s_or_b64 exec, exec, s[8:9]
	v_add_co_u32_e32 v2, vcc, 0x100, v2
	v_addc_co_u32_e32 v3, vcc, 0, v3, vcc
	v_cmp_le_i64_e32 vcc, s[2:3], v[2:3]
	s_or_b64 s[4:5], vcc, s[4:5]
	s_andn2_b64 exec, exec, s[4:5]
	s_cbranch_execnz .LBB59_122
.LBB59_125:
	s_or_b64 exec, exec, s[0:1]
	s_add_i32 s0, s36, -1
	s_ashr_i32 s1, s0, 1
	s_or_b32 s0, s1, s0
	s_ashr_i32 s1, s0, 2
	s_or_b32 s0, s1, s0
	;; [unrolled: 2-line block ×5, first 2 shown]
	s_add_i32 s0, s0, 1
	s_ashr_i32 s3, s0, 1
	v_mov_b32_e32 v2, s25
	v_add_co_u32_e32 v6, vcc, s24, v0
	v_addc_co_u32_e32 v7, vcc, 0, v2, vcc
	s_cmp_gt_i32 s3, 1
	s_mov_b64 s[0:1], -1
	s_barrier
	s_cbranch_scc1 .LBB59_136
; %bb.126:
	v_cmp_gt_i64_e32 vcc, s[26:27], v[6:7]
	s_and_saveexec_b64 s[0:1], vcc
	s_cbranch_execz .LBB59_135
; %bb.127:
	s_sub_i32 s4, s10, s26
	s_lshl_b32 s4, s4, 2
	s_add_i32 s13, s4, 0x1000
	s_lshl_b32 s4, s6, 2
	v_mov_b32_e32 v9, v7
	s_sub_i32 s18, 0, s4
	s_mov_b64 s[4:5], 0
	v_mov_b32_e32 v12, s17
	v_mov_b32_e32 v13, s15
	;; [unrolled: 1-line block ×3, first 2 shown]
.LBB59_128:                             ; =>This Loop Header: Depth=1
                                        ;     Child Loop BB59_130 Depth 2
                                        ;     Child Loop BB59_133 Depth 2
	v_lshlrev_b64 v[2:3], 3, v[8:9]
	v_mov_b32_e32 v14, 0
	v_add_co_u32_e32 v2, vcc, s16, v2
	v_addc_co_u32_e32 v3, vcc, v12, v3, vcc
	global_load_dwordx4 v[2:5], v[2:3], off
	s_waitcnt vmcnt(0)
	v_cmp_lt_i64_e32 vcc, v[2:3], v[4:5]
	s_and_saveexec_b64 s[8:9], vcc
	s_cbranch_execz .LBB59_132
; %bb.129:                              ;   in Loop: Header=BB59_128 Depth=1
	v_mov_b32_e32 v10, s7
	v_subrev_co_u32_e32 v4, vcc, s6, v4
	v_subb_co_u32_e32 v5, vcc, v5, v10, vcc
	v_mov_b32_e32 v11, s7
	v_subrev_co_u32_e32 v10, vcc, s6, v2
	v_subb_co_u32_e32 v11, vcc, v3, v11, vcc
	v_lshl_add_u32 v2, v2, 2, s18
	v_mov_b32_e32 v14, 0
	s_mov_b64 s[10:11], 0
.LBB59_130:                             ;   Parent Loop BB59_128 Depth=1
                                        ; =>  This Inner Loop Header: Depth=2
	ds_read_b32 v3, v2
	v_add_co_u32_e32 v10, vcc, 1, v10
	v_addc_co_u32_e32 v11, vcc, 0, v11, vcc
	v_cmp_ge_i64_e32 vcc, v[10:11], v[4:5]
	v_add_u32_e32 v2, 4, v2
	s_or_b64 s[10:11], vcc, s[10:11]
	s_waitcnt lgkmcnt(0)
	v_add_f32_e32 v14, v14, v3
	s_andn2_b64 exec, exec, s[10:11]
	s_cbranch_execnz .LBB59_130
; %bb.131:                              ;   in Loop: Header=BB59_128 Depth=1
	s_or_b64 exec, exec, s[10:11]
.LBB59_132:                             ;   in Loop: Header=BB59_128 Depth=1
	s_or_b64 exec, exec, s[8:9]
	v_lshlrev_b64 v[2:3], 2, v[8:9]
	v_lshl_add_u32 v4, v8, 2, s13
	v_add_co_u32_e32 v2, vcc, s14, v2
	v_addc_co_u32_e32 v3, vcc, v13, v3, vcc
	global_load_dword v5, v[2:3], off
	ds_read_b32 v4, v4
	s_mov_b64 s[8:9], 0
	s_waitcnt lgkmcnt(0)
	v_add_f32_e32 v10, v14, v4
.LBB59_133:                             ;   Parent Loop BB59_128 Depth=1
                                        ; =>  This Inner Loop Header: Depth=2
	s_waitcnt vmcnt(0)
	v_add_f32_e32 v4, v5, v10
	global_atomic_cmpswap v4, v[2:3], v[4:5], off glc
	s_waitcnt vmcnt(0)
	v_cmp_eq_u32_e32 vcc, v4, v5
	s_or_b64 s[8:9], vcc, s[8:9]
	v_mov_b32_e32 v5, v4
	s_andn2_b64 exec, exec, s[8:9]
	s_cbranch_execnz .LBB59_133
; %bb.134:                              ;   in Loop: Header=BB59_128 Depth=1
	s_or_b64 exec, exec, s[8:9]
	v_add_co_u32_e32 v8, vcc, s12, v8
	v_addc_co_u32_e32 v9, vcc, 0, v9, vcc
	v_cmp_le_i64_e32 vcc, s[26:27], v[8:9]
	s_or_b64 s[4:5], vcc, s[4:5]
	s_andn2_b64 exec, exec, s[4:5]
	s_cbranch_execnz .LBB59_128
.LBB59_135:
	s_or_b64 exec, exec, s[0:1]
	s_mov_b64 s[0:1], 0
.LBB59_136:
	s_andn2_b64 vcc, exec, s[0:1]
	s_cbranch_vccnz .LBB59_154
; %bb.137:
	v_cvt_f32_u32_e32 v2, s3
	s_sub_i32 s8, 0, s3
	v_mov_b32_e32 v5, 0
	v_mov_b32_e32 v8, s35
	v_rcp_iflag_f32_e32 v2, v2
	v_mov_b32_e32 v13, s7
	v_mul_f32_e32 v2, 0x4f7ffffe, v2
	v_cvt_u32_f32_e32 v2, v2
	v_mul_lo_u32 v3, s8, v2
	v_mul_hi_u32 v3, v2, v3
	v_add_u32_e32 v2, v2, v3
	v_mul_hi_u32 v2, v0, v2
	v_mul_lo_u32 v3, v2, s3
	v_add_u32_e32 v4, 1, v2
	v_sub_u32_e32 v3, v0, v3
	v_cmp_le_u32_e32 vcc, s3, v3
	v_cndmask_b32_e32 v2, v2, v4, vcc
	v_subrev_u32_e32 v4, s3, v3
	v_cndmask_b32_e32 v3, v3, v4, vcc
	v_add_u32_e32 v4, 1, v2
	v_cmp_le_u32_e32 vcc, s3, v3
	v_cndmask_b32_e32 v4, v2, v4, vcc
	v_lshlrev_b64 v[2:3], 3, v[4:5]
	v_add_co_u32_e32 v2, vcc, s34, v2
	v_addc_co_u32_e32 v3, vcc, v8, v3, vcc
	global_load_dwordx4 v[8:11], v[2:3], off
	v_mov_b32_e32 v3, s7
	s_waitcnt vmcnt(0)
	v_subrev_co_u32_e32 v2, vcc, s6, v8
	v_subb_co_u32_e32 v3, vcc, v9, v3, vcc
	v_subrev_co_u32_e32 v12, vcc, s6, v10
	v_subb_co_u32_e32 v13, vcc, v11, v13, vcc
	v_sub_co_u32_e32 v11, vcc, v12, v2
	v_subb_co_u32_e32 v10, vcc, v13, v3, vcc
	v_mov_b32_e32 v9, v5
	v_cmp_ne_u64_e32 vcc, 0, v[9:10]
                                        ; implicit-def: $vgpr8_vgpr9
	s_and_saveexec_b64 s[0:1], vcc
	s_xor_b64 s[4:5], exec, s[0:1]
	s_cbranch_execz .LBB59_139
; %bb.138:
	s_add_u32 s0, s3, 0
	s_addc_u32 s1, 0, 0
	s_xor_b64 s[6:7], s[0:1], 0
	v_cvt_f32_u32_e32 v8, s6
	v_cvt_f32_u32_e32 v9, s7
	s_sub_u32 s9, 0, s6
	s_subb_u32 s10, 0, s7
	v_ashrrev_i32_e32 v14, 31, v10
	v_madmk_f32 v8, v9, 0x4f800000, v8
	v_rcp_f32_e32 v8, v8
	v_mul_f32_e32 v8, 0x5f7ffffc, v8
	v_mul_f32_e32 v9, 0x2f800000, v8
	v_trunc_f32_e32 v9, v9
	v_madmk_f32 v8, v9, 0xcf800000, v8
	v_cvt_u32_f32_e32 v9, v9
	v_cvt_u32_f32_e32 v8, v8
	v_readfirstlane_b32 s11, v9
	v_readfirstlane_b32 s0, v8
	s_mul_i32 s1, s9, s11
	s_mul_hi_u32 s13, s9, s0
	s_mul_i32 s12, s10, s0
	s_add_i32 s1, s13, s1
	s_mul_i32 s16, s9, s0
	s_add_i32 s1, s1, s12
	s_mul_i32 s13, s0, s1
	s_mul_hi_u32 s17, s0, s16
	s_mul_hi_u32 s12, s0, s1
	s_add_u32 s13, s17, s13
	s_addc_u32 s12, 0, s12
	s_mul_hi_u32 s18, s11, s16
	s_mul_i32 s16, s11, s16
	s_add_u32 s13, s13, s16
	s_mul_hi_u32 s17, s11, s1
	s_addc_u32 s12, s12, s18
	s_addc_u32 s13, s17, 0
	s_mul_i32 s1, s11, s1
	s_add_u32 s1, s12, s1
	s_addc_u32 s12, 0, s13
	s_add_u32 s13, s0, s1
	s_cselect_b64 s[0:1], -1, 0
	s_cmp_lg_u64 s[0:1], 0
	s_addc_u32 s11, s11, s12
	s_mul_i32 s0, s9, s11
	s_mul_hi_u32 s1, s9, s13
	s_add_i32 s0, s1, s0
	s_mul_i32 s10, s10, s13
	s_add_i32 s0, s0, s10
	s_mul_i32 s9, s9, s13
	s_mul_hi_u32 s10, s11, s9
	s_mul_i32 s12, s11, s9
	s_mul_i32 s17, s13, s0
	s_mul_hi_u32 s9, s13, s9
	s_mul_hi_u32 s16, s13, s0
	s_add_u32 s9, s9, s17
	s_addc_u32 s16, 0, s16
	s_add_u32 s9, s9, s12
	s_mul_hi_u32 s1, s11, s0
	s_addc_u32 s9, s16, s10
	s_addc_u32 s1, s1, 0
	s_mul_i32 s0, s11, s0
	s_add_u32 s0, s9, s0
	s_addc_u32 s9, 0, s1
	s_add_u32 s10, s13, s0
	s_cselect_b64 s[0:1], -1, 0
	s_cmp_lg_u64 s[0:1], 0
	v_add_co_u32_e32 v8, vcc, v11, v14
	s_addc_u32 s9, s11, s9
	v_xor_b32_e32 v16, v8, v14
	v_mad_u64_u32 v[8:9], s[0:1], v16, s9, 0
	v_mul_hi_u32 v11, v16, s10
	v_addc_co_u32_e32 v10, vcc, v10, v14, vcc
	v_xor_b32_e32 v17, v10, v14
	v_add_co_u32_e32 v18, vcc, v11, v8
	v_addc_co_u32_e32 v19, vcc, 0, v9, vcc
	v_mad_u64_u32 v[8:9], s[0:1], v17, s10, 0
	v_mad_u64_u32 v[10:11], s[0:1], v17, s9, 0
	v_add_co_u32_e32 v8, vcc, v18, v8
	v_addc_co_u32_e32 v8, vcc, v19, v9, vcc
	v_addc_co_u32_e32 v9, vcc, 0, v11, vcc
	v_add_co_u32_e32 v10, vcc, v8, v10
	v_addc_co_u32_e32 v11, vcc, 0, v9, vcc
	v_mul_lo_u32 v18, s7, v10
	v_mul_lo_u32 v19, s6, v11
	v_mad_u64_u32 v[8:9], s[0:1], s6, v10, 0
	v_add3_u32 v9, v9, v19, v18
	v_sub_u32_e32 v18, v17, v9
	v_mov_b32_e32 v19, s7
	v_sub_co_u32_e32 v8, vcc, v16, v8
	v_subb_co_u32_e64 v16, s[0:1], v18, v19, vcc
	v_subrev_co_u32_e64 v18, s[0:1], s6, v8
	v_subbrev_co_u32_e64 v16, s[0:1], 0, v16, s[0:1]
	v_cmp_le_u32_e64 s[0:1], s7, v16
	v_cndmask_b32_e64 v19, 0, -1, s[0:1]
	v_cmp_le_u32_e64 s[0:1], s6, v18
	v_cndmask_b32_e64 v18, 0, -1, s[0:1]
	v_cmp_eq_u32_e64 s[0:1], s7, v16
	v_cndmask_b32_e64 v16, v19, v18, s[0:1]
	v_add_co_u32_e64 v18, s[0:1], 2, v10
	v_subb_co_u32_e32 v9, vcc, v17, v9, vcc
	v_addc_co_u32_e64 v19, s[0:1], 0, v11, s[0:1]
	v_cmp_le_u32_e32 vcc, s7, v9
	v_add_co_u32_e64 v20, s[0:1], 1, v10
	v_cndmask_b32_e64 v17, 0, -1, vcc
	v_cmp_le_u32_e32 vcc, s6, v8
	v_addc_co_u32_e64 v21, s[0:1], 0, v11, s[0:1]
	v_cndmask_b32_e64 v8, 0, -1, vcc
	v_cmp_eq_u32_e32 vcc, s7, v9
	v_cmp_ne_u32_e64 s[0:1], 0, v16
	v_cndmask_b32_e32 v8, v17, v8, vcc
	v_cndmask_b32_e64 v16, v21, v19, s[0:1]
	v_cmp_ne_u32_e32 vcc, 0, v8
	v_cndmask_b32_e64 v9, v20, v18, s[0:1]
	v_cndmask_b32_e32 v8, v11, v16, vcc
	v_cndmask_b32_e32 v9, v10, v9, vcc
	v_xor_b32_e32 v10, v8, v14
	v_xor_b32_e32 v8, v9, v14
	v_sub_co_u32_e32 v8, vcc, v8, v14
	v_subb_co_u32_e32 v9, vcc, v10, v14, vcc
                                        ; implicit-def: $vgpr11
.LBB59_139:
	s_andn2_saveexec_b64 s[0:1], s[4:5]
	s_cbranch_execz .LBB59_141
; %bb.140:
	v_cvt_f32_u32_e32 v8, s3
	v_rcp_iflag_f32_e32 v8, v8
	v_mul_f32_e32 v8, 0x4f7ffffe, v8
	v_cvt_u32_f32_e32 v8, v8
	v_mul_lo_u32 v9, s8, v8
	v_mul_hi_u32 v9, v8, v9
	v_add_u32_e32 v8, v8, v9
	v_mul_hi_u32 v8, v11, v8
	v_mul_lo_u32 v9, v8, s3
	v_add_u32_e32 v10, 1, v8
	v_sub_u32_e32 v9, v11, v9
	v_subrev_u32_e32 v11, s3, v9
	v_cmp_le_u32_e32 vcc, s3, v9
	v_cndmask_b32_e32 v9, v9, v11, vcc
	v_cndmask_b32_e32 v8, v8, v10, vcc
	v_add_u32_e32 v10, 1, v8
	v_cmp_le_u32_e32 vcc, s3, v9
	v_cndmask_b32_e32 v8, v8, v10, vcc
	v_mov_b32_e32 v9, 0
.LBB59_141:
	s_or_b64 exec, exec, s[0:1]
	v_cmp_gt_i64_e32 vcc, s[28:29], v[4:5]
	v_mov_b32_e32 v14, 0
	s_and_saveexec_b64 s[0:1], vcc
	s_cbranch_execz .LBB59_149
; %bb.142:
	s_add_i32 s4, s3, -1
	v_and_b32_e32 v4, s4, v0
	v_cmp_lt_i64_e32 vcc, 0, v[8:9]
	s_mov_b64 s[4:5], 0
	v_mov_b32_e32 v14, 0
	v_lshlrev_b32_e32 v16, 2, v4
	s_and_saveexec_b64 s[6:7], vcc
	s_cbranch_execz .LBB59_146
; %bb.143:
	v_mov_b32_e32 v11, v9
	v_lshl_add_u32 v5, v2, 2, v16
	s_lshl_b32 s8, s3, 2
	v_mov_b32_e32 v14, 0
	v_mov_b32_e32 v10, v8
.LBB59_144:                             ; =>This Inner Loop Header: Depth=1
	ds_read_b32 v17, v5
	v_add_co_u32_e32 v10, vcc, -1, v10
	v_addc_co_u32_e32 v11, vcc, -1, v11, vcc
	v_cmp_eq_u64_e32 vcc, 0, v[10:11]
	v_add_u32_e32 v5, s8, v5
	s_or_b64 s[4:5], vcc, s[4:5]
	s_waitcnt lgkmcnt(0)
	v_add_f32_e32 v14, v14, v17
	s_andn2_b64 exec, exec, s[4:5]
	s_cbranch_execnz .LBB59_144
; %bb.145:
	s_or_b64 exec, exec, s[4:5]
.LBB59_146:
	s_or_b64 exec, exec, s[6:7]
	v_mad_u64_u32 v[2:3], s[4:5], v8, s3, v[2:3]
	v_mov_b32_e32 v5, 0
	v_mad_u64_u32 v[8:9], s[4:5], v9, s3, v[3:4]
	v_sub_co_u32_e32 v9, vcc, v12, v2
	v_subb_co_u32_e32 v10, vcc, v13, v8, vcc
	v_cmp_gt_i64_e32 vcc, v[9:10], v[4:5]
	s_and_saveexec_b64 s[4:5], vcc
	s_cbranch_execz .LBB59_148
; %bb.147:
	v_lshl_add_u32 v2, v2, 2, v16
	ds_read_b32 v2, v2
	s_waitcnt lgkmcnt(0)
	v_add_f32_e32 v14, v14, v2
.LBB59_148:
	s_or_b64 exec, exec, s[4:5]
.LBB59_149:
	s_or_b64 exec, exec, s[0:1]
	v_cmp_gt_i64_e32 vcc, s[28:29], v[0:1]
	s_barrier
	ds_write_b32 v15, v14
	s_waitcnt lgkmcnt(0)
	s_barrier
	s_and_saveexec_b64 s[0:1], vcc
	s_cbranch_execz .LBB59_154
; %bb.150:
	v_mul_lo_u32 v1, s3, v0
	v_mov_b32_e32 v3, 0
	v_lshlrev_b32_e32 v1, 2, v1
.LBB59_151:                             ; =>This Inner Loop Header: Depth=1
	ds_read_b32 v2, v1
	s_add_i32 s3, s3, -1
	v_add_u32_e32 v1, 4, v1
	s_cmp_eq_u32 s3, 0
	s_waitcnt lgkmcnt(0)
	v_add_f32_e32 v3, v3, v2
	s_cbranch_scc0 .LBB59_151
; %bb.152:
	v_lshlrev_b64 v[1:2], 2, v[6:7]
	v_mov_b32_e32 v4, s15
	v_add_co_u32_e32 v1, vcc, s14, v1
	v_addc_co_u32_e32 v2, vcc, v4, v2, vcc
	global_load_dword v4, v[1:2], off
	s_lshl_b32 s0, s2, 2
	s_addk_i32 s0, 0x1000
	v_lshl_add_u32 v0, v0, 2, s0
	ds_read_b32 v0, v0
	s_mov_b64 s[0:1], 0
	s_waitcnt lgkmcnt(0)
	v_add_f32_e32 v0, v3, v0
.LBB59_153:                             ; =>This Inner Loop Header: Depth=1
	s_waitcnt vmcnt(0)
	v_add_f32_e32 v3, v4, v0
	global_atomic_cmpswap v3, v[1:2], v[3:4], off glc
	s_waitcnt vmcnt(0)
	v_cmp_eq_u32_e32 vcc, v3, v4
	s_or_b64 s[0:1], vcc, s[0:1]
	v_mov_b32_e32 v4, v3
	s_andn2_b64 exec, exec, s[0:1]
	s_cbranch_execnz .LBB59_153
.LBB59_154:
	s_endpgm
	.section	.rodata,"a",@progbits
	.p2align	6, 0x0
	.amdhsa_kernel _ZN9rocsparseL27csrmvn_symm_adaptive_kernelIliaaffEEvbT_S1_PKS1_NS_24const_host_device_scalarIT4_EES3_PKT0_PKT1_PKT2_S6_PT3_21rocsparse_index_base_b
		.amdhsa_group_segment_fixed_size 4096
		.amdhsa_private_segment_fixed_size 0
		.amdhsa_kernarg_size 352
		.amdhsa_user_sgpr_count 6
		.amdhsa_user_sgpr_private_segment_buffer 1
		.amdhsa_user_sgpr_dispatch_ptr 0
		.amdhsa_user_sgpr_queue_ptr 0
		.amdhsa_user_sgpr_kernarg_segment_ptr 1
		.amdhsa_user_sgpr_dispatch_id 0
		.amdhsa_user_sgpr_flat_scratch_init 0
		.amdhsa_user_sgpr_private_segment_size 0
		.amdhsa_uses_dynamic_stack 0
		.amdhsa_system_sgpr_private_segment_wavefront_offset 0
		.amdhsa_system_sgpr_workgroup_id_x 1
		.amdhsa_system_sgpr_workgroup_id_y 0
		.amdhsa_system_sgpr_workgroup_id_z 0
		.amdhsa_system_sgpr_workgroup_info 0
		.amdhsa_system_vgpr_workitem_id 0
		.amdhsa_next_free_vgpr 22
		.amdhsa_next_free_sgpr 52
		.amdhsa_reserve_vcc 1
		.amdhsa_reserve_flat_scratch 0
		.amdhsa_float_round_mode_32 0
		.amdhsa_float_round_mode_16_64 0
		.amdhsa_float_denorm_mode_32 3
		.amdhsa_float_denorm_mode_16_64 3
		.amdhsa_dx10_clamp 1
		.amdhsa_ieee_mode 1
		.amdhsa_fp16_overflow 0
		.amdhsa_exception_fp_ieee_invalid_op 0
		.amdhsa_exception_fp_denorm_src 0
		.amdhsa_exception_fp_ieee_div_zero 0
		.amdhsa_exception_fp_ieee_overflow 0
		.amdhsa_exception_fp_ieee_underflow 0
		.amdhsa_exception_fp_ieee_inexact 0
		.amdhsa_exception_int_div_zero 0
	.end_amdhsa_kernel
	.section	.text._ZN9rocsparseL27csrmvn_symm_adaptive_kernelIliaaffEEvbT_S1_PKS1_NS_24const_host_device_scalarIT4_EES3_PKT0_PKT1_PKT2_S6_PT3_21rocsparse_index_base_b,"axG",@progbits,_ZN9rocsparseL27csrmvn_symm_adaptive_kernelIliaaffEEvbT_S1_PKS1_NS_24const_host_device_scalarIT4_EES3_PKT0_PKT1_PKT2_S6_PT3_21rocsparse_index_base_b,comdat
.Lfunc_end59:
	.size	_ZN9rocsparseL27csrmvn_symm_adaptive_kernelIliaaffEEvbT_S1_PKS1_NS_24const_host_device_scalarIT4_EES3_PKT0_PKT1_PKT2_S6_PT3_21rocsparse_index_base_b, .Lfunc_end59-_ZN9rocsparseL27csrmvn_symm_adaptive_kernelIliaaffEEvbT_S1_PKS1_NS_24const_host_device_scalarIT4_EES3_PKT0_PKT1_PKT2_S6_PT3_21rocsparse_index_base_b
                                        ; -- End function
	.set _ZN9rocsparseL27csrmvn_symm_adaptive_kernelIliaaffEEvbT_S1_PKS1_NS_24const_host_device_scalarIT4_EES3_PKT0_PKT1_PKT2_S6_PT3_21rocsparse_index_base_b.num_vgpr, 22
	.set _ZN9rocsparseL27csrmvn_symm_adaptive_kernelIliaaffEEvbT_S1_PKS1_NS_24const_host_device_scalarIT4_EES3_PKT0_PKT1_PKT2_S6_PT3_21rocsparse_index_base_b.num_agpr, 0
	.set _ZN9rocsparseL27csrmvn_symm_adaptive_kernelIliaaffEEvbT_S1_PKS1_NS_24const_host_device_scalarIT4_EES3_PKT0_PKT1_PKT2_S6_PT3_21rocsparse_index_base_b.numbered_sgpr, 52
	.set _ZN9rocsparseL27csrmvn_symm_adaptive_kernelIliaaffEEvbT_S1_PKS1_NS_24const_host_device_scalarIT4_EES3_PKT0_PKT1_PKT2_S6_PT3_21rocsparse_index_base_b.num_named_barrier, 0
	.set _ZN9rocsparseL27csrmvn_symm_adaptive_kernelIliaaffEEvbT_S1_PKS1_NS_24const_host_device_scalarIT4_EES3_PKT0_PKT1_PKT2_S6_PT3_21rocsparse_index_base_b.private_seg_size, 0
	.set _ZN9rocsparseL27csrmvn_symm_adaptive_kernelIliaaffEEvbT_S1_PKS1_NS_24const_host_device_scalarIT4_EES3_PKT0_PKT1_PKT2_S6_PT3_21rocsparse_index_base_b.uses_vcc, 1
	.set _ZN9rocsparseL27csrmvn_symm_adaptive_kernelIliaaffEEvbT_S1_PKS1_NS_24const_host_device_scalarIT4_EES3_PKT0_PKT1_PKT2_S6_PT3_21rocsparse_index_base_b.uses_flat_scratch, 0
	.set _ZN9rocsparseL27csrmvn_symm_adaptive_kernelIliaaffEEvbT_S1_PKS1_NS_24const_host_device_scalarIT4_EES3_PKT0_PKT1_PKT2_S6_PT3_21rocsparse_index_base_b.has_dyn_sized_stack, 0
	.set _ZN9rocsparseL27csrmvn_symm_adaptive_kernelIliaaffEEvbT_S1_PKS1_NS_24const_host_device_scalarIT4_EES3_PKT0_PKT1_PKT2_S6_PT3_21rocsparse_index_base_b.has_recursion, 0
	.set _ZN9rocsparseL27csrmvn_symm_adaptive_kernelIliaaffEEvbT_S1_PKS1_NS_24const_host_device_scalarIT4_EES3_PKT0_PKT1_PKT2_S6_PT3_21rocsparse_index_base_b.has_indirect_call, 0
	.section	.AMDGPU.csdata,"",@progbits
; Kernel info:
; codeLenInByte = 7456
; TotalNumSgprs: 56
; NumVgprs: 22
; ScratchSize: 0
; MemoryBound: 0
; FloatMode: 240
; IeeeMode: 1
; LDSByteSize: 4096 bytes/workgroup (compile time only)
; SGPRBlocks: 6
; VGPRBlocks: 5
; NumSGPRsForWavesPerEU: 56
; NumVGPRsForWavesPerEU: 22
; Occupancy: 10
; WaveLimiterHint : 1
; COMPUTE_PGM_RSRC2:SCRATCH_EN: 0
; COMPUTE_PGM_RSRC2:USER_SGPR: 6
; COMPUTE_PGM_RSRC2:TRAP_HANDLER: 0
; COMPUTE_PGM_RSRC2:TGID_X_EN: 1
; COMPUTE_PGM_RSRC2:TGID_Y_EN: 0
; COMPUTE_PGM_RSRC2:TGID_Z_EN: 0
; COMPUTE_PGM_RSRC2:TIDIG_COMP_CNT: 0
	.section	.text._ZL33csrmvn_symm_large_adaptive_kernelIliaaffEvbT_PKS0_N9rocsparse24const_host_device_scalarIT4_EES2_PKT0_PKT1_PKT2_S6_PT3_21rocsparse_index_base_b,"axG",@progbits,_ZL33csrmvn_symm_large_adaptive_kernelIliaaffEvbT_PKS0_N9rocsparse24const_host_device_scalarIT4_EES2_PKT0_PKT1_PKT2_S6_PT3_21rocsparse_index_base_b,comdat
	.globl	_ZL33csrmvn_symm_large_adaptive_kernelIliaaffEvbT_PKS0_N9rocsparse24const_host_device_scalarIT4_EES2_PKT0_PKT1_PKT2_S6_PT3_21rocsparse_index_base_b ; -- Begin function _ZL33csrmvn_symm_large_adaptive_kernelIliaaffEvbT_PKS0_N9rocsparse24const_host_device_scalarIT4_EES2_PKT0_PKT1_PKT2_S6_PT3_21rocsparse_index_base_b
	.p2align	8
	.type	_ZL33csrmvn_symm_large_adaptive_kernelIliaaffEvbT_PKS0_N9rocsparse24const_host_device_scalarIT4_EES2_PKT0_PKT1_PKT2_S6_PT3_21rocsparse_index_base_b,@function
_ZL33csrmvn_symm_large_adaptive_kernelIliaaffEvbT_PKS0_N9rocsparse24const_host_device_scalarIT4_EES2_PKT0_PKT1_PKT2_S6_PT3_21rocsparse_index_base_b: ; @_ZL33csrmvn_symm_large_adaptive_kernelIliaaffEvbT_PKS0_N9rocsparse24const_host_device_scalarIT4_EES2_PKT0_PKT1_PKT2_S6_PT3_21rocsparse_index_base_b
; %bb.0:
	s_load_dwordx2 s[10:11], s[4:5], 0x50
	s_load_dwordx2 s[24:25], s[4:5], 0x18
	;; [unrolled: 1-line block ×3, first 2 shown]
	s_waitcnt lgkmcnt(0)
	s_bitcmp1_b32 s11, 0
	s_cselect_b64 s[8:9], -1, 0
	s_xor_b64 s[2:3], s[8:9], -1
	s_and_b64 vcc, exec, s[8:9]
	s_cbranch_vccnz .LBB60_2
; %bb.1:
	s_load_dword s24, s[24:25], 0x0
.LBB60_2:
	s_andn2_b64 vcc, exec, s[2:3]
	s_cbranch_vccnz .LBB60_4
; %bb.3:
	s_load_dword s0, s[0:1], 0x0
.LBB60_4:
	s_waitcnt lgkmcnt(0)
	v_cmp_neq_f32_e64 s[2:3], s24, 0
	v_cmp_neq_f32_e64 s[0:1], s0, 1.0
	s_or_b64 s[0:1], s[2:3], s[0:1]
	s_andn2_b64 vcc, exec, s[0:1]
	s_cbranch_vccnz .LBB60_34
; %bb.5:
	s_load_dwordx2 s[0:1], s[4:5], 0x10
	s_ashr_i32 s7, s6, 31
	s_lshl_b64 s[2:3], s[6:7], 3
	v_lshlrev_b32_e32 v6, 2, v0
	v_mov_b32_e32 v7, 0
	s_waitcnt lgkmcnt(0)
	s_add_u32 s0, s0, s2
	s_addc_u32 s1, s1, s3
	ds_write2st64_b32 v6, v7, v7 offset1:4
	ds_write2st64_b32 v6, v7, v7 offset0:8 offset1:12
	s_waitcnt lgkmcnt(0)
	s_barrier
	s_load_dwordx4 s[20:23], s[0:1], 0x0
	s_load_dwordx8 s[12:19], s[4:5], 0x20
	s_load_dwordx2 s[26:27], s[4:5], 0x48
	v_subrev_co_u32_e64 v8, s[0:1], s10, v0
	s_waitcnt lgkmcnt(0)
	v_mov_b32_e32 v1, s22
	v_mov_b32_e32 v2, s23
	v_cmp_ge_i64_e32 vcc, s[20:21], v[1:2]
	v_subb_co_u32_e64 v9, s[0:1], 0, 0, s[0:1]
	s_cbranch_vccnz .LBB60_24
; %bb.6:
	v_cmp_gt_u32_e64 s[0:1], 64, v0
	v_cmp_gt_u32_e64 s[2:3], 16, v0
	;; [unrolled: 1-line block ×3, first 2 shown]
	v_cmp_eq_u32_e64 s[6:7], 0, v0
	v_mov_b32_e32 v0, s22
	v_mov_b32_e32 v1, s23
	s_mov_b64 s[28:29], s[20:21]
	s_branch .LBB60_8
.LBB60_7:                               ;   in Loop: Header=BB60_8 Depth=1
	s_or_b64 exec, exec, s[8:9]
	s_add_u32 s28, s28, 1
	s_addc_u32 s29, s29, 0
	v_cmp_ge_i64_e32 vcc, s[28:29], v[0:1]
	s_cbranch_vccnz .LBB60_24
.LBB60_8:                               ; =>This Loop Header: Depth=1
                                        ;     Child Loop BB60_10 Depth 2
                                        ;     Child Loop BB60_23 Depth 2
	s_lshl_b64 s[8:9], s[28:29], 3
	s_add_u32 s8, s12, s8
	s_addc_u32 s9, s13, s9
	s_load_dwordx4 s[36:39], s[8:9], 0x0
	v_mov_b32_e32 v10, 0
	s_waitcnt lgkmcnt(0)
	s_sub_u32 s30, s38, s10
	v_mov_b32_e32 v3, s37
	v_add_co_u32_e32 v2, vcc, s36, v8
	s_subb_u32 s31, s39, 0
	v_addc_co_u32_e32 v3, vcc, v3, v9, vcc
	v_cmp_gt_i64_e32 vcc, s[30:31], v[2:3]
	s_and_saveexec_b64 s[34:35], vcc
	s_cbranch_execz .LBB60_12
; %bb.9:                                ;   in Loop: Header=BB60_8 Depth=1
	v_lshlrev_b64 v[4:5], 2, v[2:3]
	v_mov_b32_e32 v10, s15
	v_add_co_u32_e32 v4, vcc, s14, v4
	v_addc_co_u32_e32 v5, vcc, v10, v5, vcc
	v_mov_b32_e32 v10, 0
	s_mov_b64 s[36:37], 0
.LBB60_10:                              ;   Parent Loop BB60_8 Depth=1
                                        ; =>  This Inner Loop Header: Depth=2
	global_load_dword v13, v[4:5], off
	v_mov_b32_e32 v12, s17
	v_add_co_u32_e32 v11, vcc, s16, v2
	v_addc_co_u32_e32 v12, vcc, v12, v3, vcc
	global_load_sbyte v15, v[11:12], off
	v_mov_b32_e32 v14, s19
	s_waitcnt vmcnt(1)
	v_subrev_u32_e32 v11, s10, v13
	v_ashrrev_i32_e32 v12, 31, v11
	v_add_co_u32_e32 v11, vcc, s18, v11
	v_addc_co_u32_e32 v12, vcc, v14, v12, vcc
	global_load_sbyte v11, v[11:12], off
	v_add_co_u32_e32 v2, vcc, 0x100, v2
	s_waitcnt vmcnt(1)
	v_cvt_f32_i32_e32 v12, v15
	v_addc_co_u32_e32 v3, vcc, 0, v3, vcc
	v_cmp_le_i64_e64 s[8:9], s[30:31], v[2:3]
	v_add_co_u32_e32 v4, vcc, 0x400, v4
	v_addc_co_u32_e32 v5, vcc, 0, v5, vcc
	s_or_b64 s[36:37], s[8:9], s[36:37]
	s_waitcnt vmcnt(0)
	v_cvt_f32_i32_e32 v11, v11
	v_fmac_f32_e32 v10, v12, v11
	s_andn2_b64 exec, exec, s[36:37]
	s_cbranch_execnz .LBB60_10
; %bb.11:                               ;   in Loop: Header=BB60_8 Depth=1
	s_or_b64 exec, exec, s[36:37]
.LBB60_12:                              ;   in Loop: Header=BB60_8 Depth=1
	s_or_b64 exec, exec, s[34:35]
	ds_write_b32 v6, v10
	s_waitcnt lgkmcnt(0)
	s_barrier
	ds_read2st64_b32 v[2:3], v6 offset1:4
	ds_read2st64_b32 v[4:5], v6 offset0:8 offset1:12
	s_waitcnt lgkmcnt(0)
	v_add_f32_e32 v3, v3, v4
	v_add_f32_e32 v3, v3, v5
	;; [unrolled: 1-line block ×3, first 2 shown]
	ds_write_b32 v6, v2
	s_waitcnt lgkmcnt(0)
	s_barrier
	s_and_saveexec_b64 s[8:9], s[0:1]
	s_cbranch_execz .LBB60_14
; %bb.13:                               ;   in Loop: Header=BB60_8 Depth=1
	ds_read2st64_b32 v[2:3], v6 offset1:1
	ds_read2st64_b32 v[4:5], v6 offset0:2 offset1:3
	s_waitcnt lgkmcnt(0)
	v_add_f32_e32 v3, v3, v4
	v_add_f32_e32 v3, v3, v5
	;; [unrolled: 1-line block ×3, first 2 shown]
	ds_write_b32 v6, v2
.LBB60_14:                              ;   in Loop: Header=BB60_8 Depth=1
	s_or_b64 exec, exec, s[8:9]
	s_waitcnt lgkmcnt(0)
	s_barrier
	s_and_saveexec_b64 s[8:9], s[2:3]
	s_cbranch_execz .LBB60_16
; %bb.15:                               ;   in Loop: Header=BB60_8 Depth=1
	ds_read2_b32 v[2:3], v6 offset1:16
	ds_read2_b32 v[4:5], v6 offset0:32 offset1:48
	s_waitcnt lgkmcnt(0)
	v_add_f32_e32 v3, v3, v4
	v_add_f32_e32 v3, v3, v5
	;; [unrolled: 1-line block ×3, first 2 shown]
	ds_write_b32 v6, v2
.LBB60_16:                              ;   in Loop: Header=BB60_8 Depth=1
	s_or_b64 exec, exec, s[8:9]
	s_waitcnt lgkmcnt(0)
	s_barrier
	s_and_saveexec_b64 s[8:9], s[4:5]
	s_cbranch_execz .LBB60_18
; %bb.17:                               ;   in Loop: Header=BB60_8 Depth=1
	ds_read2_b32 v[2:3], v6 offset1:4
	ds_read2_b32 v[4:5], v6 offset0:8 offset1:12
	s_waitcnt lgkmcnt(0)
	v_add_f32_e32 v3, v3, v4
	v_add_f32_e32 v3, v3, v5
	;; [unrolled: 1-line block ×3, first 2 shown]
	ds_write_b32 v6, v2
.LBB60_18:                              ;   in Loop: Header=BB60_8 Depth=1
	s_or_b64 exec, exec, s[8:9]
	s_waitcnt lgkmcnt(0)
	s_barrier
	s_and_saveexec_b64 s[8:9], s[6:7]
	s_cbranch_execz .LBB60_20
; %bb.19:                               ;   in Loop: Header=BB60_8 Depth=1
	ds_read2_b32 v[2:3], v7 offset0:1 offset1:2
	ds_read_b32 v4, v7 offset:12
	ds_read_b32 v5, v6
	s_waitcnt lgkmcnt(2)
	v_add_f32_e32 v2, v2, v3
	s_waitcnt lgkmcnt(1)
	v_add_f32_e32 v2, v2, v4
	s_waitcnt lgkmcnt(0)
	v_add_f32_e32 v2, v5, v2
	ds_write_b32 v6, v2
.LBB60_20:                              ;   in Loop: Header=BB60_8 Depth=1
	s_or_b64 exec, exec, s[8:9]
	s_waitcnt lgkmcnt(0)
	s_barrier
	s_and_saveexec_b64 s[8:9], s[6:7]
	s_cbranch_execz .LBB60_7
; %bb.21:                               ;   in Loop: Header=BB60_8 Depth=1
	s_mov_b64 s[34:35], exec
	v_mbcnt_lo_u32_b32 v2, s34, 0
	v_mbcnt_hi_u32_b32 v2, s35, v2
	v_cmp_eq_u32_e32 vcc, 0, v2
	s_and_b64 s[30:31], exec, vcc
	s_mov_b64 exec, s[30:31]
	s_cbranch_execz .LBB60_7
; %bb.22:                               ;   in Loop: Header=BB60_8 Depth=1
	s_lshl_b64 s[30:31], s[28:29], 2
	s_add_u32 s30, s26, s30
	s_addc_u32 s31, s27, s31
	global_load_dword v3, v7, s[30:31]
	ds_read_b32 v2, v7
	s_bcnt1_i32_b64 s11, s[34:35]
	v_cvt_f32_ubyte0_e32 v4, s11
	s_mov_b64 s[34:35], 0
	s_waitcnt lgkmcnt(0)
	v_mul_f32_e32 v2, s24, v2
	v_mul_f32_e32 v4, v2, v4
.LBB60_23:                              ;   Parent Loop BB60_8 Depth=1
                                        ; =>  This Inner Loop Header: Depth=2
	s_waitcnt vmcnt(0)
	v_add_f32_e32 v2, v3, v4
	global_atomic_cmpswap v2, v7, v[2:3], s[30:31] glc
	s_waitcnt vmcnt(0)
	v_cmp_eq_u32_e32 vcc, v2, v3
	s_or_b64 s[34:35], vcc, s[34:35]
	v_mov_b32_e32 v3, v2
	s_andn2_b64 exec, exec, s[34:35]
	s_cbranch_execnz .LBB60_23
	s_branch .LBB60_7
.LBB60_24:
	s_lshl_b64 s[0:1], s[20:21], 3
	s_add_u32 s0, s12, s0
	s_addc_u32 s1, s13, s1
	s_lshl_b64 s[2:3], s[22:23], 3
	s_add_u32 s2, s12, s2
	s_addc_u32 s3, s13, s3
	s_load_dwordx2 s[6:7], s[0:1], 0x0
	s_load_dwordx2 s[4:5], s[2:3], 0x0
	s_waitcnt lgkmcnt(0)
	v_mov_b32_e32 v1, s7
	s_sub_u32 s4, s4, s10
	v_add_co_u32_e32 v0, vcc, s6, v8
	s_subb_u32 s5, s5, 0
	v_addc_co_u32_e32 v1, vcc, v1, v9, vcc
	v_cmp_gt_i64_e32 vcc, s[4:5], v[0:1]
	s_and_saveexec_b64 s[0:1], vcc
	s_cbranch_execz .LBB60_34
; %bb.25:
	s_add_u32 s6, s22, -1
	s_addc_u32 s7, s23, -1
	v_mov_b32_e32 v2, s6
	s_add_u32 s0, s22, -2
	v_mov_b32_e32 v3, s7
	s_addc_u32 s1, s23, -1
	v_cmp_lt_i64_e32 vcc, s[20:21], v[2:3]
	s_cmp_lg_u64 s[20:21], s[0:1]
	s_cselect_b64 s[0:1], -1, 0
	s_and_b64 s[0:1], vcc, s[0:1]
	v_cndmask_b32_e64 v2, 0, 1, s[0:1]
	s_mov_b64 s[8:9], 0
	v_cmp_ne_u32_e64 s[0:1], 1, v2
	v_mov_b32_e32 v8, s13
	v_mov_b32_e32 v9, s15
	s_branch .LBB60_27
.LBB60_26:                              ;   in Loop: Header=BB60_27 Depth=1
	s_or_b64 exec, exec, s[2:3]
	v_add_co_u32_e32 v0, vcc, 0x100, v0
	v_addc_co_u32_e32 v1, vcc, 0, v1, vcc
	v_cmp_le_i64_e32 vcc, s[4:5], v[0:1]
	s_or_b64 s[8:9], vcc, s[8:9]
	s_andn2_b64 exec, exec, s[8:9]
	s_cbranch_execz .LBB60_34
.LBB60_27:                              ; =>This Loop Header: Depth=1
                                        ;     Child Loop BB60_29 Depth 2
                                        ;     Child Loop BB60_33 Depth 2
	v_mov_b32_e32 v2, s20
	v_mov_b32_e32 v4, s6
	s_and_b64 vcc, exec, s[0:1]
	v_mov_b32_e32 v3, s21
	v_mov_b32_e32 v5, s7
	s_cbranch_vccnz .LBB60_31
; %bb.28:                               ;   in Loop: Header=BB60_27 Depth=1
	v_mov_b32_e32 v2, s20
	v_mov_b32_e32 v4, s6
	s_mov_b64 s[22:23], 0
	v_mov_b32_e32 v3, s21
	v_mov_b32_e32 v5, s7
.LBB60_29:                              ;   Parent Loop BB60_27 Depth=1
                                        ; =>  This Inner Loop Header: Depth=2
	v_add_co_u32_e32 v6, vcc, v4, v2
	v_addc_co_u32_e32 v7, vcc, v5, v3, vcc
	v_lshrrev_b32_e32 v10, 31, v7
	v_add_co_u32_e32 v6, vcc, v6, v10
	v_addc_co_u32_e32 v7, vcc, 0, v7, vcc
	v_ashrrev_i64 v[6:7], 1, v[6:7]
	v_mov_b32_e32 v12, s13
	v_lshlrev_b64 v[10:11], 3, v[6:7]
	v_add_co_u32_e32 v10, vcc, s12, v10
	v_addc_co_u32_e32 v11, vcc, v12, v11, vcc
	global_load_dwordx2 v[10:11], v[10:11], off
	s_waitcnt vmcnt(0)
	v_subrev_co_u32_e32 v10, vcc, s10, v10
	v_subbrev_co_u32_e32 v11, vcc, 0, v11, vcc
	v_cmp_lt_i64_e32 vcc, v[0:1], v[10:11]
	v_cndmask_b32_e32 v4, v4, v6, vcc
	v_cndmask_b32_e32 v5, v5, v7, vcc
	;; [unrolled: 1-line block ×3, first 2 shown]
	v_add_co_u32_e64 v6, s[2:3], -1, v4
	v_cndmask_b32_e32 v3, v7, v3, vcc
	v_addc_co_u32_e64 v7, s[2:3], -1, v5, s[2:3]
	v_cmp_ge_i64_e32 vcc, v[2:3], v[4:5]
	v_cmp_eq_u64_e64 s[2:3], v[2:3], v[6:7]
	s_or_b64 s[2:3], vcc, s[2:3]
	s_and_b64 s[2:3], exec, s[2:3]
	s_or_b64 s[22:23], s[2:3], s[22:23]
	s_andn2_b64 exec, exec, s[22:23]
	s_cbranch_execnz .LBB60_29
; %bb.30:                               ;   in Loop: Header=BB60_27 Depth=1
	s_or_b64 exec, exec, s[22:23]
.LBB60_31:                              ;   in Loop: Header=BB60_27 Depth=1
	v_lshlrev_b64 v[6:7], 3, v[4:5]
	v_lshlrev_b64 v[10:11], 2, v[0:1]
	v_add_co_u32_e32 v6, vcc, s12, v6
	v_addc_co_u32_e32 v7, vcc, v8, v7, vcc
	global_load_dwordx2 v[6:7], v[6:7], off
	v_add_co_u32_e32 v10, vcc, s14, v10
	v_addc_co_u32_e32 v11, vcc, v9, v11, vcc
	global_load_dword v12, v[10:11], off
	s_waitcnt vmcnt(1)
	v_subrev_co_u32_e32 v10, vcc, s10, v6
	v_subbrev_co_u32_e32 v11, vcc, 0, v7, vcc
	v_cmp_lt_i64_e32 vcc, v[0:1], v[10:11]
	s_waitcnt vmcnt(0)
	v_subrev_u32_e32 v6, s10, v12
	v_cndmask_b32_e32 v3, v5, v3, vcc
	v_cndmask_b32_e32 v2, v4, v2, vcc
	v_ashrrev_i32_e32 v7, 31, v6
	v_cmp_ne_u64_e32 vcc, v[2:3], v[6:7]
	s_and_saveexec_b64 s[2:3], vcc
	s_cbranch_execz .LBB60_26
; %bb.32:                               ;   in Loop: Header=BB60_27 Depth=1
	v_lshlrev_b64 v[4:5], 2, v[6:7]
	v_mov_b32_e32 v7, s17
	v_add_co_u32_e32 v6, vcc, s16, v0
	v_addc_co_u32_e32 v7, vcc, v7, v1, vcc
	global_load_sbyte v6, v[6:7], off
	v_mov_b32_e32 v7, s19
	v_add_co_u32_e32 v2, vcc, s18, v2
	v_addc_co_u32_e32 v3, vcc, v7, v3, vcc
	global_load_sbyte v7, v[2:3], off
	v_mov_b32_e32 v3, s27
	v_add_co_u32_e32 v2, vcc, s26, v4
	v_addc_co_u32_e32 v3, vcc, v3, v5, vcc
	global_load_dword v5, v[2:3], off
	s_mov_b64 s[22:23], 0
	s_waitcnt vmcnt(2)
	v_cvt_f32_i32_e32 v4, v6
	v_mul_f32_e32 v4, s24, v4
	s_waitcnt vmcnt(1)
	v_cvt_f32_i32_e32 v6, v7
	v_mul_f32_e32 v6, v4, v6
.LBB60_33:                              ;   Parent Loop BB60_27 Depth=1
                                        ; =>  This Inner Loop Header: Depth=2
	s_waitcnt vmcnt(0)
	v_add_f32_e32 v4, v5, v6
	global_atomic_cmpswap v4, v[2:3], v[4:5], off glc
	s_waitcnt vmcnt(0)
	v_cmp_eq_u32_e32 vcc, v4, v5
	s_or_b64 s[22:23], vcc, s[22:23]
	v_mov_b32_e32 v5, v4
	s_andn2_b64 exec, exec, s[22:23]
	s_cbranch_execnz .LBB60_33
	s_branch .LBB60_26
.LBB60_34:
	s_endpgm
	.section	.rodata,"a",@progbits
	.p2align	6, 0x0
	.amdhsa_kernel _ZL33csrmvn_symm_large_adaptive_kernelIliaaffEvbT_PKS0_N9rocsparse24const_host_device_scalarIT4_EES2_PKT0_PKT1_PKT2_S6_PT3_21rocsparse_index_base_b
		.amdhsa_group_segment_fixed_size 4096
		.amdhsa_private_segment_fixed_size 0
		.amdhsa_kernarg_size 88
		.amdhsa_user_sgpr_count 6
		.amdhsa_user_sgpr_private_segment_buffer 1
		.amdhsa_user_sgpr_dispatch_ptr 0
		.amdhsa_user_sgpr_queue_ptr 0
		.amdhsa_user_sgpr_kernarg_segment_ptr 1
		.amdhsa_user_sgpr_dispatch_id 0
		.amdhsa_user_sgpr_flat_scratch_init 0
		.amdhsa_user_sgpr_private_segment_size 0
		.amdhsa_uses_dynamic_stack 0
		.amdhsa_system_sgpr_private_segment_wavefront_offset 0
		.amdhsa_system_sgpr_workgroup_id_x 1
		.amdhsa_system_sgpr_workgroup_id_y 0
		.amdhsa_system_sgpr_workgroup_id_z 0
		.amdhsa_system_sgpr_workgroup_info 0
		.amdhsa_system_vgpr_workitem_id 0
		.amdhsa_next_free_vgpr 16
		.amdhsa_next_free_sgpr 40
		.amdhsa_reserve_vcc 1
		.amdhsa_reserve_flat_scratch 0
		.amdhsa_float_round_mode_32 0
		.amdhsa_float_round_mode_16_64 0
		.amdhsa_float_denorm_mode_32 3
		.amdhsa_float_denorm_mode_16_64 3
		.amdhsa_dx10_clamp 1
		.amdhsa_ieee_mode 1
		.amdhsa_fp16_overflow 0
		.amdhsa_exception_fp_ieee_invalid_op 0
		.amdhsa_exception_fp_denorm_src 0
		.amdhsa_exception_fp_ieee_div_zero 0
		.amdhsa_exception_fp_ieee_overflow 0
		.amdhsa_exception_fp_ieee_underflow 0
		.amdhsa_exception_fp_ieee_inexact 0
		.amdhsa_exception_int_div_zero 0
	.end_amdhsa_kernel
	.section	.text._ZL33csrmvn_symm_large_adaptive_kernelIliaaffEvbT_PKS0_N9rocsparse24const_host_device_scalarIT4_EES2_PKT0_PKT1_PKT2_S6_PT3_21rocsparse_index_base_b,"axG",@progbits,_ZL33csrmvn_symm_large_adaptive_kernelIliaaffEvbT_PKS0_N9rocsparse24const_host_device_scalarIT4_EES2_PKT0_PKT1_PKT2_S6_PT3_21rocsparse_index_base_b,comdat
.Lfunc_end60:
	.size	_ZL33csrmvn_symm_large_adaptive_kernelIliaaffEvbT_PKS0_N9rocsparse24const_host_device_scalarIT4_EES2_PKT0_PKT1_PKT2_S6_PT3_21rocsparse_index_base_b, .Lfunc_end60-_ZL33csrmvn_symm_large_adaptive_kernelIliaaffEvbT_PKS0_N9rocsparse24const_host_device_scalarIT4_EES2_PKT0_PKT1_PKT2_S6_PT3_21rocsparse_index_base_b
                                        ; -- End function
	.set _ZL33csrmvn_symm_large_adaptive_kernelIliaaffEvbT_PKS0_N9rocsparse24const_host_device_scalarIT4_EES2_PKT0_PKT1_PKT2_S6_PT3_21rocsparse_index_base_b.num_vgpr, 16
	.set _ZL33csrmvn_symm_large_adaptive_kernelIliaaffEvbT_PKS0_N9rocsparse24const_host_device_scalarIT4_EES2_PKT0_PKT1_PKT2_S6_PT3_21rocsparse_index_base_b.num_agpr, 0
	.set _ZL33csrmvn_symm_large_adaptive_kernelIliaaffEvbT_PKS0_N9rocsparse24const_host_device_scalarIT4_EES2_PKT0_PKT1_PKT2_S6_PT3_21rocsparse_index_base_b.numbered_sgpr, 40
	.set _ZL33csrmvn_symm_large_adaptive_kernelIliaaffEvbT_PKS0_N9rocsparse24const_host_device_scalarIT4_EES2_PKT0_PKT1_PKT2_S6_PT3_21rocsparse_index_base_b.num_named_barrier, 0
	.set _ZL33csrmvn_symm_large_adaptive_kernelIliaaffEvbT_PKS0_N9rocsparse24const_host_device_scalarIT4_EES2_PKT0_PKT1_PKT2_S6_PT3_21rocsparse_index_base_b.private_seg_size, 0
	.set _ZL33csrmvn_symm_large_adaptive_kernelIliaaffEvbT_PKS0_N9rocsparse24const_host_device_scalarIT4_EES2_PKT0_PKT1_PKT2_S6_PT3_21rocsparse_index_base_b.uses_vcc, 1
	.set _ZL33csrmvn_symm_large_adaptive_kernelIliaaffEvbT_PKS0_N9rocsparse24const_host_device_scalarIT4_EES2_PKT0_PKT1_PKT2_S6_PT3_21rocsparse_index_base_b.uses_flat_scratch, 0
	.set _ZL33csrmvn_symm_large_adaptive_kernelIliaaffEvbT_PKS0_N9rocsparse24const_host_device_scalarIT4_EES2_PKT0_PKT1_PKT2_S6_PT3_21rocsparse_index_base_b.has_dyn_sized_stack, 0
	.set _ZL33csrmvn_symm_large_adaptive_kernelIliaaffEvbT_PKS0_N9rocsparse24const_host_device_scalarIT4_EES2_PKT0_PKT1_PKT2_S6_PT3_21rocsparse_index_base_b.has_recursion, 0
	.set _ZL33csrmvn_symm_large_adaptive_kernelIliaaffEvbT_PKS0_N9rocsparse24const_host_device_scalarIT4_EES2_PKT0_PKT1_PKT2_S6_PT3_21rocsparse_index_base_b.has_indirect_call, 0
	.section	.AMDGPU.csdata,"",@progbits
; Kernel info:
; codeLenInByte = 1576
; TotalNumSgprs: 44
; NumVgprs: 16
; ScratchSize: 0
; MemoryBound: 0
; FloatMode: 240
; IeeeMode: 1
; LDSByteSize: 4096 bytes/workgroup (compile time only)
; SGPRBlocks: 5
; VGPRBlocks: 3
; NumSGPRsForWavesPerEU: 44
; NumVGPRsForWavesPerEU: 16
; Occupancy: 10
; WaveLimiterHint : 1
; COMPUTE_PGM_RSRC2:SCRATCH_EN: 0
; COMPUTE_PGM_RSRC2:USER_SGPR: 6
; COMPUTE_PGM_RSRC2:TRAP_HANDLER: 0
; COMPUTE_PGM_RSRC2:TGID_X_EN: 1
; COMPUTE_PGM_RSRC2:TGID_Y_EN: 0
; COMPUTE_PGM_RSRC2:TGID_Z_EN: 0
; COMPUTE_PGM_RSRC2:TIDIG_COMP_CNT: 0
	.section	.text._ZN9rocsparseL22csrmvn_adaptive_kernelIllaaffEEvbT_PKS1_PjPKT0_NS_24const_host_device_scalarIT4_EES3_S7_PKT1_PKT2_SA_PT3_21rocsparse_index_base_b,"axG",@progbits,_ZN9rocsparseL22csrmvn_adaptive_kernelIllaaffEEvbT_PKS1_PjPKT0_NS_24const_host_device_scalarIT4_EES3_S7_PKT1_PKT2_SA_PT3_21rocsparse_index_base_b,comdat
	.globl	_ZN9rocsparseL22csrmvn_adaptive_kernelIllaaffEEvbT_PKS1_PjPKT0_NS_24const_host_device_scalarIT4_EES3_S7_PKT1_PKT2_SA_PT3_21rocsparse_index_base_b ; -- Begin function _ZN9rocsparseL22csrmvn_adaptive_kernelIllaaffEEvbT_PKS1_PjPKT0_NS_24const_host_device_scalarIT4_EES3_S7_PKT1_PKT2_SA_PT3_21rocsparse_index_base_b
	.p2align	8
	.type	_ZN9rocsparseL22csrmvn_adaptive_kernelIllaaffEEvbT_PKS1_PjPKT0_NS_24const_host_device_scalarIT4_EES3_S7_PKT1_PKT2_SA_PT3_21rocsparse_index_base_b,@function
_ZN9rocsparseL22csrmvn_adaptive_kernelIllaaffEEvbT_PKS1_PjPKT0_NS_24const_host_device_scalarIT4_EES3_S7_PKT1_PKT2_SA_PT3_21rocsparse_index_base_b: ; @_ZN9rocsparseL22csrmvn_adaptive_kernelIllaaffEEvbT_PKS1_PjPKT0_NS_24const_host_device_scalarIT4_EES3_S7_PKT1_PKT2_SA_PT3_21rocsparse_index_base_b
; %bb.0:
	s_load_dwordx2 s[50:51], s[4:5], 0x60
	s_load_dwordx2 s[48:49], s[4:5], 0x28
	s_load_dwordx2 s[34:35], s[4:5], 0x50
	s_waitcnt lgkmcnt(0)
	s_bitcmp1_b32 s51, 0
	s_cselect_b64 s[2:3], -1, 0
	s_xor_b64 s[0:1], s[2:3], -1
	s_and_b64 vcc, exec, s[2:3]
	s_cbranch_vccnz .LBB61_2
; %bb.1:
	s_load_dword s48, s[48:49], 0x0
.LBB61_2:
	s_andn2_b64 vcc, exec, s[0:1]
	s_cbranch_vccnz .LBB61_4
; %bb.3:
	s_load_dword s34, s[34:35], 0x0
.LBB61_4:
	s_waitcnt lgkmcnt(0)
	v_cmp_neq_f32_e64 s[0:1], s48, 0
	v_cmp_neq_f32_e64 s[2:3], s34, 1.0
	s_or_b64 s[0:1], s[0:1], s[2:3]
	s_andn2_b64 vcc, exec, s[0:1]
	s_cbranch_vccnz .LBB61_115
; %bb.5:
	s_load_dwordx2 s[0:1], s[4:5], 0x10
	s_load_dwordx2 s[2:3], s[4:5], 0x20
	s_ashr_i32 s7, s6, 31
	s_lshl_b64 s[8:9], s[6:7], 3
	s_waitcnt lgkmcnt(0)
	s_add_u32 s0, s0, s8
	s_addc_u32 s1, s1, s9
	s_load_dwordx4 s[36:39], s[0:1], 0x0
	s_load_dwordx2 s[40:41], s[4:5], 0x58
	s_load_dwordx8 s[24:31], s[4:5], 0x30
	s_waitcnt lgkmcnt(0)
	s_sub_u32 s0, s38, s36
	s_subb_u32 s1, s39, s37
	s_add_u32 s2, s2, s8
	s_addc_u32 s3, s3, s9
	s_lshl_b64 s[8:9], s[36:37], 3
	s_add_u32 s46, s24, s8
	s_addc_u32 s47, s25, s9
	s_load_dwordx2 s[42:43], s[2:3], 0x0
	s_load_dwordx2 s[44:45], s[46:47], 0x0
	v_cmp_lt_i64_e64 s[8:9], s[0:1], 2
	s_mov_b64 s[2:3], -1
	s_and_b64 vcc, exec, s[8:9]
	s_cbranch_vccz .LBB61_71
; %bb.6:
	s_cmp_lg_u64 s[0:1], 1
	s_cselect_b64 s[0:1], -1, 0
	s_waitcnt lgkmcnt(0)
	s_cmp_lg_u64 s[42:43], 0
	s_cselect_b64 s[2:3], -1, 0
	s_or_b64 s[0:1], s[0:1], s[2:3]
	s_mov_b64 s[18:19], -1
	s_and_b64 vcc, exec, s[0:1]
	v_cmp_gt_u32_e64 s[0:1], 64, v0
	v_cmp_gt_u32_e64 s[2:3], 32, v0
	;; [unrolled: 1-line block ×6, first 2 shown]
	v_cmp_eq_u32_e64 s[16:17], 0, v0
	s_cbranch_vccnz .LBB61_34
; %bb.7:
	v_subrev_co_u32_e32 v8, vcc, s50, v0
	v_cmp_neq_f32_e64 s[20:21], s34, 0
	v_subb_co_u32_e64 v9, s[18:19], 0, 0, vcc
	v_cndmask_b32_e64 v1, 0, 1, s[20:21]
	s_movk_i32 s18, 0x80
	v_cmp_ne_u32_e64 s[20:21], 1, v1
	v_mov_b32_e32 v1, s38
	v_mov_b32_e32 v7, 0
	v_lshlrev_b32_e32 v10, 2, v0
	v_cmp_gt_u32_e64 s[18:19], s18, v0
	v_mov_b32_e32 v2, s39
	s_mov_b64 s[52:53], s[36:37]
	s_branch .LBB61_10
.LBB61_8:                               ;   in Loop: Header=BB61_10 Depth=1
	s_lshl_b64 s[54:55], s[52:53], 2
	s_add_u32 s54, s40, s54
	s_addc_u32 s55, s41, s55
	s_waitcnt lgkmcnt(0)
	global_store_dword v7, v3, s[54:55]
.LBB61_9:                               ;   in Loop: Header=BB61_10 Depth=1
	s_or_b64 exec, exec, s[22:23]
	s_add_u32 s52, s52, 1
	s_addc_u32 s53, s53, 0
	v_cmp_ge_i64_e32 vcc, s[52:53], v[1:2]
	s_cbranch_vccnz .LBB61_33
.LBB61_10:                              ; =>This Loop Header: Depth=1
                                        ;     Child Loop BB61_12 Depth 2
	s_lshl_b64 s[22:23], s[52:53], 3
	s_add_u32 s22, s24, s22
	s_addc_u32 s23, s25, s23
	s_load_dwordx4 s[56:59], s[22:23], 0x0
	v_mov_b32_e32 v11, 0
	s_waitcnt lgkmcnt(0)
	s_sub_u32 s54, s58, s50
	v_mov_b32_e32 v4, s57
	v_add_co_u32_e32 v3, vcc, s56, v8
	s_subb_u32 s55, s59, 0
	v_addc_co_u32_e32 v4, vcc, v4, v9, vcc
	v_cmp_gt_i64_e32 vcc, s[54:55], v[3:4]
	s_and_saveexec_b64 s[56:57], vcc
	s_cbranch_execz .LBB61_14
; %bb.11:                               ;   in Loop: Header=BB61_10 Depth=1
	v_lshlrev_b64 v[5:6], 3, v[3:4]
	v_mov_b32_e32 v11, s27
	v_add_co_u32_e32 v5, vcc, s26, v5
	v_addc_co_u32_e32 v6, vcc, v11, v6, vcc
	v_mov_b32_e32 v11, 0
	s_mov_b64 s[58:59], 0
.LBB61_12:                              ;   Parent Loop BB61_10 Depth=1
                                        ; =>  This Inner Loop Header: Depth=2
	global_load_dwordx2 v[12:13], v[5:6], off
	v_mov_b32_e32 v15, s29
	v_add_co_u32_e32 v14, vcc, s28, v3
	v_addc_co_u32_e32 v15, vcc, v15, v4, vcc
	v_mov_b32_e32 v16, s31
	global_load_sbyte v14, v[14:15], off
	s_waitcnt vmcnt(1)
	v_subrev_co_u32_e32 v12, vcc, s50, v12
	v_subbrev_co_u32_e32 v13, vcc, 0, v13, vcc
	v_add_co_u32_e32 v12, vcc, s30, v12
	v_addc_co_u32_e32 v13, vcc, v16, v13, vcc
	global_load_sbyte v12, v[12:13], off
	s_waitcnt vmcnt(1)
	v_cvt_f32_i32_e32 v13, v14
	v_add_co_u32_e32 v3, vcc, 0x100, v3
	v_addc_co_u32_e32 v4, vcc, 0, v4, vcc
	v_cmp_le_i64_e64 s[22:23], s[54:55], v[3:4]
	v_add_co_u32_e32 v5, vcc, 0x800, v5
	v_mul_f32_e32 v13, s48, v13
	v_addc_co_u32_e32 v6, vcc, 0, v6, vcc
	s_or_b64 s[58:59], s[22:23], s[58:59]
	s_waitcnt vmcnt(0)
	v_cvt_f32_i32_e32 v12, v12
	v_fmac_f32_e32 v11, v13, v12
	s_andn2_b64 exec, exec, s[58:59]
	s_cbranch_execnz .LBB61_12
; %bb.13:                               ;   in Loop: Header=BB61_10 Depth=1
	s_or_b64 exec, exec, s[58:59]
.LBB61_14:                              ;   in Loop: Header=BB61_10 Depth=1
	s_or_b64 exec, exec, s[56:57]
	ds_write_b32 v10, v11
	s_waitcnt vmcnt(0) lgkmcnt(0)
	s_barrier
	s_and_saveexec_b64 s[22:23], s[18:19]
	s_cbranch_execz .LBB61_16
; %bb.15:                               ;   in Loop: Header=BB61_10 Depth=1
	ds_read2st64_b32 v[3:4], v10 offset1:2
	s_waitcnt lgkmcnt(0)
	v_add_f32_e32 v3, v3, v4
	ds_write_b32 v10, v3
.LBB61_16:                              ;   in Loop: Header=BB61_10 Depth=1
	s_or_b64 exec, exec, s[22:23]
	s_waitcnt lgkmcnt(0)
	s_barrier
	s_and_saveexec_b64 s[22:23], s[0:1]
	s_cbranch_execz .LBB61_18
; %bb.17:                               ;   in Loop: Header=BB61_10 Depth=1
	ds_read2st64_b32 v[3:4], v10 offset1:1
	s_waitcnt lgkmcnt(0)
	v_add_f32_e32 v3, v3, v4
	ds_write_b32 v10, v3
.LBB61_18:                              ;   in Loop: Header=BB61_10 Depth=1
	s_or_b64 exec, exec, s[22:23]
	s_waitcnt lgkmcnt(0)
	s_barrier
	s_and_saveexec_b64 s[22:23], s[2:3]
	s_cbranch_execz .LBB61_20
; %bb.19:                               ;   in Loop: Header=BB61_10 Depth=1
	ds_read2_b32 v[3:4], v10 offset1:32
	s_waitcnt lgkmcnt(0)
	v_add_f32_e32 v3, v3, v4
	ds_write_b32 v10, v3
.LBB61_20:                              ;   in Loop: Header=BB61_10 Depth=1
	s_or_b64 exec, exec, s[22:23]
	s_waitcnt lgkmcnt(0)
	s_barrier
	s_and_saveexec_b64 s[22:23], s[8:9]
	s_cbranch_execz .LBB61_22
; %bb.21:                               ;   in Loop: Header=BB61_10 Depth=1
	ds_read2_b32 v[3:4], v10 offset1:16
	s_waitcnt lgkmcnt(0)
	v_add_f32_e32 v3, v3, v4
	ds_write_b32 v10, v3
.LBB61_22:                              ;   in Loop: Header=BB61_10 Depth=1
	;; [unrolled: 11-line block ×5, first 2 shown]
	s_or_b64 exec, exec, s[22:23]
	s_waitcnt lgkmcnt(0)
	s_barrier
	s_and_saveexec_b64 s[22:23], s[16:17]
	s_cbranch_execz .LBB61_30
; %bb.29:                               ;   in Loop: Header=BB61_10 Depth=1
	ds_read_b64 v[3:4], v7
	s_waitcnt lgkmcnt(0)
	v_add_f32_e32 v3, v3, v4
	ds_write_b32 v7, v3
.LBB61_30:                              ;   in Loop: Header=BB61_10 Depth=1
	s_or_b64 exec, exec, s[22:23]
	s_waitcnt lgkmcnt(0)
	s_barrier
	s_and_saveexec_b64 s[22:23], s[16:17]
	s_cbranch_execz .LBB61_9
; %bb.31:                               ;   in Loop: Header=BB61_10 Depth=1
	ds_read_b32 v3, v7
	s_and_b64 vcc, exec, s[20:21]
	s_cbranch_vccnz .LBB61_8
; %bb.32:                               ;   in Loop: Header=BB61_10 Depth=1
	s_lshl_b64 s[54:55], s[52:53], 2
	s_add_u32 s54, s40, s54
	s_addc_u32 s55, s41, s55
	global_load_dword v4, v7, s[54:55]
	s_waitcnt vmcnt(0) lgkmcnt(0)
	v_fmac_f32_e32 v3, s34, v4
	s_branch .LBB61_8
.LBB61_33:
	s_mov_b64 s[18:19], 0
.LBB61_34:
	s_and_b64 vcc, exec, s[18:19]
	s_cbranch_vccz .LBB61_70
; %bb.35:
	s_load_dwordx2 s[8:9], s[4:5], 0x18
	s_sub_u32 s10, s6, s42
	s_subb_u32 s11, s7, s43
	s_lshl_b64 s[0:1], s[6:7], 2
	v_mov_b32_e32 v6, 0
	s_waitcnt lgkmcnt(0)
	s_add_u32 s6, s8, s0
	s_addc_u32 s7, s9, s1
	global_load_dword v5, v6, s[6:7]
	s_cmp_lg_u64 s[42:43], 0
	s_cselect_b64 s[12:13], -1, 0
	s_cmp_eq_u64 s[42:43], 0
	s_cselect_b64 s[2:3], -1, 0
	v_cmp_eq_u32_e64 s[0:1], 0, v0
	s_and_b64 s[14:15], s[0:1], s[2:3]
	s_and_saveexec_b64 s[2:3], s[14:15]
	s_cbranch_execz .LBB61_39
; %bb.36:
	s_lshl_b64 s[16:17], s[36:37], 2
	s_add_u32 s16, s40, s16
	s_addc_u32 s17, s41, s17
	v_mov_b32_e32 v3, 0
	global_load_dword v1, v3, s[16:17]
	s_mov_b64 s[14:15], exec
	v_mbcnt_lo_u32_b32 v4, s14, 0
	v_mbcnt_hi_u32_b32 v4, s15, v4
	v_add_f32_e64 v2, s34, -1.0
	v_cmp_eq_u32_e32 vcc, 0, v4
	s_waitcnt vmcnt(0) expcnt(0) lgkmcnt(0)
	s_and_saveexec_b64 s[16:17], vcc
	s_cbranch_execz .LBB61_38
; %bb.37:
	s_lshl_b64 s[18:19], s[10:11], 2
	s_add_u32 s18, s8, s18
	s_addc_u32 s19, s9, s19
	s_bcnt1_i32_b64 s14, s[14:15]
	s_and_b32 s14, s14, 1
	v_mov_b32_e32 v4, s14
	global_atomic_xor v3, v4, s[18:19]
.LBB61_38:
	s_or_b64 exec, exec, s[16:17]
	v_mul_f32_e32 v6, v2, v1
.LBB61_39:
	s_or_b64 exec, exec, s[2:3]
	s_mul_i32 s2, s43, 0xc00
	s_mul_hi_u32 s3, s42, 0xc00
	s_add_i32 s14, s3, s2
	s_load_dwordx2 s[2:3], s[46:47], 0x8
	s_sub_u32 s16, s44, s50
	s_mul_i32 s15, s42, 0xc00
	s_subb_u32 s17, s45, 0
	s_add_u32 s16, s16, s15
	s_addc_u32 s17, s17, s14
	s_waitcnt lgkmcnt(0)
	s_sub_u32 s2, s2, s50
	v_mov_b32_e32 v2, s17
	v_add_co_u32_e32 v1, vcc, s16, v0
	s_subb_u32 s3, s3, 0
	v_addc_co_u32_e32 v2, vcc, 0, v2, vcc
	v_cmp_gt_i64_e32 vcc, s[2:3], v[1:2]
	s_and_saveexec_b64 s[14:15], vcc
	s_cbranch_execz .LBB61_43
; %bb.40:
	s_add_u32 s16, s16, 0xc00
	v_mov_b32_e32 v4, s3
	s_addc_u32 s17, s17, 0
	v_mov_b32_e32 v3, s2
	v_cmp_lt_i64_e32 vcc, s[16:17], v[3:4]
	v_lshlrev_b64 v[3:4], 3, v[1:2]
	s_and_b64 s[18:19], vcc, exec
	v_mov_b32_e32 v7, s27
	v_add_co_u32_e32 v3, vcc, s26, v3
	s_cselect_b32 s17, s17, s3
	s_cselect_b32 s16, s16, s2
	v_addc_co_u32_e32 v4, vcc, v7, v4, vcc
	s_mov_b64 s[18:19], 0
	v_mov_b32_e32 v7, s29
	v_mov_b32_e32 v8, s31
.LBB61_41:                              ; =>This Inner Loop Header: Depth=1
	global_load_dwordx2 v[9:10], v[3:4], off
	v_add_co_u32_e32 v11, vcc, s28, v1
	v_addc_co_u32_e32 v12, vcc, v7, v2, vcc
	global_load_sbyte v11, v[11:12], off
	s_waitcnt vmcnt(1)
	v_subrev_co_u32_e32 v9, vcc, s50, v9
	v_subbrev_co_u32_e32 v10, vcc, 0, v10, vcc
	v_add_co_u32_e32 v9, vcc, s30, v9
	v_addc_co_u32_e32 v10, vcc, v8, v10, vcc
	global_load_sbyte v9, v[9:10], off
	s_waitcnt vmcnt(1)
	v_cvt_f32_i32_e32 v10, v11
	v_add_co_u32_e32 v1, vcc, 0x100, v1
	v_addc_co_u32_e32 v2, vcc, 0, v2, vcc
	v_cmp_le_i64_e64 s[2:3], s[16:17], v[1:2]
	v_add_co_u32_e32 v3, vcc, 0x800, v3
	v_mul_f32_e32 v10, s48, v10
	v_addc_co_u32_e32 v4, vcc, 0, v4, vcc
	s_or_b64 s[18:19], s[2:3], s[18:19]
	s_waitcnt vmcnt(0)
	v_cvt_f32_i32_e32 v9, v9
	v_fmac_f32_e32 v6, v10, v9
	s_andn2_b64 exec, exec, s[18:19]
	s_cbranch_execnz .LBB61_41
; %bb.42:
	s_or_b64 exec, exec, s[18:19]
.LBB61_43:
	s_or_b64 exec, exec, s[14:15]
	s_movk_i32 s2, 0x80
	v_lshlrev_b32_e32 v1, 2, v0
	v_cmp_gt_u32_e32 vcc, s2, v0
	ds_write_b32 v1, v6
	s_waitcnt vmcnt(0) lgkmcnt(0)
	s_barrier
	s_and_saveexec_b64 s[2:3], vcc
	s_cbranch_execz .LBB61_45
; %bb.44:
	ds_read2st64_b32 v[2:3], v1 offset1:2
	s_waitcnt lgkmcnt(0)
	v_add_f32_e32 v2, v2, v3
	ds_write_b32 v1, v2
.LBB61_45:
	s_or_b64 exec, exec, s[2:3]
	v_cmp_gt_u32_e32 vcc, 64, v0
	s_waitcnt lgkmcnt(0)
	s_barrier
	s_and_saveexec_b64 s[2:3], vcc
	s_cbranch_execz .LBB61_47
; %bb.46:
	ds_read2st64_b32 v[2:3], v1 offset1:1
	s_waitcnt lgkmcnt(0)
	v_add_f32_e32 v2, v2, v3
	ds_write_b32 v1, v2
.LBB61_47:
	s_or_b64 exec, exec, s[2:3]
	v_cmp_gt_u32_e32 vcc, 32, v0
	s_waitcnt lgkmcnt(0)
	s_barrier
	s_and_saveexec_b64 s[2:3], vcc
	s_cbranch_execz .LBB61_49
; %bb.48:
	ds_read2_b32 v[2:3], v1 offset1:32
	s_waitcnt lgkmcnt(0)
	v_add_f32_e32 v2, v2, v3
	ds_write_b32 v1, v2
.LBB61_49:
	s_or_b64 exec, exec, s[2:3]
	v_cmp_gt_u32_e32 vcc, 16, v0
	s_waitcnt lgkmcnt(0)
	s_barrier
	s_and_saveexec_b64 s[2:3], vcc
	s_cbranch_execz .LBB61_51
; %bb.50:
	ds_read2_b32 v[2:3], v1 offset1:16
	s_waitcnt lgkmcnt(0)
	v_add_f32_e32 v2, v2, v3
	ds_write_b32 v1, v2
.LBB61_51:
	;; [unrolled: 12-line block ×5, first 2 shown]
	s_or_b64 exec, exec, s[2:3]
	s_waitcnt lgkmcnt(0)
	s_barrier
	s_and_saveexec_b64 s[2:3], s[0:1]
	s_cbranch_execz .LBB61_59
; %bb.58:
	v_mov_b32_e32 v3, 0
	ds_read_b64 v[1:2], v3
	s_waitcnt lgkmcnt(0)
	v_add_f32_e32 v1, v1, v2
	ds_write_b32 v3, v1
.LBB61_59:
	s_or_b64 exec, exec, s[2:3]
	s_waitcnt lgkmcnt(0)
	s_barrier
	s_and_saveexec_b64 s[2:3], s[0:1]
	s_cbranch_execz .LBB61_69
; %bb.60:
	s_andn2_b64 vcc, exec, s[12:13]
	s_cbranch_vccnz .LBB61_66
; %bb.61:
	s_lshl_b64 s[0:1], s[10:11], 2
	s_add_u32 s0, s8, s0
	s_addc_u32 s1, s9, s1
	v_mov_b32_e32 v1, 0
	s_branch .LBB61_63
.LBB61_62:                              ;   in Loop: Header=BB61_63 Depth=1
	s_or_b64 exec, exec, s[8:9]
	s_waitcnt vmcnt(0)
	v_readfirstlane_b32 s8, v2
	v_cmp_eq_u32_e32 vcc, s8, v5
	s_cbranch_vccz .LBB61_65
.LBB61_63:                              ; =>This Inner Loop Header: Depth=1
	v_mbcnt_lo_u32_b32 v2, exec_lo, 0
	v_mbcnt_hi_u32_b32 v2, exec_hi, v2
	v_cmp_eq_u32_e32 vcc, 0, v2
                                        ; implicit-def: $vgpr2
	s_and_saveexec_b64 s[8:9], vcc
	s_cbranch_execz .LBB61_62
; %bb.64:                               ;   in Loop: Header=BB61_63 Depth=1
	global_load_dword v2, v1, s[0:1] glc
	s_branch .LBB61_62
.LBB61_65:
	v_mov_b32_e32 v1, 0
	global_load_ushort v2, v1, s[6:7]
	s_waitcnt vmcnt(0)
	v_xor_b32_e32 v2, 1, v2
	global_store_short v1, v2, s[6:7]
.LBB61_66:
	s_mov_b64 s[6:7], exec
	v_mbcnt_lo_u32_b32 v1, s6, 0
	v_mbcnt_hi_u32_b32 v1, s7, v1
	v_cmp_eq_u32_e32 vcc, 0, v1
	s_and_b64 s[0:1], exec, vcc
	s_mov_b64 exec, s[0:1]
	s_cbranch_execz .LBB61_69
; %bb.67:
	s_lshl_b64 s[0:1], s[36:37], 2
	s_add_u32 s0, s40, s0
	s_addc_u32 s1, s41, s1
	v_mov_b32_e32 v3, 0
	global_load_dword v2, v3, s[0:1]
	ds_read_b32 v1, v3
	s_bcnt1_i32_b64 s6, s[6:7]
	v_cvt_f32_ubyte0_e32 v4, s6
	s_mov_b64 s[6:7], 0
	s_waitcnt lgkmcnt(0)
	v_mul_f32_e32 v4, v1, v4
.LBB61_68:                              ; =>This Inner Loop Header: Depth=1
	s_waitcnt vmcnt(0)
	v_add_f32_e32 v1, v2, v4
	global_atomic_cmpswap v1, v3, v[1:2], s[0:1] glc
	s_waitcnt vmcnt(0)
	v_cmp_eq_u32_e32 vcc, v1, v2
	s_or_b64 s[6:7], vcc, s[6:7]
	v_mov_b32_e32 v2, v1
	s_andn2_b64 exec, exec, s[6:7]
	s_cbranch_execnz .LBB61_68
.LBB61_69:
	s_or_b64 exec, exec, s[2:3]
.LBB61_70:
	s_mov_b64 s[2:3], 0
.LBB61_71:
	s_andn2_b64 vcc, exec, s[2:3]
	s_cbranch_vccnz .LBB61_115
; %bb.72:
	s_load_dwordx2 s[0:1], s[4:5], 0x8
	v_subrev_co_u32_e32 v1, vcc, s50, v0
	v_subb_co_u32_e64 v2, s[2:3], 0, 0, vcc
	s_waitcnt lgkmcnt(0)
	v_mov_b32_e32 v3, s45
	v_add_co_u32_e32 v1, vcc, s44, v1
	v_addc_co_u32_e32 v2, vcc, v3, v2, vcc
	v_add_co_u32_e32 v3, vcc, 0x300, v1
	v_addc_co_u32_e32 v4, vcc, 0, v2, vcc
	v_cmp_le_i64_e32 vcc, s[0:1], v[3:4]
	s_and_saveexec_b64 s[0:1], vcc
	s_xor_b64 s[0:1], exec, s[0:1]
	s_cbranch_execz .LBB61_77
; %bb.73:
	s_lshl_b64 s[2:3], s[38:39], 3
	s_add_u32 s2, s24, s2
	s_addc_u32 s3, s25, s3
	s_load_dwordx2 s[2:3], s[2:3], 0x0
	s_waitcnt lgkmcnt(0)
	s_sub_u32 s2, s2, s50
	s_subb_u32 s3, s3, 0
	v_cmp_gt_i64_e32 vcc, s[2:3], v[1:2]
	s_and_saveexec_b64 s[4:5], vcc
	s_cbranch_execz .LBB61_76
; %bb.74:
	v_lshlrev_b64 v[3:4], 3, v[1:2]
	v_mov_b32_e32 v6, s27
	v_add_co_u32_e32 v3, vcc, s26, v3
	v_lshlrev_b32_e32 v5, 2, v0
	v_addc_co_u32_e32 v4, vcc, v6, v4, vcc
	s_mov_b64 s[6:7], 0
	v_mov_b32_e32 v6, s29
	v_mov_b32_e32 v7, s31
.LBB61_75:                              ; =>This Inner Loop Header: Depth=1
	global_load_dwordx2 v[8:9], v[3:4], off
	v_add_co_u32_e32 v10, vcc, s28, v1
	v_addc_co_u32_e32 v11, vcc, v6, v2, vcc
	global_load_sbyte v10, v[10:11], off
	s_waitcnt vmcnt(1)
	v_subrev_co_u32_e32 v8, vcc, s50, v8
	v_subbrev_co_u32_e32 v9, vcc, 0, v9, vcc
	v_add_co_u32_e32 v8, vcc, s30, v8
	v_addc_co_u32_e32 v9, vcc, v7, v9, vcc
	global_load_sbyte v8, v[8:9], off
	v_add_co_u32_e32 v1, vcc, 0x100, v1
	s_waitcnt vmcnt(1)
	v_cvt_f32_i32_e32 v9, v10
	v_addc_co_u32_e32 v2, vcc, 0, v2, vcc
	v_add_co_u32_e32 v3, vcc, 0x800, v3
	v_addc_co_u32_e32 v4, vcc, 0, v4, vcc
	v_cmp_le_i64_e32 vcc, s[2:3], v[1:2]
	v_mul_f32_e32 v9, s48, v9
	s_or_b64 s[6:7], vcc, s[6:7]
	s_waitcnt vmcnt(0)
	v_cvt_f32_i32_e32 v8, v8
	v_mul_f32_e32 v8, v9, v8
	ds_write_b32 v5, v8
	v_add_u32_e32 v5, 0x400, v5
	s_andn2_b64 exec, exec, s[6:7]
	s_cbranch_execnz .LBB61_75
.LBB61_76:
	s_or_b64 exec, exec, s[4:5]
                                        ; implicit-def: $vgpr1
.LBB61_77:
	s_or_saveexec_b64 s[0:1], s[0:1]
	v_lshlrev_b32_e32 v9, 2, v0
	s_xor_b64 exec, exec, s[0:1]
	s_cbranch_execz .LBB61_79
; %bb.78:
	v_lshlrev_b64 v[3:4], 3, v[1:2]
	v_mov_b32_e32 v5, s27
	v_add_co_u32_e32 v3, vcc, s26, v3
	v_addc_co_u32_e32 v4, vcc, v5, v4, vcc
	global_load_dwordx2 v[5:6], v[3:4], off
	global_load_dwordx2 v[7:8], v[3:4], off offset:2048
	s_movk_i32 s2, 0x1000
	v_add_co_u32_e32 v3, vcc, s2, v3
	v_addc_co_u32_e32 v4, vcc, 0, v4, vcc
	global_load_dwordx2 v[10:11], v[3:4], off
	global_load_dwordx2 v[12:13], v[3:4], off offset:2048
	v_mov_b32_e32 v3, s29
	v_add_co_u32_e32 v1, vcc, s28, v1
	v_addc_co_u32_e32 v2, vcc, v3, v2, vcc
	global_load_sbyte v17, v[1:2], off
	global_load_sbyte v18, v[1:2], off offset:256
	global_load_sbyte v19, v[1:2], off offset:512
	;; [unrolled: 1-line block ×3, first 2 shown]
	v_mov_b32_e32 v4, s31
	v_mov_b32_e32 v14, s31
	;; [unrolled: 1-line block ×4, first 2 shown]
	s_waitcnt vmcnt(7)
	v_subrev_co_u32_e32 v1, vcc, s50, v5
	v_subbrev_co_u32_e32 v2, vcc, 0, v6, vcc
	s_waitcnt vmcnt(6)
	v_subrev_co_u32_e32 v3, vcc, s50, v7
	v_subbrev_co_u32_e32 v5, vcc, 0, v8, vcc
	v_add_co_u32_e32 v1, vcc, s30, v1
	v_addc_co_u32_e32 v2, vcc, v4, v2, vcc
	v_add_co_u32_e32 v3, vcc, s30, v3
	v_addc_co_u32_e32 v4, vcc, v14, v5, vcc
	s_waitcnt vmcnt(5)
	v_subrev_co_u32_e32 v5, vcc, s50, v10
	v_subbrev_co_u32_e32 v6, vcc, 0, v11, vcc
	s_waitcnt vmcnt(4)
	v_subrev_co_u32_e32 v7, vcc, s50, v12
	v_subbrev_co_u32_e32 v8, vcc, 0, v13, vcc
	global_load_sbyte v10, v[1:2], off
	global_load_sbyte v11, v[3:4], off
	v_add_co_u32_e32 v1, vcc, s30, v5
	v_addc_co_u32_e32 v2, vcc, v15, v6, vcc
	v_add_co_u32_e32 v3, vcc, s30, v7
	v_addc_co_u32_e32 v4, vcc, v16, v8, vcc
	global_load_sbyte v5, v[1:2], off
	global_load_sbyte v6, v[3:4], off
	s_waitcnt vmcnt(7)
	v_cvt_f32_i32_e32 v1, v17
	s_waitcnt vmcnt(6)
	v_cvt_f32_i32_e32 v2, v18
	;; [unrolled: 2-line block ×4, first 2 shown]
	v_mul_f32_e32 v1, s48, v1
	v_mul_f32_e32 v2, s48, v2
	;; [unrolled: 1-line block ×4, first 2 shown]
	s_waitcnt vmcnt(3)
	v_cvt_f32_i32_e32 v7, v10
	s_waitcnt vmcnt(2)
	v_cvt_f32_i32_e32 v8, v11
	v_mul_f32_e32 v1, v1, v7
	v_mul_f32_e32 v2, v2, v8
	ds_write2st64_b32 v9, v1, v2 offset1:4
	s_waitcnt vmcnt(1)
	v_cvt_f32_i32_e32 v5, v5
	s_waitcnt vmcnt(0)
	v_cvt_f32_i32_e32 v6, v6
	v_mul_f32_e32 v1, v3, v5
	v_mul_f32_e32 v2, v4, v6
	ds_write2st64_b32 v9, v1, v2 offset0:8 offset1:12
.LBB61_79:
	s_or_b64 exec, exec, s[0:1]
	v_cmp_lt_i64_e64 s[2:3], s[42:43], 2
	s_mov_b64 s[0:1], -1
	s_and_b64 vcc, exec, s[2:3]
	s_waitcnt vmcnt(0) lgkmcnt(0)
	s_barrier
	s_cbranch_vccz .LBB61_90
; %bb.80:
	v_mov_b32_e32 v1, s37
	v_add_co_u32_e32 v5, vcc, s36, v0
	v_addc_co_u32_e32 v6, vcc, 0, v1, vcc
	v_cmp_gt_i64_e32 vcc, s[38:39], v[5:6]
	s_and_saveexec_b64 s[2:3], vcc
	s_cbranch_execz .LBB61_89
; %bb.81:
	s_lshl_b32 s0, s44, 2
	v_cmp_neq_f32_e64 s[4:5], s34, 0
	s_sub_i32 s10, 0, s0
	s_mov_b64 s[6:7], 0
	v_mov_b32_e32 v10, s25
	v_mov_b32_e32 v11, s41
	s_branch .LBB61_83
.LBB61_82:                              ;   in Loop: Header=BB61_83 Depth=1
	v_add_co_u32_e32 v5, vcc, 0x100, v5
	v_addc_co_u32_e32 v6, vcc, 0, v6, vcc
	v_cmp_le_i64_e32 vcc, s[38:39], v[5:6]
	v_add_co_u32_e64 v1, s[0:1], s40, v1
	v_addc_co_u32_e64 v2, s[0:1], v11, v2, s[0:1]
	s_or_b64 s[6:7], vcc, s[6:7]
	global_store_dword v[1:2], v12, off
	s_andn2_b64 exec, exec, s[6:7]
	s_cbranch_execz .LBB61_89
.LBB61_83:                              ; =>This Loop Header: Depth=1
                                        ;     Child Loop BB61_85 Depth 2
	v_lshlrev_b64 v[1:2], 3, v[5:6]
	v_mov_b32_e32 v12, 0
	v_add_co_u32_e32 v1, vcc, s24, v1
	v_addc_co_u32_e32 v2, vcc, v10, v2, vcc
	global_load_dwordx4 v[1:4], v[1:2], off
	s_waitcnt vmcnt(0)
	v_cmp_lt_i64_e32 vcc, v[1:2], v[3:4]
	s_and_saveexec_b64 s[0:1], vcc
	s_cbranch_execz .LBB61_87
; %bb.84:                               ;   in Loop: Header=BB61_83 Depth=1
	v_mov_b32_e32 v7, s45
	v_subrev_co_u32_e32 v3, vcc, s44, v3
	v_subb_co_u32_e32 v4, vcc, v4, v7, vcc
	v_mov_b32_e32 v8, s45
	v_subrev_co_u32_e32 v7, vcc, s44, v1
	v_subb_co_u32_e32 v8, vcc, v2, v8, vcc
	v_lshl_add_u32 v1, v1, 2, s10
	v_mov_b32_e32 v12, 0
	s_mov_b64 s[8:9], 0
.LBB61_85:                              ;   Parent Loop BB61_83 Depth=1
                                        ; =>  This Inner Loop Header: Depth=2
	ds_read_b32 v2, v1
	v_add_co_u32_e32 v7, vcc, 1, v7
	v_addc_co_u32_e32 v8, vcc, 0, v8, vcc
	v_cmp_ge_i64_e32 vcc, v[7:8], v[3:4]
	v_add_u32_e32 v1, 4, v1
	s_or_b64 s[8:9], vcc, s[8:9]
	s_waitcnt lgkmcnt(0)
	v_add_f32_e32 v12, v12, v2
	s_andn2_b64 exec, exec, s[8:9]
	s_cbranch_execnz .LBB61_85
; %bb.86:                               ;   in Loop: Header=BB61_83 Depth=1
	s_or_b64 exec, exec, s[8:9]
.LBB61_87:                              ;   in Loop: Header=BB61_83 Depth=1
	s_or_b64 exec, exec, s[0:1]
	v_lshlrev_b64 v[1:2], 2, v[5:6]
	s_and_b64 vcc, exec, s[4:5]
	s_cbranch_vccz .LBB61_82
; %bb.88:                               ;   in Loop: Header=BB61_83 Depth=1
	v_mov_b32_e32 v4, s41
	v_add_co_u32_e32 v3, vcc, s40, v1
	v_addc_co_u32_e32 v4, vcc, v4, v2, vcc
	global_load_dword v3, v[3:4], off
	s_waitcnt vmcnt(0)
	v_fmac_f32_e32 v12, s34, v3
	s_branch .LBB61_82
.LBB61_89:
	s_or_b64 exec, exec, s[2:3]
	s_mov_b64 s[0:1], 0
.LBB61_90:
	s_andn2_b64 vcc, exec, s[0:1]
	s_cbranch_vccnz .LBB61_115
; %bb.91:
	s_flbit_i32_b32 s0, s42
	s_min_u32 s0, s0, 32
	s_sub_i32 s0, 31, s0
	v_lshrrev_b32_e32 v5, s0, v0
	v_mov_b32_e32 v2, s37
	v_add_co_u32_e32 v1, vcc, s36, v5
	v_addc_co_u32_e32 v2, vcc, 0, v2, vcc
	s_add_i32 s0, s42, -1
	v_mov_b32_e32 v4, 0
	v_and_b32_e32 v3, s0, v0
	v_cmp_le_i64_e64 s[0:1], s[38:39], v[1:2]
	v_cmp_gt_i64_e32 vcc, s[38:39], v[1:2]
	v_mov_b32_e32 v0, v4
	s_and_saveexec_b64 s[2:3], vcc
	s_cbranch_execz .LBB61_97
; %bb.92:
	v_lshlrev_b32_e32 v0, 3, v5
	global_load_dwordx4 v[10:13], v0, s[46:47]
	v_mov_b32_e32 v5, s45
	v_subrev_co_u32_e32 v7, vcc, s44, v3
	v_subb_co_u32_e32 v8, vcc, 0, v5, vcc
	v_mov_b32_e32 v0, s45
	s_waitcnt vmcnt(0)
	v_subrev_co_u32_e32 v5, vcc, s44, v12
	v_subb_co_u32_e32 v6, vcc, v13, v0, vcc
	v_add_co_u32_e32 v7, vcc, v10, v7
	v_addc_co_u32_e32 v8, vcc, v11, v8, vcc
	v_cmp_lt_i64_e32 vcc, v[7:8], v[5:6]
	v_mov_b32_e32 v0, 0
	s_and_saveexec_b64 s[4:5], vcc
	s_cbranch_execz .LBB61_96
; %bb.93:
	v_lshlrev_b32_e32 v10, 2, v7
	s_lshl_b32 s8, s42, 2
	v_mov_b32_e32 v0, 0
	s_mov_b64 s[6:7], 0
	v_mov_b32_e32 v11, s43
.LBB61_94:                              ; =>This Inner Loop Header: Depth=1
	ds_read_b32 v12, v10
	v_add_co_u32_e32 v7, vcc, s42, v7
	v_addc_co_u32_e32 v8, vcc, v8, v11, vcc
	v_cmp_ge_i64_e32 vcc, v[7:8], v[5:6]
	v_add_u32_e32 v10, s8, v10
	s_or_b64 s[6:7], vcc, s[6:7]
	s_waitcnt lgkmcnt(0)
	v_add_f32_e32 v0, v0, v12
	s_andn2_b64 exec, exec, s[6:7]
	s_cbranch_execnz .LBB61_94
; %bb.95:
	s_or_b64 exec, exec, s[6:7]
.LBB61_96:
	s_or_b64 exec, exec, s[4:5]
.LBB61_97:
	s_or_b64 exec, exec, s[2:3]
	v_mov_b32_e32 v5, 0x81
	v_mov_b32_e32 v6, 0
	v_cmp_lt_u64_e32 vcc, s[42:43], v[5:6]
	s_and_b64 vcc, exec, vcc
	s_waitcnt vmcnt(0)
	s_barrier
	ds_write_b32 v9, v0
	s_waitcnt lgkmcnt(0)
	s_barrier
	s_cbranch_vccnz .LBB61_99
; %bb.98:
	ds_read_b32 v5, v9 offset:512
	s_waitcnt lgkmcnt(0)
	s_barrier
	v_add_f32_e32 v0, v0, v5
	ds_write_b32 v9, v0
.LBB61_99:
	v_mov_b32_e32 v5, 0x41
	v_mov_b32_e32 v6, 0
	v_cmp_lt_u64_e32 vcc, s[42:43], v[5:6]
	s_waitcnt lgkmcnt(0)
	s_barrier
	s_cbranch_vccnz .LBB61_101
; %bb.100:
	ds_read_b32 v5, v9 offset:256
	s_waitcnt lgkmcnt(0)
	s_barrier
	v_add_f32_e32 v0, v0, v5
	ds_write_b32 v9, v0
.LBB61_101:
	v_cmp_lt_u64_e64 s[2:3], s[42:43], 33
	s_waitcnt lgkmcnt(0)
	s_and_b64 vcc, exec, s[2:3]
	s_barrier
	s_cbranch_vccnz .LBB61_103
; %bb.102:
	ds_read_b32 v5, v9 offset:128
	s_waitcnt lgkmcnt(0)
	s_barrier
	v_add_f32_e32 v0, v0, v5
	ds_write_b32 v9, v0
.LBB61_103:
	v_cmp_lt_u64_e64 s[2:3], s[42:43], 17
	s_waitcnt lgkmcnt(0)
	s_and_b64 vcc, exec, s[2:3]
	;; [unrolled: 12-line block ×4, first 2 shown]
	s_barrier
	s_cbranch_vccnz .LBB61_109
; %bb.108:
	ds_read_b32 v5, v9 offset:16
	s_waitcnt lgkmcnt(0)
	s_barrier
	v_add_f32_e32 v0, v0, v5
	ds_write_b32 v9, v0
.LBB61_109:
	s_cmp_eq_u64 s[42:43], 2
	s_waitcnt lgkmcnt(0)
	s_barrier
	s_cbranch_scc1 .LBB61_111
; %bb.110:
	ds_read_b32 v5, v9 offset:8
	s_waitcnt lgkmcnt(0)
	s_barrier
	v_add_f32_e32 v0, v0, v5
	ds_write_b32 v9, v0
.LBB61_111:
	s_waitcnt lgkmcnt(0)
	s_barrier
	ds_read_b32 v5, v9 offset:4
	v_cmp_eq_u64_e32 vcc, 0, v[3:4]
	s_xor_b64 s[0:1], s[0:1], -1
	s_and_b64 s[0:1], vcc, s[0:1]
	s_waitcnt lgkmcnt(0)
	v_add_f32_e32 v5, v0, v5
	s_barrier
	ds_write_b32 v9, v5
	s_and_saveexec_b64 s[2:3], s[0:1]
	s_cbranch_execz .LBB61_115
; %bb.112:
	v_cmp_eq_f32_e64 s[0:1], s34, 0
	v_lshlrev_b64 v[0:1], 2, v[1:2]
	s_and_b64 vcc, exec, s[0:1]
	s_cbranch_vccnz .LBB61_114
; %bb.113:
	v_mov_b32_e32 v3, s41
	v_add_co_u32_e32 v2, vcc, s40, v0
	v_addc_co_u32_e32 v3, vcc, v3, v1, vcc
	global_load_dword v2, v[2:3], off
	s_waitcnt vmcnt(0)
	v_fmac_f32_e32 v5, s34, v2
.LBB61_114:
	v_mov_b32_e32 v2, s41
	v_add_co_u32_e32 v0, vcc, s40, v0
	v_addc_co_u32_e32 v1, vcc, v2, v1, vcc
	global_store_dword v[0:1], v5, off
.LBB61_115:
	s_endpgm
	.section	.rodata,"a",@progbits
	.p2align	6, 0x0
	.amdhsa_kernel _ZN9rocsparseL22csrmvn_adaptive_kernelIllaaffEEvbT_PKS1_PjPKT0_NS_24const_host_device_scalarIT4_EES3_S7_PKT1_PKT2_SA_PT3_21rocsparse_index_base_b
		.amdhsa_group_segment_fixed_size 4096
		.amdhsa_private_segment_fixed_size 0
		.amdhsa_kernarg_size 104
		.amdhsa_user_sgpr_count 6
		.amdhsa_user_sgpr_private_segment_buffer 1
		.amdhsa_user_sgpr_dispatch_ptr 0
		.amdhsa_user_sgpr_queue_ptr 0
		.amdhsa_user_sgpr_kernarg_segment_ptr 1
		.amdhsa_user_sgpr_dispatch_id 0
		.amdhsa_user_sgpr_flat_scratch_init 0
		.amdhsa_user_sgpr_private_segment_size 0
		.amdhsa_uses_dynamic_stack 0
		.amdhsa_system_sgpr_private_segment_wavefront_offset 0
		.amdhsa_system_sgpr_workgroup_id_x 1
		.amdhsa_system_sgpr_workgroup_id_y 0
		.amdhsa_system_sgpr_workgroup_id_z 0
		.amdhsa_system_sgpr_workgroup_info 0
		.amdhsa_system_vgpr_workitem_id 0
		.amdhsa_next_free_vgpr 21
		.amdhsa_next_free_sgpr 60
		.amdhsa_reserve_vcc 1
		.amdhsa_reserve_flat_scratch 0
		.amdhsa_float_round_mode_32 0
		.amdhsa_float_round_mode_16_64 0
		.amdhsa_float_denorm_mode_32 3
		.amdhsa_float_denorm_mode_16_64 3
		.amdhsa_dx10_clamp 1
		.amdhsa_ieee_mode 1
		.amdhsa_fp16_overflow 0
		.amdhsa_exception_fp_ieee_invalid_op 0
		.amdhsa_exception_fp_denorm_src 0
		.amdhsa_exception_fp_ieee_div_zero 0
		.amdhsa_exception_fp_ieee_overflow 0
		.amdhsa_exception_fp_ieee_underflow 0
		.amdhsa_exception_fp_ieee_inexact 0
		.amdhsa_exception_int_div_zero 0
	.end_amdhsa_kernel
	.section	.text._ZN9rocsparseL22csrmvn_adaptive_kernelIllaaffEEvbT_PKS1_PjPKT0_NS_24const_host_device_scalarIT4_EES3_S7_PKT1_PKT2_SA_PT3_21rocsparse_index_base_b,"axG",@progbits,_ZN9rocsparseL22csrmvn_adaptive_kernelIllaaffEEvbT_PKS1_PjPKT0_NS_24const_host_device_scalarIT4_EES3_S7_PKT1_PKT2_SA_PT3_21rocsparse_index_base_b,comdat
.Lfunc_end61:
	.size	_ZN9rocsparseL22csrmvn_adaptive_kernelIllaaffEEvbT_PKS1_PjPKT0_NS_24const_host_device_scalarIT4_EES3_S7_PKT1_PKT2_SA_PT3_21rocsparse_index_base_b, .Lfunc_end61-_ZN9rocsparseL22csrmvn_adaptive_kernelIllaaffEEvbT_PKS1_PjPKT0_NS_24const_host_device_scalarIT4_EES3_S7_PKT1_PKT2_SA_PT3_21rocsparse_index_base_b
                                        ; -- End function
	.set _ZN9rocsparseL22csrmvn_adaptive_kernelIllaaffEEvbT_PKS1_PjPKT0_NS_24const_host_device_scalarIT4_EES3_S7_PKT1_PKT2_SA_PT3_21rocsparse_index_base_b.num_vgpr, 21
	.set _ZN9rocsparseL22csrmvn_adaptive_kernelIllaaffEEvbT_PKS1_PjPKT0_NS_24const_host_device_scalarIT4_EES3_S7_PKT1_PKT2_SA_PT3_21rocsparse_index_base_b.num_agpr, 0
	.set _ZN9rocsparseL22csrmvn_adaptive_kernelIllaaffEEvbT_PKS1_PjPKT0_NS_24const_host_device_scalarIT4_EES3_S7_PKT1_PKT2_SA_PT3_21rocsparse_index_base_b.numbered_sgpr, 60
	.set _ZN9rocsparseL22csrmvn_adaptive_kernelIllaaffEEvbT_PKS1_PjPKT0_NS_24const_host_device_scalarIT4_EES3_S7_PKT1_PKT2_SA_PT3_21rocsparse_index_base_b.num_named_barrier, 0
	.set _ZN9rocsparseL22csrmvn_adaptive_kernelIllaaffEEvbT_PKS1_PjPKT0_NS_24const_host_device_scalarIT4_EES3_S7_PKT1_PKT2_SA_PT3_21rocsparse_index_base_b.private_seg_size, 0
	.set _ZN9rocsparseL22csrmvn_adaptive_kernelIllaaffEEvbT_PKS1_PjPKT0_NS_24const_host_device_scalarIT4_EES3_S7_PKT1_PKT2_SA_PT3_21rocsparse_index_base_b.uses_vcc, 1
	.set _ZN9rocsparseL22csrmvn_adaptive_kernelIllaaffEEvbT_PKS1_PjPKT0_NS_24const_host_device_scalarIT4_EES3_S7_PKT1_PKT2_SA_PT3_21rocsparse_index_base_b.uses_flat_scratch, 0
	.set _ZN9rocsparseL22csrmvn_adaptive_kernelIllaaffEEvbT_PKS1_PjPKT0_NS_24const_host_device_scalarIT4_EES3_S7_PKT1_PKT2_SA_PT3_21rocsparse_index_base_b.has_dyn_sized_stack, 0
	.set _ZN9rocsparseL22csrmvn_adaptive_kernelIllaaffEEvbT_PKS1_PjPKT0_NS_24const_host_device_scalarIT4_EES3_S7_PKT1_PKT2_SA_PT3_21rocsparse_index_base_b.has_recursion, 0
	.set _ZN9rocsparseL22csrmvn_adaptive_kernelIllaaffEEvbT_PKS1_PjPKT0_NS_24const_host_device_scalarIT4_EES3_S7_PKT1_PKT2_SA_PT3_21rocsparse_index_base_b.has_indirect_call, 0
	.section	.AMDGPU.csdata,"",@progbits
; Kernel info:
; codeLenInByte = 3956
; TotalNumSgprs: 64
; NumVgprs: 21
; ScratchSize: 0
; MemoryBound: 0
; FloatMode: 240
; IeeeMode: 1
; LDSByteSize: 4096 bytes/workgroup (compile time only)
; SGPRBlocks: 7
; VGPRBlocks: 5
; NumSGPRsForWavesPerEU: 64
; NumVGPRsForWavesPerEU: 21
; Occupancy: 10
; WaveLimiterHint : 1
; COMPUTE_PGM_RSRC2:SCRATCH_EN: 0
; COMPUTE_PGM_RSRC2:USER_SGPR: 6
; COMPUTE_PGM_RSRC2:TRAP_HANDLER: 0
; COMPUTE_PGM_RSRC2:TGID_X_EN: 1
; COMPUTE_PGM_RSRC2:TGID_Y_EN: 0
; COMPUTE_PGM_RSRC2:TGID_Z_EN: 0
; COMPUTE_PGM_RSRC2:TIDIG_COMP_CNT: 0
	.section	.text._ZN9rocsparseL27csrmvn_symm_adaptive_kernelIllaaffEEvbT_S1_PKS1_NS_24const_host_device_scalarIT4_EES3_PKT0_PKT1_PKT2_S6_PT3_21rocsparse_index_base_b,"axG",@progbits,_ZN9rocsparseL27csrmvn_symm_adaptive_kernelIllaaffEEvbT_S1_PKS1_NS_24const_host_device_scalarIT4_EES3_PKT0_PKT1_PKT2_S6_PT3_21rocsparse_index_base_b,comdat
	.globl	_ZN9rocsparseL27csrmvn_symm_adaptive_kernelIllaaffEEvbT_S1_PKS1_NS_24const_host_device_scalarIT4_EES3_PKT0_PKT1_PKT2_S6_PT3_21rocsparse_index_base_b ; -- Begin function _ZN9rocsparseL27csrmvn_symm_adaptive_kernelIllaaffEEvbT_S1_PKS1_NS_24const_host_device_scalarIT4_EES3_PKT0_PKT1_PKT2_S6_PT3_21rocsparse_index_base_b
	.p2align	8
	.type	_ZN9rocsparseL27csrmvn_symm_adaptive_kernelIllaaffEEvbT_S1_PKS1_NS_24const_host_device_scalarIT4_EES3_PKT0_PKT1_PKT2_S6_PT3_21rocsparse_index_base_b,@function
_ZN9rocsparseL27csrmvn_symm_adaptive_kernelIllaaffEEvbT_S1_PKS1_NS_24const_host_device_scalarIT4_EES3_PKT0_PKT1_PKT2_S6_PT3_21rocsparse_index_base_b: ; @_ZN9rocsparseL27csrmvn_symm_adaptive_kernelIllaaffEEvbT_S1_PKS1_NS_24const_host_device_scalarIT4_EES3_PKT0_PKT1_PKT2_S6_PT3_21rocsparse_index_base_b
; %bb.0:
	s_load_dwordx2 s[30:31], s[4:5], 0x58
	s_load_dwordx2 s[38:39], s[4:5], 0x20
	;; [unrolled: 1-line block ×3, first 2 shown]
	s_waitcnt lgkmcnt(0)
	s_bitcmp1_b32 s31, 0
	s_cselect_b64 s[8:9], -1, 0
	s_xor_b64 s[2:3], s[8:9], -1
	s_and_b64 vcc, exec, s[8:9]
	s_cbranch_vccnz .LBB62_2
; %bb.1:
	s_load_dword s38, s[38:39], 0x0
.LBB62_2:
	s_andn2_b64 vcc, exec, s[2:3]
	s_cbranch_vccnz .LBB62_4
; %bb.3:
	s_load_dword s0, s[0:1], 0x0
.LBB62_4:
	s_waitcnt lgkmcnt(0)
	v_cmp_neq_f32_e64 s[2:3], s38, 0
	v_cmp_neq_f32_e64 s[0:1], s0, 1.0
	s_or_b64 s[0:1], s[2:3], s[0:1]
	s_andn2_b64 vcc, exec, s[0:1]
	s_cbranch_vccnz .LBB62_154
; %bb.5:
	s_load_dwordx2 s[0:1], s[4:5], 0x18
	s_ashr_i32 s7, s6, 31
	s_lshl_b64 s[2:3], s[6:7], 3
	v_lshlrev_b32_e32 v14, 2, v0
	v_mov_b32_e32 v1, 0
	s_waitcnt lgkmcnt(0)
	s_add_u32 s0, s0, s2
	s_addc_u32 s1, s1, s3
	ds_write2st64_b32 v14, v1, v1 offset1:4
	ds_write2st64_b32 v14, v1, v1 offset0:8 offset1:12
	s_waitcnt lgkmcnt(0)
	s_barrier
	s_load_dwordx4 s[24:27], s[0:1], 0x0
	s_load_dwordx8 s[16:23], s[4:5], 0x28
	s_load_dwordx2 s[14:15], s[4:5], 0x50
	s_mov_b64 s[0:1], -1
	s_waitcnt lgkmcnt(0)
	s_sub_u32 s28, s26, s24
	s_subb_u32 s29, s27, s25
	v_cmp_gt_i64_e64 s[2:3], s[28:29], 2
	s_and_b64 vcc, exec, s[2:3]
	s_cbranch_vccnz .LBB62_38
; %bb.6:
	v_mov_b32_e32 v1, s24
	v_mov_b32_e32 v2, s25
	v_cmp_le_i64_e32 vcc, s[26:27], v[1:2]
	v_subrev_co_u32_e64 v7, s[0:1], s30, v0
	v_subb_co_u32_e64 v8, s[0:1], 0, 0, s[0:1]
	s_cbranch_vccnz .LBB62_27
; %bb.7:
	s_movk_i32 s0, 0x100
	v_mov_b32_e32 v1, s26
	v_cmp_gt_u32_e64 s[0:1], s0, v0
	v_cmp_gt_u32_e64 s[2:3], 64, v0
	;; [unrolled: 1-line block ×4, first 2 shown]
	v_cmp_eq_u32_e64 s[10:11], 0, v0
	v_mov_b32_e32 v9, 0
	v_mov_b32_e32 v2, s27
	s_mov_b64 s[34:35], s[24:25]
	s_branch .LBB62_9
.LBB62_8:                               ;   in Loop: Header=BB62_9 Depth=1
	s_or_b64 exec, exec, s[12:13]
	s_add_u32 s34, s34, 1
	s_addc_u32 s35, s35, 0
	v_cmp_ge_i64_e32 vcc, s[34:35], v[1:2]
	s_cbranch_vccnz .LBB62_27
.LBB62_9:                               ; =>This Loop Header: Depth=1
                                        ;     Child Loop BB62_11 Depth 2
                                        ;     Child Loop BB62_26 Depth 2
	s_lshl_b64 s[12:13], s[34:35], 3
	s_add_u32 s12, s16, s12
	s_addc_u32 s13, s17, s13
	s_load_dwordx4 s[40:43], s[12:13], 0x0
	v_mov_b32_e32 v10, 0
	s_waitcnt lgkmcnt(0)
	s_sub_u32 s36, s42, s30
	v_mov_b32_e32 v4, s41
	v_add_co_u32_e32 v3, vcc, s40, v7
	s_subb_u32 s37, s43, 0
	v_addc_co_u32_e32 v4, vcc, v4, v8, vcc
	v_cmp_gt_i64_e32 vcc, s[36:37], v[3:4]
	s_and_saveexec_b64 s[40:41], vcc
	s_cbranch_execz .LBB62_13
; %bb.10:                               ;   in Loop: Header=BB62_9 Depth=1
	v_lshlrev_b64 v[5:6], 3, v[3:4]
	v_mov_b32_e32 v10, s19
	v_add_co_u32_e32 v5, vcc, s18, v5
	v_addc_co_u32_e32 v6, vcc, v10, v6, vcc
	v_mov_b32_e32 v10, 0
	s_mov_b64 s[42:43], 0
.LBB62_11:                              ;   Parent Loop BB62_9 Depth=1
                                        ; =>  This Inner Loop Header: Depth=2
	global_load_dwordx2 v[11:12], v[5:6], off
	v_mov_b32_e32 v13, s21
	v_add_co_u32_e32 v15, vcc, s20, v3
	v_addc_co_u32_e32 v16, vcc, v13, v4, vcc
	v_mov_b32_e32 v17, s23
	global_load_sbyte v13, v[15:16], off
	s_waitcnt vmcnt(1)
	v_subrev_co_u32_e32 v11, vcc, s30, v11
	v_subbrev_co_u32_e32 v12, vcc, 0, v12, vcc
	v_add_co_u32_e32 v11, vcc, s22, v11
	v_addc_co_u32_e32 v12, vcc, v17, v12, vcc
	global_load_sbyte v11, v[11:12], off
	v_add_co_u32_e32 v3, vcc, 0x100, v3
	s_waitcnt vmcnt(1)
	v_cvt_f32_i32_e32 v12, v13
	v_addc_co_u32_e32 v4, vcc, 0, v4, vcc
	v_cmp_le_i64_e64 s[12:13], s[36:37], v[3:4]
	v_add_co_u32_e32 v5, vcc, 0x800, v5
	v_addc_co_u32_e32 v6, vcc, 0, v6, vcc
	s_or_b64 s[42:43], s[12:13], s[42:43]
	s_waitcnt vmcnt(0)
	v_cvt_f32_i32_e32 v11, v11
	v_fmac_f32_e32 v10, v12, v11
	s_andn2_b64 exec, exec, s[42:43]
	s_cbranch_execnz .LBB62_11
; %bb.12:                               ;   in Loop: Header=BB62_9 Depth=1
	s_or_b64 exec, exec, s[42:43]
.LBB62_13:                              ;   in Loop: Header=BB62_9 Depth=1
	s_or_b64 exec, exec, s[40:41]
	ds_write_b32 v14, v10
	s_waitcnt lgkmcnt(0)
	s_barrier
	s_and_saveexec_b64 s[12:13], s[0:1]
	s_cbranch_execz .LBB62_15
; %bb.14:                               ;   in Loop: Header=BB62_9 Depth=1
	ds_read2st64_b32 v[3:4], v14 offset1:4
	ds_read2st64_b32 v[5:6], v14 offset0:8 offset1:12
	s_waitcnt lgkmcnt(0)
	v_add_f32_e32 v4, v4, v5
	v_add_f32_e32 v4, v4, v6
	;; [unrolled: 1-line block ×3, first 2 shown]
	ds_write_b32 v14, v3
.LBB62_15:                              ;   in Loop: Header=BB62_9 Depth=1
	s_or_b64 exec, exec, s[12:13]
	s_waitcnt lgkmcnt(0)
	s_barrier
	s_and_saveexec_b64 s[12:13], s[2:3]
	s_cbranch_execz .LBB62_17
; %bb.16:                               ;   in Loop: Header=BB62_9 Depth=1
	ds_read2st64_b32 v[3:4], v14 offset1:1
	ds_read2st64_b32 v[5:6], v14 offset0:2 offset1:3
	s_waitcnt lgkmcnt(0)
	v_add_f32_e32 v4, v4, v5
	v_add_f32_e32 v4, v4, v6
	;; [unrolled: 1-line block ×3, first 2 shown]
	ds_write_b32 v14, v3
.LBB62_17:                              ;   in Loop: Header=BB62_9 Depth=1
	s_or_b64 exec, exec, s[12:13]
	s_waitcnt lgkmcnt(0)
	s_barrier
	s_and_saveexec_b64 s[12:13], s[6:7]
	s_cbranch_execz .LBB62_19
; %bb.18:                               ;   in Loop: Header=BB62_9 Depth=1
	ds_read2_b32 v[3:4], v14 offset1:16
	ds_read2_b32 v[5:6], v14 offset0:32 offset1:48
	s_waitcnt lgkmcnt(0)
	v_add_f32_e32 v4, v4, v5
	v_add_f32_e32 v4, v4, v6
	v_add_f32_e32 v3, v3, v4
	ds_write_b32 v14, v3
.LBB62_19:                              ;   in Loop: Header=BB62_9 Depth=1
	s_or_b64 exec, exec, s[12:13]
	s_waitcnt lgkmcnt(0)
	s_barrier
	s_and_saveexec_b64 s[12:13], s[8:9]
	s_cbranch_execz .LBB62_21
; %bb.20:                               ;   in Loop: Header=BB62_9 Depth=1
	ds_read2_b32 v[3:4], v14 offset1:4
	ds_read2_b32 v[5:6], v14 offset0:8 offset1:12
	s_waitcnt lgkmcnt(0)
	v_add_f32_e32 v4, v4, v5
	v_add_f32_e32 v4, v4, v6
	v_add_f32_e32 v3, v3, v4
	ds_write_b32 v14, v3
.LBB62_21:                              ;   in Loop: Header=BB62_9 Depth=1
	s_or_b64 exec, exec, s[12:13]
	s_waitcnt lgkmcnt(0)
	s_barrier
	s_and_saveexec_b64 s[12:13], s[10:11]
	s_cbranch_execz .LBB62_23
; %bb.22:                               ;   in Loop: Header=BB62_9 Depth=1
	ds_read2_b32 v[3:4], v9 offset0:1 offset1:2
	ds_read_b32 v5, v9 offset:12
	ds_read_b32 v6, v14
	s_waitcnt lgkmcnt(2)
	v_add_f32_e32 v3, v3, v4
	s_waitcnt lgkmcnt(1)
	v_add_f32_e32 v3, v3, v5
	;; [unrolled: 2-line block ×3, first 2 shown]
	ds_write_b32 v14, v3
.LBB62_23:                              ;   in Loop: Header=BB62_9 Depth=1
	s_or_b64 exec, exec, s[12:13]
	s_waitcnt lgkmcnt(0)
	s_barrier
	s_and_saveexec_b64 s[12:13], s[10:11]
	s_cbranch_execz .LBB62_8
; %bb.24:                               ;   in Loop: Header=BB62_9 Depth=1
	s_mov_b64 s[40:41], exec
	v_mbcnt_lo_u32_b32 v3, s40, 0
	v_mbcnt_hi_u32_b32 v3, s41, v3
	v_cmp_eq_u32_e32 vcc, 0, v3
	s_and_b64 s[36:37], exec, vcc
	s_mov_b64 exec, s[36:37]
	s_cbranch_execz .LBB62_8
; %bb.25:                               ;   in Loop: Header=BB62_9 Depth=1
	s_lshl_b64 s[36:37], s[34:35], 2
	s_add_u32 s36, s14, s36
	s_addc_u32 s37, s15, s37
	global_load_dword v4, v9, s[36:37]
	ds_read_b32 v3, v9
	s_bcnt1_i32_b64 s31, s[40:41]
	v_cvt_f32_ubyte0_e32 v5, s31
	s_mov_b64 s[40:41], 0
	s_waitcnt lgkmcnt(0)
	v_mul_f32_e32 v3, s38, v3
	v_mul_f32_e32 v5, v3, v5
.LBB62_26:                              ;   Parent Loop BB62_9 Depth=1
                                        ; =>  This Inner Loop Header: Depth=2
	s_waitcnt vmcnt(0)
	v_add_f32_e32 v3, v4, v5
	global_atomic_cmpswap v3, v9, v[3:4], s[36:37] glc
	s_waitcnt vmcnt(0)
	v_cmp_eq_u32_e32 vcc, v3, v4
	s_or_b64 s[40:41], vcc, s[40:41]
	v_mov_b32_e32 v4, v3
	s_andn2_b64 exec, exec, s[40:41]
	s_cbranch_execnz .LBB62_26
	s_branch .LBB62_8
.LBB62_27:
	s_lshl_b64 s[0:1], s[24:25], 3
	s_add_u32 s0, s16, s0
	s_addc_u32 s1, s17, s1
	s_lshl_b64 s[2:3], s[26:27], 3
	s_add_u32 s2, s16, s2
	s_addc_u32 s3, s17, s3
	s_load_dwordx2 s[8:9], s[0:1], 0x0
	s_load_dwordx2 s[6:7], s[2:3], 0x0
	s_waitcnt lgkmcnt(0)
	v_mov_b32_e32 v2, s9
	s_sub_u32 s6, s6, s30
	v_add_co_u32_e32 v1, vcc, s8, v7
	s_subb_u32 s7, s7, 0
	v_addc_co_u32_e32 v2, vcc, v2, v8, vcc
	v_cmp_gt_i64_e32 vcc, s[6:7], v[1:2]
	s_and_saveexec_b64 s[8:9], vcc
	s_cbranch_execz .LBB62_37
; %bb.28:
	s_add_u32 s10, s26, -1
	s_addc_u32 s11, s27, -1
	v_mov_b32_e32 v3, s10
	s_add_u32 s0, s26, -2
	v_mov_b32_e32 v4, s11
	s_addc_u32 s1, s27, -1
	v_cmp_lt_i64_e32 vcc, s[24:25], v[3:4]
	s_cmp_lg_u64 s[24:25], s[0:1]
	s_cselect_b64 s[0:1], -1, 0
	s_and_b64 s[0:1], vcc, s[0:1]
	v_cndmask_b32_e64 v3, 0, 1, s[0:1]
	s_mov_b64 s[12:13], 0
	v_cmp_ne_u32_e64 s[0:1], 1, v3
	v_mov_b32_e32 v7, s17
	v_mov_b32_e32 v8, s19
	s_branch .LBB62_30
.LBB62_29:                              ;   in Loop: Header=BB62_30 Depth=1
	s_or_b64 exec, exec, s[2:3]
	v_add_co_u32_e32 v1, vcc, 0x100, v1
	v_addc_co_u32_e32 v2, vcc, 0, v2, vcc
	v_cmp_le_i64_e32 vcc, s[6:7], v[1:2]
	s_or_b64 s[12:13], vcc, s[12:13]
	s_andn2_b64 exec, exec, s[12:13]
	s_cbranch_execz .LBB62_37
.LBB62_30:                              ; =>This Loop Header: Depth=1
                                        ;     Child Loop BB62_32 Depth 2
                                        ;     Child Loop BB62_36 Depth 2
	v_mov_b32_e32 v3, s24
	v_mov_b32_e32 v5, s10
	s_and_b64 vcc, exec, s[0:1]
	v_mov_b32_e32 v4, s25
	v_mov_b32_e32 v6, s11
	s_cbranch_vccnz .LBB62_34
; %bb.31:                               ;   in Loop: Header=BB62_30 Depth=1
	v_mov_b32_e32 v3, s24
	v_mov_b32_e32 v5, s10
	s_mov_b64 s[34:35], 0
	v_mov_b32_e32 v4, s25
	v_mov_b32_e32 v6, s11
.LBB62_32:                              ;   Parent Loop BB62_30 Depth=1
                                        ; =>  This Inner Loop Header: Depth=2
	v_add_co_u32_e32 v9, vcc, v5, v3
	v_addc_co_u32_e32 v10, vcc, v6, v4, vcc
	v_lshrrev_b32_e32 v11, 31, v10
	v_add_co_u32_e32 v9, vcc, v9, v11
	v_addc_co_u32_e32 v10, vcc, 0, v10, vcc
	v_ashrrev_i64 v[9:10], 1, v[9:10]
	v_mov_b32_e32 v13, s17
	v_lshlrev_b64 v[11:12], 3, v[9:10]
	v_add_co_u32_e32 v11, vcc, s16, v11
	v_addc_co_u32_e32 v12, vcc, v13, v12, vcc
	global_load_dwordx2 v[11:12], v[11:12], off
	s_waitcnt vmcnt(0)
	v_subrev_co_u32_e32 v11, vcc, s30, v11
	v_subbrev_co_u32_e32 v12, vcc, 0, v12, vcc
	v_cmp_lt_i64_e32 vcc, v[1:2], v[11:12]
	v_cndmask_b32_e32 v5, v5, v9, vcc
	v_cndmask_b32_e32 v6, v6, v10, vcc
	v_cndmask_b32_e32 v3, v9, v3, vcc
	v_add_co_u32_e64 v9, s[2:3], -1, v5
	v_cndmask_b32_e32 v4, v10, v4, vcc
	v_addc_co_u32_e64 v10, s[2:3], -1, v6, s[2:3]
	v_cmp_ge_i64_e32 vcc, v[3:4], v[5:6]
	v_cmp_eq_u64_e64 s[2:3], v[3:4], v[9:10]
	s_or_b64 s[2:3], vcc, s[2:3]
	s_and_b64 s[2:3], exec, s[2:3]
	s_or_b64 s[34:35], s[2:3], s[34:35]
	s_andn2_b64 exec, exec, s[34:35]
	s_cbranch_execnz .LBB62_32
; %bb.33:                               ;   in Loop: Header=BB62_30 Depth=1
	s_or_b64 exec, exec, s[34:35]
.LBB62_34:                              ;   in Loop: Header=BB62_30 Depth=1
	v_lshlrev_b64 v[9:10], 3, v[5:6]
	v_lshlrev_b64 v[11:12], 3, v[1:2]
	v_add_co_u32_e32 v9, vcc, s16, v9
	v_addc_co_u32_e32 v10, vcc, v7, v10, vcc
	global_load_dwordx2 v[9:10], v[9:10], off
	v_add_co_u32_e32 v11, vcc, s18, v11
	v_addc_co_u32_e32 v12, vcc, v8, v12, vcc
	global_load_dwordx2 v[11:12], v[11:12], off
	s_waitcnt vmcnt(1)
	v_subrev_co_u32_e32 v9, vcc, s30, v9
	v_subbrev_co_u32_e32 v10, vcc, 0, v10, vcc
	v_cmp_lt_i64_e32 vcc, v[1:2], v[9:10]
	v_cndmask_b32_e32 v4, v6, v4, vcc
	v_cndmask_b32_e32 v3, v5, v3, vcc
	s_waitcnt vmcnt(0)
	v_subrev_co_u32_e32 v5, vcc, s30, v11
	v_subbrev_co_u32_e32 v6, vcc, 0, v12, vcc
	v_cmp_ne_u64_e32 vcc, v[5:6], v[3:4]
	s_and_saveexec_b64 s[2:3], vcc
	s_cbranch_execz .LBB62_29
; %bb.35:                               ;   in Loop: Header=BB62_30 Depth=1
	v_mov_b32_e32 v10, s21
	v_add_co_u32_e32 v9, vcc, s20, v1
	v_addc_co_u32_e32 v10, vcc, v10, v2, vcc
	global_load_sbyte v9, v[9:10], off
	v_mov_b32_e32 v10, s23
	v_add_co_u32_e32 v3, vcc, s22, v3
	v_addc_co_u32_e32 v4, vcc, v10, v4, vcc
	global_load_sbyte v10, v[3:4], off
	v_lshlrev_b64 v[5:6], 2, v[5:6]
	v_mov_b32_e32 v4, s15
	v_add_co_u32_e32 v3, vcc, s14, v5
	v_addc_co_u32_e32 v4, vcc, v4, v6, vcc
	global_load_dword v6, v[3:4], off
	s_mov_b64 s[34:35], 0
	s_waitcnt vmcnt(2)
	v_cvt_f32_i32_e32 v5, v9
	v_mul_f32_e32 v5, s38, v5
	s_waitcnt vmcnt(1)
	v_cvt_f32_i32_e32 v9, v10
	v_mul_f32_e32 v9, v5, v9
.LBB62_36:                              ;   Parent Loop BB62_30 Depth=1
                                        ; =>  This Inner Loop Header: Depth=2
	s_waitcnt vmcnt(0)
	v_add_f32_e32 v5, v6, v9
	global_atomic_cmpswap v5, v[3:4], v[5:6], off glc
	s_waitcnt vmcnt(0)
	v_cmp_eq_u32_e32 vcc, v5, v6
	s_or_b64 s[34:35], vcc, s[34:35]
	v_mov_b32_e32 v6, v5
	s_andn2_b64 exec, exec, s[34:35]
	s_cbranch_execnz .LBB62_36
	s_branch .LBB62_29
.LBB62_37:
	s_or_b64 exec, exec, s[8:9]
	s_mov_b64 s[0:1], 0
.LBB62_38:
	s_and_b64 vcc, exec, s[0:1]
	s_cbranch_vccz .LBB62_154
; %bb.39:
	s_load_dword s0, s[4:5], 0x6c
	v_mov_b32_e32 v1, s28
	s_mov_b32 s13, 0
	v_mov_b32_e32 v2, s29
	s_mov_b64 s[36:37], 0
	s_waitcnt lgkmcnt(0)
	s_and_b32 s12, s0, 0xffff
	v_cmp_lt_u64_e32 vcc, s[12:13], v[1:2]
	s_cbranch_vccnz .LBB62_41
; %bb.40:
	v_cvt_f32_u32_e32 v1, s28
	s_sub_i32 s0, 0, s28
	v_rcp_iflag_f32_e32 v1, v1
	v_mul_f32_e32 v1, 0x4f7ffffe, v1
	v_cvt_u32_f32_e32 v1, v1
	v_readfirstlane_b32 s1, v1
	s_mul_i32 s0, s0, s1
	s_mul_hi_u32 s0, s1, s0
	s_add_i32 s1, s1, s0
	s_mul_hi_u32 s0, s12, s1
	s_mul_i32 s2, s0, s28
	s_sub_i32 s2, s12, s2
	s_add_i32 s1, s0, 1
	s_sub_i32 s3, s2, s28
	s_cmp_ge_u32 s2, s28
	s_cselect_b32 s0, s1, s0
	s_cselect_b32 s2, s3, s2
	s_add_i32 s1, s0, 1
	s_cmp_ge_u32 s2, s28
	s_cselect_b32 s36, s1, s0
.LBB62_41:
	s_lshl_b64 s[0:1], s[24:25], 3
	s_add_u32 s34, s16, s0
	s_addc_u32 s35, s17, s1
	s_load_dwordx2 s[6:7], s[34:35], 0x0
	s_load_dwordx4 s[8:11], s[4:5], 0x8
	v_subrev_co_u32_e32 v1, vcc, s30, v0
	v_subb_co_u32_e64 v2, s[0:1], 0, 0, vcc
	s_waitcnt lgkmcnt(0)
	v_mov_b32_e32 v3, s7
	v_add_co_u32_e32 v4, vcc, s6, v1
	v_addc_co_u32_e32 v5, vcc, v3, v2, vcc
	v_add_co_u32_e32 v2, vcc, 0x300, v4
	v_addc_co_u32_e32 v3, vcc, 0, v5, vcc
	v_cmp_le_i64_e64 s[0:1], s[8:9], v[2:3]
	v_mov_b32_e32 v1, 0
	s_and_saveexec_b64 s[2:3], s[0:1]
	s_xor_b64 s[2:3], exec, s[2:3]
	s_cbranch_execnz .LBB62_44
; %bb.42:
	s_andn2_saveexec_b64 s[2:3], s[2:3]
	s_cbranch_execnz .LBB62_48
.LBB62_43:
	s_or_b64 exec, exec, s[2:3]
	v_cmp_gt_i64_e32 vcc, s[10:11], v[0:1]
	s_and_saveexec_b64 s[2:3], vcc
	s_cbranch_execnz .LBB62_49
	s_branch .LBB62_51
.LBB62_44:
	s_lshl_b64 s[4:5], s[26:27], 3
	s_add_u32 s4, s16, s4
	s_addc_u32 s5, s17, s5
	s_load_dwordx2 s[4:5], s[4:5], 0x0
	s_waitcnt lgkmcnt(0)
	s_sub_u32 s4, s4, s6
	s_subb_u32 s5, s5, s7
	v_cmp_gt_i64_e32 vcc, s[4:5], v[0:1]
	s_and_saveexec_b64 s[8:9], vcc
	s_cbranch_execz .LBB62_47
; %bb.45:
	s_sub_u32 s13, s6, s30
	s_subb_u32 s31, s7, 0
	s_add_u32 s13, s20, s13
	s_addc_u32 s31, s21, s31
	v_mov_b32_e32 v7, v1
	s_mov_b64 s[40:41], 0
	v_mov_b32_e32 v8, s31
	v_mov_b32_e32 v9, v14
	;; [unrolled: 1-line block ×3, first 2 shown]
.LBB62_46:                              ; =>This Inner Loop Header: Depth=1
	v_add_co_u32_e32 v10, vcc, s13, v6
	v_addc_co_u32_e32 v11, vcc, v8, v7, vcc
	global_load_sbyte v10, v[10:11], off
	v_add_co_u32_e32 v6, vcc, 0x100, v6
	v_addc_co_u32_e32 v7, vcc, 0, v7, vcc
	v_cmp_le_i64_e32 vcc, s[4:5], v[6:7]
	s_or_b64 s[40:41], vcc, s[40:41]
	s_waitcnt vmcnt(0)
	v_cvt_f32_i32_e32 v10, v10
	v_mul_f32_e32 v10, s38, v10
	ds_write_b32 v9, v10
	v_add_u32_e32 v9, 0x400, v9
	s_andn2_b64 exec, exec, s[40:41]
	s_cbranch_execnz .LBB62_46
.LBB62_47:
	s_or_b64 exec, exec, s[8:9]
	s_andn2_saveexec_b64 s[2:3], s[2:3]
	s_cbranch_execz .LBB62_43
.LBB62_48:
	v_mov_b32_e32 v7, s21
	v_add_co_u32_e32 v6, vcc, s20, v4
	v_addc_co_u32_e32 v7, vcc, v7, v5, vcc
	global_load_sbyte v8, v[6:7], off
	global_load_sbyte v9, v[6:7], off offset:256
	global_load_sbyte v10, v[6:7], off offset:512
	;; [unrolled: 1-line block ×3, first 2 shown]
	s_waitcnt vmcnt(3)
	v_cvt_f32_i32_e32 v6, v8
	s_waitcnt vmcnt(2)
	v_cvt_f32_i32_e32 v7, v9
	;; [unrolled: 2-line block ×4, first 2 shown]
	v_mul_f32_e32 v6, s38, v6
	v_mul_f32_e32 v7, s38, v7
	;; [unrolled: 1-line block ×4, first 2 shown]
	ds_write2st64_b32 v14, v6, v7 offset1:4
	ds_write2st64_b32 v14, v8, v9 offset0:8 offset1:12
	s_or_b64 exec, exec, s[2:3]
	v_cmp_gt_i64_e32 vcc, s[10:11], v[0:1]
	s_and_saveexec_b64 s[2:3], vcc
	s_cbranch_execz .LBB62_51
.LBB62_49:
	v_mov_b32_e32 v6, 0x1000
	v_lshl_add_u32 v8, v0, 2, v6
	v_mov_b32_e32 v7, v1
	s_mov_b64 s[4:5], 0
	v_mov_b32_e32 v9, 0
	v_mov_b32_e32 v6, v0
.LBB62_50:                              ; =>This Inner Loop Header: Depth=1
	v_add_co_u32_e32 v6, vcc, 0x100, v6
	v_addc_co_u32_e32 v7, vcc, 0, v7, vcc
	v_cmp_le_i64_e32 vcc, s[10:11], v[6:7]
	ds_write_b32 v8, v9
	s_or_b64 s[4:5], vcc, s[4:5]
	v_add_u32_e32 v8, 0x400, v8
	s_andn2_b64 exec, exec, s[4:5]
	s_cbranch_execnz .LBB62_50
.LBB62_51:
	s_or_b64 exec, exec, s[2:3]
	v_mov_b32_e32 v6, s10
	v_mov_b32_e32 v7, s11
	s_sub_u32 s4, s26, s10
	v_cmp_ge_i64_e32 vcc, s[26:27], v[6:7]
	s_subb_u32 s5, s27, s11
	s_and_b64 s[2:3], vcc, exec
	s_cselect_b32 s9, s5, 0
	s_cselect_b32 s8, s4, 0
	s_waitcnt lgkmcnt(0)
	s_barrier
	s_and_saveexec_b64 s[2:3], s[0:1]
	s_xor_b64 s[20:21], exec, s[2:3]
	s_cbranch_execz .LBB62_70
; %bb.52:
	s_lshl_b64 s[0:1], s[26:27], 3
	s_add_u32 s0, s16, s0
	s_addc_u32 s1, s17, s1
	s_load_dwordx2 s[0:1], s[0:1], 0x0
	s_waitcnt lgkmcnt(0)
	s_sub_u32 s38, s0, s6
	s_subb_u32 s39, s1, s7
	v_cmp_gt_i64_e32 vcc, s[38:39], v[0:1]
	s_and_saveexec_b64 s[40:41], vcc
	s_cbranch_execz .LBB62_69
; %bb.53:
	s_add_u32 s42, s26, -1
	s_addc_u32 s43, s27, -1
	s_add_u32 s2, s26, -2
	s_addc_u32 s3, s27, -1
	s_cmp_lg_u64 s[24:25], s[2:3]
	s_cselect_b64 s[2:3], -1, 0
	s_sub_u32 s44, s0, s30
	v_cndmask_b32_e64 v2, 0, 1, s[2:3]
	s_subb_u32 s45, s1, 0
	s_mov_b64 s[46:47], 0
	v_cmp_ne_u32_e64 s[0:1], 1, v2
	v_mov_b32_e32 v12, s17
	v_mov_b32_e32 v13, s19
	;; [unrolled: 1-line block ×3, first 2 shown]
	s_mov_b64 s[48:49], 0
	s_branch .LBB62_56
.LBB62_54:                              ;   in Loop: Header=BB62_56 Depth=1
	s_or_b64 exec, exec, s[2:3]
.LBB62_55:                              ;   in Loop: Header=BB62_56 Depth=1
	s_or_b64 exec, exec, s[4:5]
	v_mov_b32_e32 v6, s23
	v_add_co_u32_e32 v2, vcc, s22, v2
	v_addc_co_u32_e32 v3, vcc, v6, v3, vcc
	global_load_sbyte v2, v[2:3], off
	s_add_u32 s48, s48, 0x100
	s_addc_u32 s49, s49, 0
	v_mov_b32_e32 v3, s49
	v_lshlrev_b32_e32 v6, 2, v10
	s_waitcnt vmcnt(0)
	v_cvt_f32_i32_e32 v7, v2
	v_add_co_u32_e32 v2, vcc, s48, v0
	v_addc_co_u32_e32 v3, vcc, 0, v3, vcc
	v_cmp_le_i64_e32 vcc, s[38:39], v[2:3]
	s_waitcnt lgkmcnt(0)
	v_mul_f32_e32 v2, v11, v7
	s_or_b64 s[46:47], vcc, s[46:47]
	ds_write_b32 v6, v2
	s_andn2_b64 exec, exec, s[46:47]
	s_cbranch_execz .LBB62_69
.LBB62_56:                              ; =>This Loop Header: Depth=1
                                        ;     Child Loop BB62_58 Depth 2
                                        ;     Child Loop BB62_65 Depth 2
	v_mov_b32_e32 v2, s49
	v_add_co_u32_e32 v6, vcc, s48, v4
	v_addc_co_u32_e32 v7, vcc, v2, v5, vcc
	v_mov_b32_e32 v8, s24
	v_mov_b32_e32 v10, s42
	s_and_b64 vcc, exec, s[0:1]
	v_mov_b32_e32 v9, s25
	v_mov_b32_e32 v11, s43
	s_cbranch_vccnz .LBB62_60
; %bb.57:                               ;   in Loop: Header=BB62_56 Depth=1
	v_mov_b32_e32 v8, s24
	v_mov_b32_e32 v10, s42
	s_mov_b64 s[4:5], 0
	v_mov_b32_e32 v9, s25
	v_mov_b32_e32 v11, s43
.LBB62_58:                              ;   Parent Loop BB62_56 Depth=1
                                        ; =>  This Inner Loop Header: Depth=2
	v_add_co_u32_e32 v2, vcc, v10, v8
	v_addc_co_u32_e32 v3, vcc, v11, v9, vcc
	v_lshrrev_b32_e32 v16, 31, v3
	v_add_co_u32_e32 v2, vcc, v2, v16
	v_addc_co_u32_e32 v3, vcc, 0, v3, vcc
	v_ashrrev_i64 v[2:3], 1, v[2:3]
	v_mov_b32_e32 v18, s17
	v_lshlrev_b64 v[16:17], 3, v[2:3]
	v_add_co_u32_e32 v16, vcc, s16, v16
	v_addc_co_u32_e32 v17, vcc, v18, v17, vcc
	global_load_dwordx2 v[16:17], v[16:17], off
	s_waitcnt vmcnt(0)
	v_subrev_co_u32_e32 v16, vcc, s30, v16
	v_subbrev_co_u32_e32 v17, vcc, 0, v17, vcc
	v_cmp_lt_i64_e32 vcc, v[6:7], v[16:17]
	v_cndmask_b32_e32 v10, v10, v2, vcc
	v_cndmask_b32_e32 v11, v11, v3, vcc
	;; [unrolled: 1-line block ×3, first 2 shown]
	v_add_co_u32_e64 v2, s[2:3], -1, v10
	v_cndmask_b32_e32 v9, v3, v9, vcc
	v_addc_co_u32_e64 v3, s[2:3], -1, v11, s[2:3]
	v_cmp_ge_i64_e32 vcc, v[8:9], v[10:11]
	v_cmp_eq_u64_e64 s[2:3], v[8:9], v[2:3]
	s_or_b64 s[2:3], vcc, s[2:3]
	s_and_b64 s[2:3], exec, s[2:3]
	s_or_b64 s[4:5], s[2:3], s[4:5]
	s_andn2_b64 exec, exec, s[4:5]
	s_cbranch_execnz .LBB62_58
; %bb.59:                               ;   in Loop: Header=BB62_56 Depth=1
	s_or_b64 exec, exec, s[4:5]
.LBB62_60:                              ;   in Loop: Header=BB62_56 Depth=1
	v_lshlrev_b64 v[2:3], 3, v[10:11]
	v_lshlrev_b64 v[16:17], 3, v[6:7]
	v_add_co_u32_e32 v2, vcc, s16, v2
	v_addc_co_u32_e32 v3, vcc, v12, v3, vcc
	global_load_dwordx2 v[2:3], v[2:3], off
	v_add_co_u32_e32 v16, vcc, s18, v16
	v_addc_co_u32_e32 v17, vcc, v13, v17, vcc
	global_load_dwordx2 v[16:17], v[16:17], off
	v_cmp_le_i64_e32 vcc, s[44:45], v[6:7]
	s_waitcnt vmcnt(1)
	v_subrev_co_u32_e64 v18, s[2:3], s30, v2
	v_subbrev_co_u32_e64 v19, s[2:3], 0, v3, s[2:3]
	s_waitcnt vmcnt(0)
	v_subrev_co_u32_e64 v2, s[2:3], s30, v16
	v_subbrev_co_u32_e64 v3, s[2:3], 0, v17, s[2:3]
	v_cmp_lt_i64_e64 s[2:3], v[6:7], v[18:19]
	v_cndmask_b32_e64 v7, v11, v9, s[2:3]
	v_cndmask_b32_e64 v6, v10, v8, s[2:3]
	v_cmp_eq_u64_e64 s[2:3], v[2:3], v[6:7]
	v_add_co_u32_e64 v10, s[4:5], s48, v0
	s_or_b64 s[2:3], s[2:3], vcc
	v_lshlrev_b32_e32 v8, 2, v10
                                        ; implicit-def: $vgpr11
	s_and_saveexec_b64 s[4:5], s[2:3]
	s_xor_b64 s[2:3], exec, s[4:5]
; %bb.61:                               ;   in Loop: Header=BB62_56 Depth=1
	ds_read_b32 v11, v8
                                        ; implicit-def: $vgpr8
                                        ; implicit-def: $vgpr6_vgpr7
; %bb.62:                               ;   in Loop: Header=BB62_56 Depth=1
	s_andn2_saveexec_b64 s[4:5], s[2:3]
	s_cbranch_execz .LBB62_55
; %bb.63:                               ;   in Loop: Header=BB62_56 Depth=1
	v_cmp_gt_i64_e32 vcc, s[8:9], v[2:3]
	v_cmp_le_i64_e64 s[2:3], s[26:27], v[2:3]
                                        ; implicit-def: $vgpr11
	s_or_b64 s[2:3], vcc, s[2:3]
	s_and_saveexec_b64 s[50:51], s[2:3]
	s_xor_b64 s[2:3], exec, s[50:51]
	s_cbranch_execz .LBB62_67
; %bb.64:                               ;   in Loop: Header=BB62_56 Depth=1
	v_mov_b32_e32 v9, s23
	v_add_co_u32_e32 v6, vcc, s22, v6
	v_addc_co_u32_e32 v7, vcc, v9, v7, vcc
	global_load_sbyte v18, v[6:7], off
	v_lshlrev_b64 v[16:17], 2, v[2:3]
	v_mov_b32_e32 v7, s15
	v_add_co_u32_e32 v6, vcc, s14, v16
	v_addc_co_u32_e32 v7, vcc, v7, v17, vcc
	global_load_dword v9, v[6:7], off
	s_waitcnt lgkmcnt(0)
	ds_read_b32 v11, v8
	s_mov_b64 s[50:51], 0
	s_waitcnt vmcnt(1)
	v_cvt_f32_i32_e32 v8, v18
	s_waitcnt lgkmcnt(0)
	v_mul_f32_e32 v16, v11, v8
.LBB62_65:                              ;   Parent Loop BB62_56 Depth=1
                                        ; =>  This Inner Loop Header: Depth=2
	s_waitcnt vmcnt(0)
	v_add_f32_e32 v8, v9, v16
	global_atomic_cmpswap v8, v[6:7], v[8:9], off glc
	s_waitcnt vmcnt(0)
	v_cmp_eq_u32_e32 vcc, v8, v9
	s_or_b64 s[50:51], vcc, s[50:51]
	v_mov_b32_e32 v9, v8
	s_andn2_b64 exec, exec, s[50:51]
	s_cbranch_execnz .LBB62_65
; %bb.66:                               ;   in Loop: Header=BB62_56 Depth=1
	s_or_b64 exec, exec, s[50:51]
                                        ; implicit-def: $vgpr8
                                        ; implicit-def: $vgpr6_vgpr7
.LBB62_67:                              ;   in Loop: Header=BB62_56 Depth=1
	s_andn2_saveexec_b64 s[2:3], s[2:3]
	s_cbranch_execz .LBB62_54
; %bb.68:                               ;   in Loop: Header=BB62_56 Depth=1
	v_mov_b32_e32 v9, s23
	v_add_co_u32_e32 v6, vcc, s22, v6
	v_addc_co_u32_e32 v7, vcc, v9, v7, vcc
	global_load_sbyte v6, v[6:7], off
	s_waitcnt lgkmcnt(0)
	ds_read_b32 v11, v8
	v_subrev_u32_e32 v7, s8, v2
	v_lshl_add_u32 v7, v7, 2, v15
	s_waitcnt vmcnt(0)
	v_cvt_f32_i32_e32 v6, v6
	s_waitcnt lgkmcnt(0)
	v_mul_f32_e32 v6, v11, v6
	ds_add_f32 v7, v6
	s_branch .LBB62_54
.LBB62_69:
	s_or_b64 exec, exec, s[40:41]
                                        ; implicit-def: $vgpr2_vgpr3
                                        ; implicit-def: $vgpr4
.LBB62_70:
	s_andn2_saveexec_b64 s[4:5], s[20:21]
	s_cbranch_execz .LBB62_120
; %bb.71:
	s_add_u32 s20, s26, -1
	s_addc_u32 s21, s27, -1
	s_add_u32 s0, s26, -2
	s_addc_u32 s1, s27, -1
	s_cmp_lg_u64 s[24:25], s[0:1]
	v_mov_b32_e32 v8, s24
	v_mov_b32_e32 v10, s20
	s_cselect_b64 s[2:3], -1, 0
	s_cmp_eq_u64 s[24:25], s[0:1]
	v_mov_b32_e32 v9, s25
	v_mov_b32_e32 v11, s21
	s_cbranch_scc1 .LBB62_75
; %bb.72:
	v_mov_b32_e32 v8, s24
	v_mov_b32_e32 v10, s20
	s_mov_b64 s[38:39], 0
	v_mov_b32_e32 v9, s25
	v_mov_b32_e32 v11, s21
	;; [unrolled: 1-line block ×3, first 2 shown]
.LBB62_73:                              ; =>This Inner Loop Header: Depth=1
	v_add_co_u32_e32 v7, vcc, v10, v8
	v_addc_co_u32_e32 v13, vcc, v11, v9, vcc
	v_lshrrev_b32_e32 v12, 31, v13
	v_add_co_u32_e32 v12, vcc, v7, v12
	v_addc_co_u32_e32 v13, vcc, 0, v13, vcc
	v_ashrrev_i64 v[12:13], 1, v[12:13]
	v_lshlrev_b64 v[15:16], 3, v[12:13]
	v_add_co_u32_e32 v15, vcc, s16, v15
	v_addc_co_u32_e32 v16, vcc, v6, v16, vcc
	global_load_dwordx2 v[15:16], v[15:16], off
	s_waitcnt vmcnt(0)
	v_subrev_co_u32_e32 v15, vcc, s30, v15
	v_subbrev_co_u32_e32 v16, vcc, 0, v16, vcc
	v_cmp_lt_i64_e32 vcc, v[4:5], v[15:16]
	v_cndmask_b32_e32 v10, v10, v12, vcc
	v_cndmask_b32_e32 v11, v11, v13, vcc
	;; [unrolled: 1-line block ×3, first 2 shown]
	v_add_co_u32_e64 v12, s[0:1], -1, v10
	v_cndmask_b32_e32 v9, v13, v9, vcc
	v_addc_co_u32_e64 v13, s[0:1], -1, v11, s[0:1]
	v_cmp_ge_i64_e32 vcc, v[8:9], v[10:11]
	v_cmp_eq_u64_e64 s[0:1], v[8:9], v[12:13]
	s_or_b64 s[0:1], vcc, s[0:1]
	s_and_b64 s[0:1], exec, s[0:1]
	s_or_b64 s[38:39], s[0:1], s[38:39]
	s_andn2_b64 exec, exec, s[38:39]
	s_cbranch_execnz .LBB62_73
; %bb.74:
	s_or_b64 exec, exec, s[38:39]
.LBB62_75:
	v_lshlrev_b64 v[6:7], 3, v[10:11]
	v_mov_b32_e32 v12, s17
	v_add_co_u32_e32 v6, vcc, s16, v6
	v_addc_co_u32_e32 v7, vcc, v12, v7, vcc
	global_load_dwordx2 v[12:13], v[6:7], off
	v_lshlrev_b64 v[6:7], 3, v[4:5]
	v_mov_b32_e32 v15, s19
	v_add_co_u32_e32 v6, vcc, s18, v6
	v_addc_co_u32_e32 v7, vcc, v15, v7, vcc
	global_load_dwordx2 v[15:16], v[6:7], off
	s_lshl_b64 s[0:1], s[26:27], 3
	s_add_u32 s18, s16, s0
	s_addc_u32 s19, s17, s1
	s_waitcnt vmcnt(1)
	v_subrev_co_u32_e32 v12, vcc, s30, v12
	v_subbrev_co_u32_e32 v13, vcc, 0, v13, vcc
	v_cmp_lt_i64_e32 vcc, v[4:5], v[12:13]
	v_cndmask_b32_e32 v11, v11, v9, vcc
	v_cndmask_b32_e32 v10, v10, v8, vcc
	s_waitcnt vmcnt(0)
	v_subrev_co_u32_e32 v8, vcc, s30, v15
	v_subbrev_co_u32_e32 v9, vcc, 0, v16, vcc
	v_cmp_ne_u64_e32 vcc, v[8:9], v[10:11]
	s_and_saveexec_b64 s[38:39], vcc
	s_cbranch_execz .LBB62_83
; %bb.76:
	s_load_dwordx2 s[0:1], s[18:19], 0x0
	s_waitcnt lgkmcnt(0)
	s_sub_u32 s0, s0, s30
	s_subb_u32 s1, s1, 0
	v_cmp_gt_i64_e32 vcc, s[0:1], v[4:5]
	s_and_b64 exec, exec, vcc
	s_cbranch_execz .LBB62_83
; %bb.77:
	v_cmp_gt_i64_e32 vcc, s[8:9], v[8:9]
	v_cmp_le_i64_e64 s[0:1], s[26:27], v[8:9]
	s_or_b64 s[0:1], vcc, s[0:1]
	s_and_saveexec_b64 s[40:41], s[0:1]
	s_xor_b64 s[0:1], exec, s[40:41]
	s_cbranch_execz .LBB62_81
; %bb.78:
	v_mov_b32_e32 v15, s23
	v_add_co_u32_e32 v10, vcc, s22, v10
	v_addc_co_u32_e32 v11, vcc, v15, v11, vcc
	global_load_sbyte v15, v[10:11], off
	v_lshlrev_b64 v[12:13], 2, v[8:9]
	v_mov_b32_e32 v11, s15
	v_add_co_u32_e32 v10, vcc, s14, v12
	v_addc_co_u32_e32 v11, vcc, v11, v13, vcc
	global_load_dword v13, v[10:11], off
	ds_read_b32 v12, v14
	s_mov_b64 s[40:41], 0
	s_waitcnt vmcnt(1)
	v_cvt_f32_i32_e32 v15, v15
	s_waitcnt lgkmcnt(0)
	v_mul_f32_e32 v15, v12, v15
.LBB62_79:                              ; =>This Inner Loop Header: Depth=1
	s_waitcnt vmcnt(0)
	v_add_f32_e32 v12, v13, v15
	global_atomic_cmpswap v12, v[10:11], v[12:13], off glc
	s_waitcnt vmcnt(0)
	v_cmp_eq_u32_e32 vcc, v12, v13
	s_or_b64 s[40:41], vcc, s[40:41]
	v_mov_b32_e32 v13, v12
	s_andn2_b64 exec, exec, s[40:41]
	s_cbranch_execnz .LBB62_79
; %bb.80:
	s_or_b64 exec, exec, s[40:41]
                                        ; implicit-def: $vgpr10_vgpr11
.LBB62_81:
	s_andn2_saveexec_b64 s[0:1], s[0:1]
	s_cbranch_execz .LBB62_83
; %bb.82:
	v_mov_b32_e32 v12, s23
	v_add_co_u32_e32 v10, vcc, s22, v10
	v_addc_co_u32_e32 v11, vcc, v12, v11, vcc
	global_load_sbyte v10, v[10:11], off
	ds_read_b32 v11, v14
	v_subrev_u32_e32 v12, s8, v8
	v_mov_b32_e32 v13, 0x1000
	v_lshl_add_u32 v12, v12, 2, v13
	s_waitcnt vmcnt(0)
	v_cvt_f32_i32_e32 v10, v10
	s_waitcnt lgkmcnt(0)
	v_mul_f32_e32 v10, v11, v10
	ds_add_f32 v12, v10
.LBB62_83:
	s_or_b64 exec, exec, s[38:39]
	v_mov_b32_e32 v10, s23
	v_add_co_u32_e32 v8, vcc, s22, v8
	v_addc_co_u32_e32 v9, vcc, v10, v9, vcc
	global_load_sbyte v9, v[8:9], off
	ds_read_b32 v12, v14
	v_add_co_u32_e32 v8, vcc, 0x100, v4
	v_cndmask_b32_e64 v13, 0, 1, s[2:3]
	v_mov_b32_e32 v10, s24
	v_cmp_ne_u32_e64 s[0:1], 1, v13
	v_mov_b32_e32 v11, s25
	s_waitcnt vmcnt(0)
	v_cvt_f32_i32_e32 v15, v9
	v_addc_co_u32_e32 v9, vcc, 0, v5, vcc
	s_andn2_b64 vcc, exec, s[2:3]
	s_waitcnt lgkmcnt(0)
	v_mul_f32_e32 v12, v12, v15
	ds_write_b32 v14, v12
	v_mov_b32_e32 v12, s20
	v_mov_b32_e32 v13, s21
	s_cbranch_vccnz .LBB62_87
; %bb.84:
	v_mov_b32_e32 v10, s24
	v_mov_b32_e32 v12, s20
	s_mov_b64 s[38:39], 0
	v_mov_b32_e32 v11, s25
	v_mov_b32_e32 v13, s21
	;; [unrolled: 1-line block ×3, first 2 shown]
.LBB62_85:                              ; =>This Inner Loop Header: Depth=1
	v_add_co_u32_e32 v16, vcc, v12, v10
	v_addc_co_u32_e32 v17, vcc, v13, v11, vcc
	v_lshrrev_b32_e32 v18, 31, v17
	v_add_co_u32_e32 v16, vcc, v16, v18
	v_addc_co_u32_e32 v17, vcc, 0, v17, vcc
	v_ashrrev_i64 v[16:17], 1, v[16:17]
	v_lshlrev_b64 v[18:19], 3, v[16:17]
	v_add_co_u32_e32 v18, vcc, s16, v18
	v_addc_co_u32_e32 v19, vcc, v15, v19, vcc
	global_load_dwordx2 v[18:19], v[18:19], off
	s_waitcnt vmcnt(0)
	v_subrev_co_u32_e32 v18, vcc, s30, v18
	v_subbrev_co_u32_e32 v19, vcc, 0, v19, vcc
	v_cmp_lt_i64_e32 vcc, v[8:9], v[18:19]
	v_cndmask_b32_e32 v12, v12, v16, vcc
	v_cndmask_b32_e32 v13, v13, v17, vcc
	;; [unrolled: 1-line block ×3, first 2 shown]
	v_add_co_u32_e64 v16, s[2:3], -1, v12
	v_cndmask_b32_e32 v11, v17, v11, vcc
	v_addc_co_u32_e64 v17, s[2:3], -1, v13, s[2:3]
	v_cmp_ge_i64_e32 vcc, v[10:11], v[12:13]
	v_cmp_eq_u64_e64 s[2:3], v[10:11], v[16:17]
	s_or_b64 s[2:3], vcc, s[2:3]
	s_and_b64 s[2:3], exec, s[2:3]
	s_or_b64 s[38:39], s[2:3], s[38:39]
	s_andn2_b64 exec, exec, s[38:39]
	s_cbranch_execnz .LBB62_85
; %bb.86:
	s_or_b64 exec, exec, s[38:39]
.LBB62_87:
	v_lshlrev_b64 v[15:16], 3, v[12:13]
	v_mov_b32_e32 v17, s17
	v_add_co_u32_e32 v15, vcc, s16, v15
	v_addc_co_u32_e32 v16, vcc, v17, v16, vcc
	global_load_dwordx2 v[17:18], v[15:16], off
	global_load_dwordx2 v[19:20], v[6:7], off offset:2048
	s_waitcnt vmcnt(1)
	v_subrev_co_u32_e32 v15, vcc, s30, v17
	v_subbrev_co_u32_e32 v16, vcc, 0, v18, vcc
	v_cmp_lt_i64_e32 vcc, v[8:9], v[15:16]
	v_cndmask_b32_e32 v13, v13, v11, vcc
	v_cndmask_b32_e32 v12, v12, v10, vcc
	s_waitcnt vmcnt(0)
	v_subrev_co_u32_e32 v10, vcc, s30, v19
	v_subbrev_co_u32_e32 v11, vcc, 0, v20, vcc
	v_cmp_ne_u64_e32 vcc, v[10:11], v[12:13]
	s_and_saveexec_b64 s[38:39], vcc
	s_cbranch_execz .LBB62_95
; %bb.88:
	s_load_dwordx2 s[2:3], s[18:19], 0x0
	s_waitcnt lgkmcnt(0)
	s_sub_u32 s2, s2, s30
	s_subb_u32 s3, s3, 0
	v_cmp_gt_i64_e32 vcc, s[2:3], v[8:9]
	s_and_b64 exec, exec, vcc
	s_cbranch_execz .LBB62_95
; %bb.89:
	v_cmp_gt_i64_e32 vcc, s[8:9], v[10:11]
	v_cmp_le_i64_e64 s[2:3], s[26:27], v[10:11]
	s_or_b64 s[2:3], vcc, s[2:3]
	s_and_saveexec_b64 s[40:41], s[2:3]
	s_xor_b64 s[2:3], exec, s[40:41]
	s_cbranch_execz .LBB62_93
; %bb.90:
	v_mov_b32_e32 v15, s23
	v_add_co_u32_e32 v12, vcc, s22, v12
	v_addc_co_u32_e32 v13, vcc, v15, v13, vcc
	global_load_sbyte v12, v[12:13], off
	v_lshlrev_b64 v[8:9], 2, v[10:11]
	v_mov_b32_e32 v13, s15
	v_add_co_u32_e32 v8, vcc, s14, v8
	v_addc_co_u32_e32 v9, vcc, v13, v9, vcc
	global_load_dword v13, v[8:9], off
	ds_read_b32 v15, v14 offset:1024
	s_mov_b64 s[40:41], 0
	s_waitcnt vmcnt(1)
	v_cvt_f32_i32_e32 v12, v12
	s_waitcnt lgkmcnt(0)
	v_mul_f32_e32 v15, v15, v12
.LBB62_91:                              ; =>This Inner Loop Header: Depth=1
	s_waitcnt vmcnt(0)
	v_add_f32_e32 v12, v13, v15
	global_atomic_cmpswap v12, v[8:9], v[12:13], off glc
	s_waitcnt vmcnt(0)
	v_cmp_eq_u32_e32 vcc, v12, v13
	s_or_b64 s[40:41], vcc, s[40:41]
	v_mov_b32_e32 v13, v12
	s_andn2_b64 exec, exec, s[40:41]
	s_cbranch_execnz .LBB62_91
; %bb.92:
	s_or_b64 exec, exec, s[40:41]
                                        ; implicit-def: $vgpr12_vgpr13
.LBB62_93:
	s_andn2_saveexec_b64 s[2:3], s[2:3]
	s_cbranch_execz .LBB62_95
; %bb.94:
	v_mov_b32_e32 v9, s23
	v_add_co_u32_e32 v8, vcc, s22, v12
	v_addc_co_u32_e32 v9, vcc, v9, v13, vcc
	global_load_sbyte v8, v[8:9], off
	ds_read_b32 v9, v14 offset:1024
	v_subrev_u32_e32 v12, s8, v10
	v_mov_b32_e32 v13, 0x1000
	v_lshl_add_u32 v12, v12, 2, v13
	s_waitcnt vmcnt(0)
	v_cvt_f32_i32_e32 v8, v8
	s_waitcnt lgkmcnt(0)
	v_mul_f32_e32 v8, v9, v8
	ds_add_f32 v12, v8
.LBB62_95:
	s_or_b64 exec, exec, s[38:39]
	v_mov_b32_e32 v9, s23
	v_add_co_u32_e32 v8, vcc, s22, v10
	v_addc_co_u32_e32 v9, vcc, v9, v11, vcc
	global_load_sbyte v10, v[8:9], off
	ds_read_b32 v11, v14 offset:1024
	v_add_co_u32_e32 v4, vcc, 0x200, v4
	v_mov_b32_e32 v8, s24
	v_addc_co_u32_e32 v5, vcc, 0, v5, vcc
	v_mov_b32_e32 v9, s25
	s_and_b64 vcc, exec, s[0:1]
	s_waitcnt vmcnt(0)
	v_cvt_f32_i32_e32 v10, v10
	s_waitcnt lgkmcnt(0)
	v_mul_f32_e32 v10, v11, v10
	ds_write_b32 v14, v10 offset:1024
	v_mov_b32_e32 v10, s20
	v_mov_b32_e32 v11, s21
	s_cbranch_vccnz .LBB62_99
; %bb.96:
	v_mov_b32_e32 v8, s24
	v_mov_b32_e32 v10, s20
	s_mov_b64 s[38:39], 0
	v_mov_b32_e32 v9, s25
	v_mov_b32_e32 v11, s21
	;; [unrolled: 1-line block ×3, first 2 shown]
.LBB62_97:                              ; =>This Inner Loop Header: Depth=1
	v_add_co_u32_e32 v13, vcc, v10, v8
	v_addc_co_u32_e32 v16, vcc, v11, v9, vcc
	v_lshrrev_b32_e32 v15, 31, v16
	v_add_co_u32_e32 v15, vcc, v13, v15
	v_addc_co_u32_e32 v16, vcc, 0, v16, vcc
	v_ashrrev_i64 v[15:16], 1, v[15:16]
	v_lshlrev_b64 v[17:18], 3, v[15:16]
	v_add_co_u32_e32 v17, vcc, s16, v17
	v_addc_co_u32_e32 v18, vcc, v12, v18, vcc
	global_load_dwordx2 v[17:18], v[17:18], off
	s_waitcnt vmcnt(0)
	v_subrev_co_u32_e32 v17, vcc, s30, v17
	v_subbrev_co_u32_e32 v18, vcc, 0, v18, vcc
	v_cmp_lt_i64_e32 vcc, v[4:5], v[17:18]
	v_cndmask_b32_e32 v10, v10, v15, vcc
	v_cndmask_b32_e32 v11, v11, v16, vcc
	;; [unrolled: 1-line block ×3, first 2 shown]
	v_add_co_u32_e64 v15, s[2:3], -1, v10
	v_cndmask_b32_e32 v9, v16, v9, vcc
	v_addc_co_u32_e64 v16, s[2:3], -1, v11, s[2:3]
	v_cmp_ge_i64_e32 vcc, v[8:9], v[10:11]
	v_cmp_eq_u64_e64 s[2:3], v[8:9], v[15:16]
	s_or_b64 s[2:3], vcc, s[2:3]
	s_and_b64 s[2:3], exec, s[2:3]
	s_or_b64 s[38:39], s[2:3], s[38:39]
	s_andn2_b64 exec, exec, s[38:39]
	s_cbranch_execnz .LBB62_97
; %bb.98:
	s_or_b64 exec, exec, s[38:39]
.LBB62_99:
	v_lshlrev_b64 v[12:13], 3, v[10:11]
	v_mov_b32_e32 v15, s17
	v_add_co_u32_e32 v12, vcc, s16, v12
	v_addc_co_u32_e32 v13, vcc, v15, v13, vcc
	global_load_dwordx2 v[12:13], v[12:13], off
	v_add_co_u32_e32 v15, vcc, 0x1000, v6
	v_addc_co_u32_e32 v16, vcc, 0, v7, vcc
	global_load_dwordx2 v[15:16], v[15:16], off
	s_waitcnt vmcnt(1)
	v_subrev_co_u32_e32 v12, vcc, s30, v12
	v_subbrev_co_u32_e32 v13, vcc, 0, v13, vcc
	v_cmp_lt_i64_e32 vcc, v[4:5], v[12:13]
	v_cndmask_b32_e32 v11, v11, v9, vcc
	v_cndmask_b32_e32 v10, v10, v8, vcc
	s_waitcnt vmcnt(0)
	v_subrev_co_u32_e32 v8, vcc, s30, v15
	v_subbrev_co_u32_e32 v9, vcc, 0, v16, vcc
	v_cmp_ne_u64_e32 vcc, v[8:9], v[10:11]
	s_and_saveexec_b64 s[38:39], vcc
	s_cbranch_execz .LBB62_107
; %bb.100:
	s_load_dwordx2 s[2:3], s[18:19], 0x0
	s_waitcnt lgkmcnt(0)
	s_sub_u32 s2, s2, s30
	s_subb_u32 s3, s3, 0
	v_cmp_gt_i64_e32 vcc, s[2:3], v[4:5]
	s_and_b64 exec, exec, vcc
	s_cbranch_execz .LBB62_107
; %bb.101:
	v_cmp_gt_i64_e32 vcc, s[8:9], v[8:9]
	v_cmp_le_i64_e64 s[2:3], s[26:27], v[8:9]
	s_or_b64 s[2:3], vcc, s[2:3]
	s_and_saveexec_b64 s[40:41], s[2:3]
	s_xor_b64 s[2:3], exec, s[40:41]
	s_cbranch_execz .LBB62_105
; %bb.102:
	v_mov_b32_e32 v12, s23
	v_add_co_u32_e32 v10, vcc, s22, v10
	v_addc_co_u32_e32 v11, vcc, v12, v11, vcc
	global_load_sbyte v10, v[10:11], off
	v_lshlrev_b64 v[4:5], 2, v[8:9]
	v_mov_b32_e32 v11, s15
	v_add_co_u32_e32 v4, vcc, s14, v4
	v_addc_co_u32_e32 v5, vcc, v11, v5, vcc
	global_load_dword v11, v[4:5], off
	ds_read_b32 v12, v14 offset:2048
	s_mov_b64 s[40:41], 0
	s_waitcnt vmcnt(1)
	v_cvt_f32_i32_e32 v10, v10
	s_waitcnt lgkmcnt(0)
	v_mul_f32_e32 v12, v12, v10
.LBB62_103:                             ; =>This Inner Loop Header: Depth=1
	s_waitcnt vmcnt(0)
	v_add_f32_e32 v10, v11, v12
	global_atomic_cmpswap v10, v[4:5], v[10:11], off glc
	s_waitcnt vmcnt(0)
	v_cmp_eq_u32_e32 vcc, v10, v11
	s_or_b64 s[40:41], vcc, s[40:41]
	v_mov_b32_e32 v11, v10
	s_andn2_b64 exec, exec, s[40:41]
	s_cbranch_execnz .LBB62_103
; %bb.104:
	s_or_b64 exec, exec, s[40:41]
                                        ; implicit-def: $vgpr10_vgpr11
.LBB62_105:
	s_andn2_saveexec_b64 s[2:3], s[2:3]
	s_cbranch_execz .LBB62_107
; %bb.106:
	v_mov_b32_e32 v5, s23
	v_add_co_u32_e32 v4, vcc, s22, v10
	v_addc_co_u32_e32 v5, vcc, v5, v11, vcc
	global_load_sbyte v4, v[4:5], off
	ds_read_b32 v5, v14 offset:2048
	v_subrev_u32_e32 v10, s8, v8
	v_mov_b32_e32 v11, 0x1000
	v_lshl_add_u32 v10, v10, 2, v11
	s_waitcnt vmcnt(0)
	v_cvt_f32_i32_e32 v4, v4
	s_waitcnt lgkmcnt(0)
	v_mul_f32_e32 v4, v5, v4
	ds_add_f32 v10, v4
.LBB62_107:
	s_or_b64 exec, exec, s[38:39]
	v_mov_b32_e32 v5, s23
	v_add_co_u32_e32 v4, vcc, s22, v8
	v_addc_co_u32_e32 v5, vcc, v5, v9, vcc
	global_load_sbyte v4, v[4:5], off
	ds_read_b32 v8, v14 offset:2048
	s_and_b64 vcc, exec, s[0:1]
	s_waitcnt vmcnt(0)
	v_cvt_f32_i32_e32 v9, v4
	v_mov_b32_e32 v4, s24
	v_mov_b32_e32 v5, s25
	s_waitcnt lgkmcnt(0)
	v_mul_f32_e32 v8, v8, v9
	ds_write_b32 v14, v8 offset:2048
	v_mov_b32_e32 v8, s20
	v_mov_b32_e32 v9, s21
	s_cbranch_vccnz .LBB62_111
; %bb.108:
	v_mov_b32_e32 v4, s24
	v_mov_b32_e32 v8, s20
	s_mov_b64 s[2:3], 0
	v_mov_b32_e32 v5, s25
	v_mov_b32_e32 v9, s21
	v_mov_b32_e32 v10, s17
.LBB62_109:                             ; =>This Inner Loop Header: Depth=1
	v_add_co_u32_e32 v11, vcc, v8, v4
	v_addc_co_u32_e32 v12, vcc, v9, v5, vcc
	v_lshrrev_b32_e32 v13, 31, v12
	v_add_co_u32_e32 v11, vcc, v11, v13
	v_addc_co_u32_e32 v12, vcc, 0, v12, vcc
	v_ashrrev_i64 v[11:12], 1, v[11:12]
	v_lshlrev_b64 v[15:16], 3, v[11:12]
	v_add_co_u32_e32 v15, vcc, s16, v15
	v_addc_co_u32_e32 v16, vcc, v10, v16, vcc
	global_load_dwordx2 v[15:16], v[15:16], off
	s_waitcnt vmcnt(0)
	v_subrev_co_u32_e32 v15, vcc, s30, v15
	v_subbrev_co_u32_e32 v16, vcc, 0, v16, vcc
	v_cmp_lt_i64_e32 vcc, v[2:3], v[15:16]
	v_cndmask_b32_e32 v8, v8, v11, vcc
	v_cndmask_b32_e32 v9, v9, v12, vcc
	;; [unrolled: 1-line block ×3, first 2 shown]
	v_add_co_u32_e64 v11, s[0:1], -1, v8
	v_cndmask_b32_e32 v5, v12, v5, vcc
	v_addc_co_u32_e64 v12, s[0:1], -1, v9, s[0:1]
	v_cmp_ge_i64_e32 vcc, v[4:5], v[8:9]
	v_cmp_eq_u64_e64 s[0:1], v[4:5], v[11:12]
	s_or_b64 s[0:1], vcc, s[0:1]
	s_and_b64 s[0:1], exec, s[0:1]
	s_or_b64 s[2:3], s[0:1], s[2:3]
	s_andn2_b64 exec, exec, s[2:3]
	s_cbranch_execnz .LBB62_109
; %bb.110:
	s_or_b64 exec, exec, s[2:3]
.LBB62_111:
	v_lshlrev_b64 v[10:11], 3, v[8:9]
	v_mov_b32_e32 v12, s17
	v_add_co_u32_e32 v10, vcc, s16, v10
	v_addc_co_u32_e32 v11, vcc, v12, v11, vcc
	global_load_dwordx2 v[10:11], v[10:11], off
	v_add_co_u32_e32 v6, vcc, 0x1000, v6
	v_addc_co_u32_e32 v7, vcc, 0, v7, vcc
	global_load_dwordx2 v[12:13], v[6:7], off offset:2048
	s_waitcnt vmcnt(1)
	v_subrev_co_u32_e32 v6, vcc, s30, v10
	v_subbrev_co_u32_e32 v7, vcc, 0, v11, vcc
	v_cmp_lt_i64_e32 vcc, v[2:3], v[6:7]
	v_cndmask_b32_e32 v7, v9, v5, vcc
	v_cndmask_b32_e32 v6, v8, v4, vcc
	s_waitcnt vmcnt(0)
	v_subrev_co_u32_e32 v4, vcc, s30, v12
	v_subbrev_co_u32_e32 v5, vcc, 0, v13, vcc
	v_cmp_ne_u64_e32 vcc, v[4:5], v[6:7]
	s_and_saveexec_b64 s[2:3], vcc
	s_cbranch_execz .LBB62_119
; %bb.112:
	s_load_dwordx2 s[0:1], s[18:19], 0x0
	s_waitcnt lgkmcnt(0)
	s_sub_u32 s0, s0, s30
	s_subb_u32 s1, s1, 0
	v_cmp_gt_i64_e32 vcc, s[0:1], v[2:3]
	s_and_b64 exec, exec, vcc
	s_cbranch_execz .LBB62_119
; %bb.113:
	v_cmp_gt_i64_e32 vcc, s[8:9], v[4:5]
	v_cmp_le_i64_e64 s[0:1], s[26:27], v[4:5]
	s_or_b64 s[0:1], vcc, s[0:1]
	s_and_saveexec_b64 s[18:19], s[0:1]
	s_xor_b64 s[0:1], exec, s[18:19]
	s_cbranch_execz .LBB62_117
; %bb.114:
	v_mov_b32_e32 v8, s23
	v_add_co_u32_e32 v6, vcc, s22, v6
	v_addc_co_u32_e32 v7, vcc, v8, v7, vcc
	global_load_sbyte v6, v[6:7], off
	v_lshlrev_b64 v[2:3], 2, v[4:5]
	v_mov_b32_e32 v7, s15
	v_add_co_u32_e32 v2, vcc, s14, v2
	v_addc_co_u32_e32 v3, vcc, v7, v3, vcc
	global_load_dword v7, v[2:3], off
	ds_read_b32 v8, v14 offset:3072
	s_mov_b64 s[18:19], 0
	s_waitcnt vmcnt(1)
	v_cvt_f32_i32_e32 v6, v6
	s_waitcnt lgkmcnt(0)
	v_mul_f32_e32 v8, v8, v6
.LBB62_115:                             ; =>This Inner Loop Header: Depth=1
	s_waitcnt vmcnt(0)
	v_add_f32_e32 v6, v7, v8
	global_atomic_cmpswap v6, v[2:3], v[6:7], off glc
	s_waitcnt vmcnt(0)
	v_cmp_eq_u32_e32 vcc, v6, v7
	s_or_b64 s[18:19], vcc, s[18:19]
	v_mov_b32_e32 v7, v6
	s_andn2_b64 exec, exec, s[18:19]
	s_cbranch_execnz .LBB62_115
; %bb.116:
	s_or_b64 exec, exec, s[18:19]
                                        ; implicit-def: $vgpr6_vgpr7
.LBB62_117:
	s_andn2_saveexec_b64 s[0:1], s[0:1]
	s_cbranch_execz .LBB62_119
; %bb.118:
	v_mov_b32_e32 v3, s23
	v_add_co_u32_e32 v2, vcc, s22, v6
	v_addc_co_u32_e32 v3, vcc, v3, v7, vcc
	global_load_sbyte v2, v[2:3], off
	ds_read_b32 v3, v14 offset:3072
	v_subrev_u32_e32 v6, s8, v4
	v_mov_b32_e32 v7, 0x1000
	v_lshl_add_u32 v6, v6, 2, v7
	s_waitcnt vmcnt(0)
	v_cvt_f32_i32_e32 v2, v2
	s_waitcnt lgkmcnt(0)
	v_mul_f32_e32 v2, v3, v2
	ds_add_f32 v6, v2
.LBB62_119:
	s_or_b64 exec, exec, s[2:3]
	v_mov_b32_e32 v3, s23
	v_add_co_u32_e32 v2, vcc, s22, v4
	v_addc_co_u32_e32 v3, vcc, v3, v5, vcc
	global_load_sbyte v2, v[2:3], off
	ds_read_b32 v3, v14 offset:3072
	s_waitcnt vmcnt(0)
	v_cvt_f32_i32_e32 v2, v2
	s_waitcnt lgkmcnt(0)
	v_mul_f32_e32 v2, v3, v2
	ds_write_b32 v14, v2 offset:3072
.LBB62_120:
	s_or_b64 exec, exec, s[4:5]
	v_mov_b32_e32 v2, s10
	v_mov_b32_e32 v3, s11
	v_cmp_lt_i64_e32 vcc, s[26:27], v[2:3]
	s_waitcnt lgkmcnt(0)
	s_and_b64 s[0:1], vcc, exec
	s_cselect_b32 s10, s26, s10
	s_cselect_b32 s0, s27, s11
	s_sub_u32 s2, s10, s28
	s_subb_u32 s3, s0, s29
	v_cmp_gt_i64_e32 vcc, s[2:3], v[0:1]
	s_barrier
	s_and_saveexec_b64 s[0:1], vcc
	s_cbranch_execz .LBB62_125
; %bb.121:
	s_lshl_b64 s[4:5], s[8:9], 2
	s_add_u32 s11, s14, s4
	s_addc_u32 s8, s15, s5
	v_mov_b32_e32 v3, v1
	s_mov_b64 s[4:5], 0
	v_mov_b32_e32 v8, s8
	v_mov_b32_e32 v9, 0x1000
	;; [unrolled: 1-line block ×3, first 2 shown]
.LBB62_122:                             ; =>This Loop Header: Depth=1
                                        ;     Child Loop BB62_123 Depth 2
	v_lshlrev_b64 v[4:5], 2, v[2:3]
	v_lshl_add_u32 v6, v2, 2, v9
	v_add_co_u32_e32 v4, vcc, s11, v4
	v_addc_co_u32_e32 v5, vcc, v8, v5, vcc
	global_load_dword v7, v[4:5], off
	ds_read_b32 v10, v6
	s_mov_b64 s[8:9], 0
.LBB62_123:                             ;   Parent Loop BB62_122 Depth=1
                                        ; =>  This Inner Loop Header: Depth=2
	s_waitcnt vmcnt(0) lgkmcnt(0)
	v_add_f32_e32 v6, v7, v10
	global_atomic_cmpswap v6, v[4:5], v[6:7], off glc
	s_waitcnt vmcnt(0)
	v_cmp_eq_u32_e32 vcc, v6, v7
	s_or_b64 s[8:9], vcc, s[8:9]
	v_mov_b32_e32 v7, v6
	s_andn2_b64 exec, exec, s[8:9]
	s_cbranch_execnz .LBB62_123
; %bb.124:                              ;   in Loop: Header=BB62_122 Depth=1
	s_or_b64 exec, exec, s[8:9]
	v_add_co_u32_e32 v2, vcc, 0x100, v2
	v_addc_co_u32_e32 v3, vcc, 0, v3, vcc
	v_cmp_le_i64_e32 vcc, s[2:3], v[2:3]
	s_or_b64 s[4:5], vcc, s[4:5]
	s_andn2_b64 exec, exec, s[4:5]
	s_cbranch_execnz .LBB62_122
.LBB62_125:
	s_or_b64 exec, exec, s[0:1]
	s_add_i32 s0, s36, -1
	s_ashr_i32 s1, s0, 1
	s_or_b32 s0, s1, s0
	s_ashr_i32 s1, s0, 2
	s_or_b32 s0, s1, s0
	;; [unrolled: 2-line block ×5, first 2 shown]
	s_add_i32 s0, s0, 1
	s_ashr_i32 s3, s0, 1
	v_mov_b32_e32 v2, s25
	v_add_co_u32_e32 v6, vcc, s24, v0
	v_addc_co_u32_e32 v7, vcc, 0, v2, vcc
	s_cmp_gt_i32 s3, 1
	s_mov_b64 s[0:1], -1
	s_barrier
	s_cbranch_scc1 .LBB62_136
; %bb.126:
	v_cmp_gt_i64_e32 vcc, s[26:27], v[6:7]
	s_and_saveexec_b64 s[0:1], vcc
	s_cbranch_execz .LBB62_135
; %bb.127:
	s_sub_i32 s4, s10, s26
	s_lshl_b32 s4, s4, 2
	s_add_i32 s13, s4, 0x1000
	s_lshl_b32 s4, s6, 2
	v_mov_b32_e32 v9, v7
	s_sub_i32 s18, 0, s4
	s_mov_b64 s[4:5], 0
	v_mov_b32_e32 v12, s17
	v_mov_b32_e32 v13, s15
	v_mov_b32_e32 v8, v6
.LBB62_128:                             ; =>This Loop Header: Depth=1
                                        ;     Child Loop BB62_130 Depth 2
                                        ;     Child Loop BB62_133 Depth 2
	v_lshlrev_b64 v[2:3], 3, v[8:9]
	v_mov_b32_e32 v15, 0
	v_add_co_u32_e32 v2, vcc, s16, v2
	v_addc_co_u32_e32 v3, vcc, v12, v3, vcc
	global_load_dwordx4 v[2:5], v[2:3], off
	s_waitcnt vmcnt(0)
	v_cmp_lt_i64_e32 vcc, v[2:3], v[4:5]
	s_and_saveexec_b64 s[8:9], vcc
	s_cbranch_execz .LBB62_132
; %bb.129:                              ;   in Loop: Header=BB62_128 Depth=1
	v_mov_b32_e32 v10, s7
	v_subrev_co_u32_e32 v4, vcc, s6, v4
	v_subb_co_u32_e32 v5, vcc, v5, v10, vcc
	v_mov_b32_e32 v11, s7
	v_subrev_co_u32_e32 v10, vcc, s6, v2
	v_subb_co_u32_e32 v11, vcc, v3, v11, vcc
	v_lshl_add_u32 v2, v2, 2, s18
	v_mov_b32_e32 v15, 0
	s_mov_b64 s[10:11], 0
.LBB62_130:                             ;   Parent Loop BB62_128 Depth=1
                                        ; =>  This Inner Loop Header: Depth=2
	ds_read_b32 v3, v2
	v_add_co_u32_e32 v10, vcc, 1, v10
	v_addc_co_u32_e32 v11, vcc, 0, v11, vcc
	v_cmp_ge_i64_e32 vcc, v[10:11], v[4:5]
	v_add_u32_e32 v2, 4, v2
	s_or_b64 s[10:11], vcc, s[10:11]
	s_waitcnt lgkmcnt(0)
	v_add_f32_e32 v15, v15, v3
	s_andn2_b64 exec, exec, s[10:11]
	s_cbranch_execnz .LBB62_130
; %bb.131:                              ;   in Loop: Header=BB62_128 Depth=1
	s_or_b64 exec, exec, s[10:11]
.LBB62_132:                             ;   in Loop: Header=BB62_128 Depth=1
	s_or_b64 exec, exec, s[8:9]
	v_lshlrev_b64 v[2:3], 2, v[8:9]
	v_lshl_add_u32 v4, v8, 2, s13
	v_add_co_u32_e32 v2, vcc, s14, v2
	v_addc_co_u32_e32 v3, vcc, v13, v3, vcc
	global_load_dword v5, v[2:3], off
	ds_read_b32 v4, v4
	s_mov_b64 s[8:9], 0
	s_waitcnt lgkmcnt(0)
	v_add_f32_e32 v10, v15, v4
.LBB62_133:                             ;   Parent Loop BB62_128 Depth=1
                                        ; =>  This Inner Loop Header: Depth=2
	s_waitcnt vmcnt(0)
	v_add_f32_e32 v4, v5, v10
	global_atomic_cmpswap v4, v[2:3], v[4:5], off glc
	s_waitcnt vmcnt(0)
	v_cmp_eq_u32_e32 vcc, v4, v5
	s_or_b64 s[8:9], vcc, s[8:9]
	v_mov_b32_e32 v5, v4
	s_andn2_b64 exec, exec, s[8:9]
	s_cbranch_execnz .LBB62_133
; %bb.134:                              ;   in Loop: Header=BB62_128 Depth=1
	s_or_b64 exec, exec, s[8:9]
	v_add_co_u32_e32 v8, vcc, s12, v8
	v_addc_co_u32_e32 v9, vcc, 0, v9, vcc
	v_cmp_le_i64_e32 vcc, s[26:27], v[8:9]
	s_or_b64 s[4:5], vcc, s[4:5]
	s_andn2_b64 exec, exec, s[4:5]
	s_cbranch_execnz .LBB62_128
.LBB62_135:
	s_or_b64 exec, exec, s[0:1]
	s_mov_b64 s[0:1], 0
.LBB62_136:
	s_andn2_b64 vcc, exec, s[0:1]
	s_cbranch_vccnz .LBB62_154
; %bb.137:
	v_cvt_f32_u32_e32 v2, s3
	s_sub_i32 s8, 0, s3
	v_mov_b32_e32 v5, 0
	v_mov_b32_e32 v8, s35
	v_rcp_iflag_f32_e32 v2, v2
	v_mov_b32_e32 v13, s7
	v_mul_f32_e32 v2, 0x4f7ffffe, v2
	v_cvt_u32_f32_e32 v2, v2
	v_mul_lo_u32 v3, s8, v2
	v_mul_hi_u32 v3, v2, v3
	v_add_u32_e32 v2, v2, v3
	v_mul_hi_u32 v2, v0, v2
	v_mul_lo_u32 v3, v2, s3
	v_add_u32_e32 v4, 1, v2
	v_sub_u32_e32 v3, v0, v3
	v_cmp_le_u32_e32 vcc, s3, v3
	v_cndmask_b32_e32 v2, v2, v4, vcc
	v_subrev_u32_e32 v4, s3, v3
	v_cndmask_b32_e32 v3, v3, v4, vcc
	v_add_u32_e32 v4, 1, v2
	v_cmp_le_u32_e32 vcc, s3, v3
	v_cndmask_b32_e32 v4, v2, v4, vcc
	v_lshlrev_b64 v[2:3], 3, v[4:5]
	v_add_co_u32_e32 v2, vcc, s34, v2
	v_addc_co_u32_e32 v3, vcc, v8, v3, vcc
	global_load_dwordx4 v[8:11], v[2:3], off
	v_mov_b32_e32 v3, s7
	s_waitcnt vmcnt(0)
	v_subrev_co_u32_e32 v2, vcc, s6, v8
	v_subb_co_u32_e32 v3, vcc, v9, v3, vcc
	v_subrev_co_u32_e32 v12, vcc, s6, v10
	v_subb_co_u32_e32 v13, vcc, v11, v13, vcc
	v_sub_co_u32_e32 v11, vcc, v12, v2
	v_subb_co_u32_e32 v10, vcc, v13, v3, vcc
	v_mov_b32_e32 v9, v5
	v_cmp_ne_u64_e32 vcc, 0, v[9:10]
                                        ; implicit-def: $vgpr8_vgpr9
	s_and_saveexec_b64 s[0:1], vcc
	s_xor_b64 s[4:5], exec, s[0:1]
	s_cbranch_execz .LBB62_139
; %bb.138:
	s_add_u32 s0, s3, 0
	s_addc_u32 s1, 0, 0
	s_xor_b64 s[6:7], s[0:1], 0
	v_cvt_f32_u32_e32 v8, s6
	v_cvt_f32_u32_e32 v9, s7
	s_sub_u32 s9, 0, s6
	s_subb_u32 s10, 0, s7
	v_ashrrev_i32_e32 v15, 31, v10
	v_madmk_f32 v8, v9, 0x4f800000, v8
	v_rcp_f32_e32 v8, v8
	v_mul_f32_e32 v8, 0x5f7ffffc, v8
	v_mul_f32_e32 v9, 0x2f800000, v8
	v_trunc_f32_e32 v9, v9
	v_madmk_f32 v8, v9, 0xcf800000, v8
	v_cvt_u32_f32_e32 v9, v9
	v_cvt_u32_f32_e32 v8, v8
	v_readfirstlane_b32 s11, v9
	v_readfirstlane_b32 s0, v8
	s_mul_i32 s1, s9, s11
	s_mul_hi_u32 s13, s9, s0
	s_mul_i32 s12, s10, s0
	s_add_i32 s1, s13, s1
	s_mul_i32 s16, s9, s0
	s_add_i32 s1, s1, s12
	s_mul_i32 s13, s0, s1
	s_mul_hi_u32 s17, s0, s16
	s_mul_hi_u32 s12, s0, s1
	s_add_u32 s13, s17, s13
	s_addc_u32 s12, 0, s12
	s_mul_hi_u32 s18, s11, s16
	s_mul_i32 s16, s11, s16
	s_add_u32 s13, s13, s16
	s_mul_hi_u32 s17, s11, s1
	s_addc_u32 s12, s12, s18
	s_addc_u32 s13, s17, 0
	s_mul_i32 s1, s11, s1
	s_add_u32 s1, s12, s1
	s_addc_u32 s12, 0, s13
	s_add_u32 s13, s0, s1
	s_cselect_b64 s[0:1], -1, 0
	s_cmp_lg_u64 s[0:1], 0
	s_addc_u32 s11, s11, s12
	s_mul_i32 s0, s9, s11
	s_mul_hi_u32 s1, s9, s13
	s_add_i32 s0, s1, s0
	s_mul_i32 s10, s10, s13
	s_add_i32 s0, s0, s10
	s_mul_i32 s9, s9, s13
	s_mul_hi_u32 s10, s11, s9
	s_mul_i32 s12, s11, s9
	s_mul_i32 s17, s13, s0
	s_mul_hi_u32 s9, s13, s9
	s_mul_hi_u32 s16, s13, s0
	s_add_u32 s9, s9, s17
	s_addc_u32 s16, 0, s16
	s_add_u32 s9, s9, s12
	s_mul_hi_u32 s1, s11, s0
	s_addc_u32 s9, s16, s10
	s_addc_u32 s1, s1, 0
	s_mul_i32 s0, s11, s0
	s_add_u32 s0, s9, s0
	s_addc_u32 s9, 0, s1
	s_add_u32 s10, s13, s0
	s_cselect_b64 s[0:1], -1, 0
	s_cmp_lg_u64 s[0:1], 0
	v_add_co_u32_e32 v8, vcc, v11, v15
	s_addc_u32 s9, s11, s9
	v_xor_b32_e32 v16, v8, v15
	v_mad_u64_u32 v[8:9], s[0:1], v16, s9, 0
	v_mul_hi_u32 v11, v16, s10
	v_addc_co_u32_e32 v10, vcc, v10, v15, vcc
	v_xor_b32_e32 v17, v10, v15
	v_add_co_u32_e32 v18, vcc, v11, v8
	v_addc_co_u32_e32 v19, vcc, 0, v9, vcc
	v_mad_u64_u32 v[8:9], s[0:1], v17, s10, 0
	v_mad_u64_u32 v[10:11], s[0:1], v17, s9, 0
	v_add_co_u32_e32 v8, vcc, v18, v8
	v_addc_co_u32_e32 v8, vcc, v19, v9, vcc
	v_addc_co_u32_e32 v9, vcc, 0, v11, vcc
	v_add_co_u32_e32 v10, vcc, v8, v10
	v_addc_co_u32_e32 v11, vcc, 0, v9, vcc
	v_mul_lo_u32 v18, s7, v10
	v_mul_lo_u32 v19, s6, v11
	v_mad_u64_u32 v[8:9], s[0:1], s6, v10, 0
	v_add3_u32 v9, v9, v19, v18
	v_sub_u32_e32 v18, v17, v9
	v_mov_b32_e32 v19, s7
	v_sub_co_u32_e32 v8, vcc, v16, v8
	v_subb_co_u32_e64 v16, s[0:1], v18, v19, vcc
	v_subrev_co_u32_e64 v18, s[0:1], s6, v8
	v_subbrev_co_u32_e64 v16, s[0:1], 0, v16, s[0:1]
	v_cmp_le_u32_e64 s[0:1], s7, v16
	v_cndmask_b32_e64 v19, 0, -1, s[0:1]
	v_cmp_le_u32_e64 s[0:1], s6, v18
	v_cndmask_b32_e64 v18, 0, -1, s[0:1]
	v_cmp_eq_u32_e64 s[0:1], s7, v16
	v_cndmask_b32_e64 v16, v19, v18, s[0:1]
	v_add_co_u32_e64 v18, s[0:1], 2, v10
	v_subb_co_u32_e32 v9, vcc, v17, v9, vcc
	v_addc_co_u32_e64 v19, s[0:1], 0, v11, s[0:1]
	v_cmp_le_u32_e32 vcc, s7, v9
	v_add_co_u32_e64 v20, s[0:1], 1, v10
	v_cndmask_b32_e64 v17, 0, -1, vcc
	v_cmp_le_u32_e32 vcc, s6, v8
	v_addc_co_u32_e64 v21, s[0:1], 0, v11, s[0:1]
	v_cndmask_b32_e64 v8, 0, -1, vcc
	v_cmp_eq_u32_e32 vcc, s7, v9
	v_cmp_ne_u32_e64 s[0:1], 0, v16
	v_cndmask_b32_e32 v8, v17, v8, vcc
	v_cndmask_b32_e64 v16, v21, v19, s[0:1]
	v_cmp_ne_u32_e32 vcc, 0, v8
	v_cndmask_b32_e64 v9, v20, v18, s[0:1]
	v_cndmask_b32_e32 v8, v11, v16, vcc
	v_cndmask_b32_e32 v9, v10, v9, vcc
	v_xor_b32_e32 v10, v8, v15
	v_xor_b32_e32 v8, v9, v15
	v_sub_co_u32_e32 v8, vcc, v8, v15
	v_subb_co_u32_e32 v9, vcc, v10, v15, vcc
                                        ; implicit-def: $vgpr11
.LBB62_139:
	s_andn2_saveexec_b64 s[0:1], s[4:5]
	s_cbranch_execz .LBB62_141
; %bb.140:
	v_cvt_f32_u32_e32 v8, s3
	v_rcp_iflag_f32_e32 v8, v8
	v_mul_f32_e32 v8, 0x4f7ffffe, v8
	v_cvt_u32_f32_e32 v8, v8
	v_mul_lo_u32 v9, s8, v8
	v_mul_hi_u32 v9, v8, v9
	v_add_u32_e32 v8, v8, v9
	v_mul_hi_u32 v8, v11, v8
	v_mul_lo_u32 v9, v8, s3
	v_add_u32_e32 v10, 1, v8
	v_sub_u32_e32 v9, v11, v9
	v_subrev_u32_e32 v11, s3, v9
	v_cmp_le_u32_e32 vcc, s3, v9
	v_cndmask_b32_e32 v9, v9, v11, vcc
	v_cndmask_b32_e32 v8, v8, v10, vcc
	v_add_u32_e32 v10, 1, v8
	v_cmp_le_u32_e32 vcc, s3, v9
	v_cndmask_b32_e32 v8, v8, v10, vcc
	v_mov_b32_e32 v9, 0
.LBB62_141:
	s_or_b64 exec, exec, s[0:1]
	v_cmp_gt_i64_e32 vcc, s[28:29], v[4:5]
	v_mov_b32_e32 v15, 0
	s_and_saveexec_b64 s[0:1], vcc
	s_cbranch_execz .LBB62_149
; %bb.142:
	s_add_i32 s4, s3, -1
	v_and_b32_e32 v4, s4, v0
	v_cmp_lt_i64_e32 vcc, 0, v[8:9]
	s_mov_b64 s[4:5], 0
	v_mov_b32_e32 v15, 0
	v_lshlrev_b32_e32 v16, 2, v4
	s_and_saveexec_b64 s[6:7], vcc
	s_cbranch_execz .LBB62_146
; %bb.143:
	v_mov_b32_e32 v11, v9
	v_lshl_add_u32 v5, v2, 2, v16
	s_lshl_b32 s8, s3, 2
	v_mov_b32_e32 v15, 0
	v_mov_b32_e32 v10, v8
.LBB62_144:                             ; =>This Inner Loop Header: Depth=1
	ds_read_b32 v17, v5
	v_add_co_u32_e32 v10, vcc, -1, v10
	v_addc_co_u32_e32 v11, vcc, -1, v11, vcc
	v_cmp_eq_u64_e32 vcc, 0, v[10:11]
	v_add_u32_e32 v5, s8, v5
	s_or_b64 s[4:5], vcc, s[4:5]
	s_waitcnt lgkmcnt(0)
	v_add_f32_e32 v15, v15, v17
	s_andn2_b64 exec, exec, s[4:5]
	s_cbranch_execnz .LBB62_144
; %bb.145:
	s_or_b64 exec, exec, s[4:5]
.LBB62_146:
	s_or_b64 exec, exec, s[6:7]
	v_mad_u64_u32 v[2:3], s[4:5], v8, s3, v[2:3]
	v_mov_b32_e32 v5, 0
	v_mad_u64_u32 v[8:9], s[4:5], v9, s3, v[3:4]
	v_sub_co_u32_e32 v9, vcc, v12, v2
	v_subb_co_u32_e32 v10, vcc, v13, v8, vcc
	v_cmp_gt_i64_e32 vcc, v[9:10], v[4:5]
	s_and_saveexec_b64 s[4:5], vcc
	s_cbranch_execz .LBB62_148
; %bb.147:
	v_lshl_add_u32 v2, v2, 2, v16
	ds_read_b32 v2, v2
	s_waitcnt lgkmcnt(0)
	v_add_f32_e32 v15, v15, v2
.LBB62_148:
	s_or_b64 exec, exec, s[4:5]
.LBB62_149:
	s_or_b64 exec, exec, s[0:1]
	v_cmp_gt_i64_e32 vcc, s[28:29], v[0:1]
	s_barrier
	ds_write_b32 v14, v15
	s_waitcnt lgkmcnt(0)
	s_barrier
	s_and_saveexec_b64 s[0:1], vcc
	s_cbranch_execz .LBB62_154
; %bb.150:
	v_mul_lo_u32 v1, s3, v0
	v_mov_b32_e32 v3, 0
	v_lshlrev_b32_e32 v1, 2, v1
.LBB62_151:                             ; =>This Inner Loop Header: Depth=1
	ds_read_b32 v2, v1
	s_add_i32 s3, s3, -1
	v_add_u32_e32 v1, 4, v1
	s_cmp_eq_u32 s3, 0
	s_waitcnt lgkmcnt(0)
	v_add_f32_e32 v3, v3, v2
	s_cbranch_scc0 .LBB62_151
; %bb.152:
	v_lshlrev_b64 v[1:2], 2, v[6:7]
	v_mov_b32_e32 v4, s15
	v_add_co_u32_e32 v1, vcc, s14, v1
	v_addc_co_u32_e32 v2, vcc, v4, v2, vcc
	global_load_dword v4, v[1:2], off
	s_lshl_b32 s0, s2, 2
	s_addk_i32 s0, 0x1000
	v_lshl_add_u32 v0, v0, 2, s0
	ds_read_b32 v0, v0
	s_mov_b64 s[0:1], 0
	s_waitcnt lgkmcnt(0)
	v_add_f32_e32 v0, v3, v0
.LBB62_153:                             ; =>This Inner Loop Header: Depth=1
	s_waitcnt vmcnt(0)
	v_add_f32_e32 v3, v4, v0
	global_atomic_cmpswap v3, v[1:2], v[3:4], off glc
	s_waitcnt vmcnt(0)
	v_cmp_eq_u32_e32 vcc, v3, v4
	s_or_b64 s[0:1], vcc, s[0:1]
	v_mov_b32_e32 v4, v3
	s_andn2_b64 exec, exec, s[0:1]
	s_cbranch_execnz .LBB62_153
.LBB62_154:
	s_endpgm
	.section	.rodata,"a",@progbits
	.p2align	6, 0x0
	.amdhsa_kernel _ZN9rocsparseL27csrmvn_symm_adaptive_kernelIllaaffEEvbT_S1_PKS1_NS_24const_host_device_scalarIT4_EES3_PKT0_PKT1_PKT2_S6_PT3_21rocsparse_index_base_b
		.amdhsa_group_segment_fixed_size 4096
		.amdhsa_private_segment_fixed_size 0
		.amdhsa_kernarg_size 352
		.amdhsa_user_sgpr_count 6
		.amdhsa_user_sgpr_private_segment_buffer 1
		.amdhsa_user_sgpr_dispatch_ptr 0
		.amdhsa_user_sgpr_queue_ptr 0
		.amdhsa_user_sgpr_kernarg_segment_ptr 1
		.amdhsa_user_sgpr_dispatch_id 0
		.amdhsa_user_sgpr_flat_scratch_init 0
		.amdhsa_user_sgpr_private_segment_size 0
		.amdhsa_uses_dynamic_stack 0
		.amdhsa_system_sgpr_private_segment_wavefront_offset 0
		.amdhsa_system_sgpr_workgroup_id_x 1
		.amdhsa_system_sgpr_workgroup_id_y 0
		.amdhsa_system_sgpr_workgroup_id_z 0
		.amdhsa_system_sgpr_workgroup_info 0
		.amdhsa_system_vgpr_workitem_id 0
		.amdhsa_next_free_vgpr 22
		.amdhsa_next_free_sgpr 52
		.amdhsa_reserve_vcc 1
		.amdhsa_reserve_flat_scratch 0
		.amdhsa_float_round_mode_32 0
		.amdhsa_float_round_mode_16_64 0
		.amdhsa_float_denorm_mode_32 3
		.amdhsa_float_denorm_mode_16_64 3
		.amdhsa_dx10_clamp 1
		.amdhsa_ieee_mode 1
		.amdhsa_fp16_overflow 0
		.amdhsa_exception_fp_ieee_invalid_op 0
		.amdhsa_exception_fp_denorm_src 0
		.amdhsa_exception_fp_ieee_div_zero 0
		.amdhsa_exception_fp_ieee_overflow 0
		.amdhsa_exception_fp_ieee_underflow 0
		.amdhsa_exception_fp_ieee_inexact 0
		.amdhsa_exception_int_div_zero 0
	.end_amdhsa_kernel
	.section	.text._ZN9rocsparseL27csrmvn_symm_adaptive_kernelIllaaffEEvbT_S1_PKS1_NS_24const_host_device_scalarIT4_EES3_PKT0_PKT1_PKT2_S6_PT3_21rocsparse_index_base_b,"axG",@progbits,_ZN9rocsparseL27csrmvn_symm_adaptive_kernelIllaaffEEvbT_S1_PKS1_NS_24const_host_device_scalarIT4_EES3_PKT0_PKT1_PKT2_S6_PT3_21rocsparse_index_base_b,comdat
.Lfunc_end62:
	.size	_ZN9rocsparseL27csrmvn_symm_adaptive_kernelIllaaffEEvbT_S1_PKS1_NS_24const_host_device_scalarIT4_EES3_PKT0_PKT1_PKT2_S6_PT3_21rocsparse_index_base_b, .Lfunc_end62-_ZN9rocsparseL27csrmvn_symm_adaptive_kernelIllaaffEEvbT_S1_PKS1_NS_24const_host_device_scalarIT4_EES3_PKT0_PKT1_PKT2_S6_PT3_21rocsparse_index_base_b
                                        ; -- End function
	.set _ZN9rocsparseL27csrmvn_symm_adaptive_kernelIllaaffEEvbT_S1_PKS1_NS_24const_host_device_scalarIT4_EES3_PKT0_PKT1_PKT2_S6_PT3_21rocsparse_index_base_b.num_vgpr, 22
	.set _ZN9rocsparseL27csrmvn_symm_adaptive_kernelIllaaffEEvbT_S1_PKS1_NS_24const_host_device_scalarIT4_EES3_PKT0_PKT1_PKT2_S6_PT3_21rocsparse_index_base_b.num_agpr, 0
	.set _ZN9rocsparseL27csrmvn_symm_adaptive_kernelIllaaffEEvbT_S1_PKS1_NS_24const_host_device_scalarIT4_EES3_PKT0_PKT1_PKT2_S6_PT3_21rocsparse_index_base_b.numbered_sgpr, 52
	.set _ZN9rocsparseL27csrmvn_symm_adaptive_kernelIllaaffEEvbT_S1_PKS1_NS_24const_host_device_scalarIT4_EES3_PKT0_PKT1_PKT2_S6_PT3_21rocsparse_index_base_b.num_named_barrier, 0
	.set _ZN9rocsparseL27csrmvn_symm_adaptive_kernelIllaaffEEvbT_S1_PKS1_NS_24const_host_device_scalarIT4_EES3_PKT0_PKT1_PKT2_S6_PT3_21rocsparse_index_base_b.private_seg_size, 0
	.set _ZN9rocsparseL27csrmvn_symm_adaptive_kernelIllaaffEEvbT_S1_PKS1_NS_24const_host_device_scalarIT4_EES3_PKT0_PKT1_PKT2_S6_PT3_21rocsparse_index_base_b.uses_vcc, 1
	.set _ZN9rocsparseL27csrmvn_symm_adaptive_kernelIllaaffEEvbT_S1_PKS1_NS_24const_host_device_scalarIT4_EES3_PKT0_PKT1_PKT2_S6_PT3_21rocsparse_index_base_b.uses_flat_scratch, 0
	.set _ZN9rocsparseL27csrmvn_symm_adaptive_kernelIllaaffEEvbT_S1_PKS1_NS_24const_host_device_scalarIT4_EES3_PKT0_PKT1_PKT2_S6_PT3_21rocsparse_index_base_b.has_dyn_sized_stack, 0
	.set _ZN9rocsparseL27csrmvn_symm_adaptive_kernelIllaaffEEvbT_S1_PKS1_NS_24const_host_device_scalarIT4_EES3_PKT0_PKT1_PKT2_S6_PT3_21rocsparse_index_base_b.has_recursion, 0
	.set _ZN9rocsparseL27csrmvn_symm_adaptive_kernelIllaaffEEvbT_S1_PKS1_NS_24const_host_device_scalarIT4_EES3_PKT0_PKT1_PKT2_S6_PT3_21rocsparse_index_base_b.has_indirect_call, 0
	.section	.AMDGPU.csdata,"",@progbits
; Kernel info:
; codeLenInByte = 7484
; TotalNumSgprs: 56
; NumVgprs: 22
; ScratchSize: 0
; MemoryBound: 0
; FloatMode: 240
; IeeeMode: 1
; LDSByteSize: 4096 bytes/workgroup (compile time only)
; SGPRBlocks: 6
; VGPRBlocks: 5
; NumSGPRsForWavesPerEU: 56
; NumVGPRsForWavesPerEU: 22
; Occupancy: 10
; WaveLimiterHint : 1
; COMPUTE_PGM_RSRC2:SCRATCH_EN: 0
; COMPUTE_PGM_RSRC2:USER_SGPR: 6
; COMPUTE_PGM_RSRC2:TRAP_HANDLER: 0
; COMPUTE_PGM_RSRC2:TGID_X_EN: 1
; COMPUTE_PGM_RSRC2:TGID_Y_EN: 0
; COMPUTE_PGM_RSRC2:TGID_Z_EN: 0
; COMPUTE_PGM_RSRC2:TIDIG_COMP_CNT: 0
	.section	.text._ZL33csrmvn_symm_large_adaptive_kernelIllaaffEvbT_PKS0_N9rocsparse24const_host_device_scalarIT4_EES2_PKT0_PKT1_PKT2_S6_PT3_21rocsparse_index_base_b,"axG",@progbits,_ZL33csrmvn_symm_large_adaptive_kernelIllaaffEvbT_PKS0_N9rocsparse24const_host_device_scalarIT4_EES2_PKT0_PKT1_PKT2_S6_PT3_21rocsparse_index_base_b,comdat
	.globl	_ZL33csrmvn_symm_large_adaptive_kernelIllaaffEvbT_PKS0_N9rocsparse24const_host_device_scalarIT4_EES2_PKT0_PKT1_PKT2_S6_PT3_21rocsparse_index_base_b ; -- Begin function _ZL33csrmvn_symm_large_adaptive_kernelIllaaffEvbT_PKS0_N9rocsparse24const_host_device_scalarIT4_EES2_PKT0_PKT1_PKT2_S6_PT3_21rocsparse_index_base_b
	.p2align	8
	.type	_ZL33csrmvn_symm_large_adaptive_kernelIllaaffEvbT_PKS0_N9rocsparse24const_host_device_scalarIT4_EES2_PKT0_PKT1_PKT2_S6_PT3_21rocsparse_index_base_b,@function
_ZL33csrmvn_symm_large_adaptive_kernelIllaaffEvbT_PKS0_N9rocsparse24const_host_device_scalarIT4_EES2_PKT0_PKT1_PKT2_S6_PT3_21rocsparse_index_base_b: ; @_ZL33csrmvn_symm_large_adaptive_kernelIllaaffEvbT_PKS0_N9rocsparse24const_host_device_scalarIT4_EES2_PKT0_PKT1_PKT2_S6_PT3_21rocsparse_index_base_b
; %bb.0:
	s_load_dwordx2 s[24:25], s[4:5], 0x50
	s_load_dwordx2 s[26:27], s[4:5], 0x18
	;; [unrolled: 1-line block ×3, first 2 shown]
	s_waitcnt lgkmcnt(0)
	s_bitcmp1_b32 s25, 0
	s_cselect_b64 s[8:9], -1, 0
	s_xor_b64 s[2:3], s[8:9], -1
	s_and_b64 vcc, exec, s[8:9]
	s_cbranch_vccnz .LBB63_2
; %bb.1:
	s_load_dword s26, s[26:27], 0x0
.LBB63_2:
	s_andn2_b64 vcc, exec, s[2:3]
	s_cbranch_vccnz .LBB63_4
; %bb.3:
	s_load_dword s0, s[0:1], 0x0
.LBB63_4:
	s_waitcnt lgkmcnt(0)
	v_cmp_neq_f32_e64 s[2:3], s26, 0
	v_cmp_neq_f32_e64 s[0:1], s0, 1.0
	s_or_b64 s[0:1], s[2:3], s[0:1]
	s_andn2_b64 vcc, exec, s[0:1]
	s_cbranch_vccnz .LBB63_36
; %bb.5:
	s_load_dwordx2 s[0:1], s[4:5], 0x10
	s_ashr_i32 s7, s6, 31
	s_lshl_b64 s[2:3], s[6:7], 3
	v_lshlrev_b32_e32 v6, 2, v0
	v_mov_b32_e32 v7, 0
	s_waitcnt lgkmcnt(0)
	s_add_u32 s0, s0, s2
	s_addc_u32 s1, s1, s3
	ds_write2st64_b32 v6, v7, v7 offset1:4
	ds_write2st64_b32 v6, v7, v7 offset0:8 offset1:12
	s_waitcnt lgkmcnt(0)
	s_barrier
	s_load_dwordx4 s[20:23], s[0:1], 0x0
	s_load_dwordx8 s[12:19], s[4:5], 0x20
	s_load_dwordx2 s[28:29], s[4:5], 0x48
	v_subrev_co_u32_e64 v8, s[0:1], s24, v0
	s_waitcnt lgkmcnt(0)
	v_mov_b32_e32 v1, s22
	v_mov_b32_e32 v2, s23
	v_cmp_ge_i64_e32 vcc, s[20:21], v[1:2]
	v_subb_co_u32_e64 v9, s[0:1], 0, 0, s[0:1]
	s_cbranch_vccnz .LBB63_26
; %bb.6:
	s_movk_i32 s0, 0x100
	v_cmp_gt_u32_e64 s[0:1], s0, v0
	v_cmp_gt_u32_e64 s[2:3], 64, v0
	;; [unrolled: 1-line block ×4, first 2 shown]
	v_cmp_eq_u32_e64 s[8:9], 0, v0
	v_mov_b32_e32 v0, s22
	v_mov_b32_e32 v1, s23
	s_mov_b64 s[30:31], s[20:21]
	s_branch .LBB63_8
.LBB63_7:                               ;   in Loop: Header=BB63_8 Depth=1
	s_or_b64 exec, exec, s[10:11]
	s_add_u32 s30, s30, 1
	s_addc_u32 s31, s31, 0
	v_cmp_ge_i64_e32 vcc, s[30:31], v[0:1]
	s_cbranch_vccnz .LBB63_26
.LBB63_8:                               ; =>This Loop Header: Depth=1
                                        ;     Child Loop BB63_10 Depth 2
                                        ;     Child Loop BB63_25 Depth 2
	s_lshl_b64 s[10:11], s[30:31], 3
	s_add_u32 s10, s12, s10
	s_addc_u32 s11, s13, s11
	s_load_dwordx4 s[36:39], s[10:11], 0x0
	v_mov_b32_e32 v10, 0
	s_waitcnt lgkmcnt(0)
	s_sub_u32 s34, s38, s24
	v_mov_b32_e32 v3, s37
	v_add_co_u32_e32 v2, vcc, s36, v8
	s_subb_u32 s35, s39, 0
	v_addc_co_u32_e32 v3, vcc, v3, v9, vcc
	v_cmp_gt_i64_e32 vcc, s[34:35], v[2:3]
	s_and_saveexec_b64 s[36:37], vcc
	s_cbranch_execz .LBB63_12
; %bb.9:                                ;   in Loop: Header=BB63_8 Depth=1
	v_lshlrev_b64 v[4:5], 3, v[2:3]
	v_mov_b32_e32 v10, s15
	v_add_co_u32_e32 v4, vcc, s14, v4
	v_addc_co_u32_e32 v5, vcc, v10, v5, vcc
	v_mov_b32_e32 v10, 0
	s_mov_b64 s[38:39], 0
.LBB63_10:                              ;   Parent Loop BB63_8 Depth=1
                                        ; =>  This Inner Loop Header: Depth=2
	global_load_dwordx2 v[11:12], v[4:5], off
	v_mov_b32_e32 v14, s17
	v_add_co_u32_e32 v13, vcc, s16, v2
	v_addc_co_u32_e32 v14, vcc, v14, v3, vcc
	v_mov_b32_e32 v15, s19
	global_load_sbyte v13, v[13:14], off
	s_waitcnt vmcnt(1)
	v_subrev_co_u32_e32 v11, vcc, s24, v11
	v_subbrev_co_u32_e32 v12, vcc, 0, v12, vcc
	v_add_co_u32_e32 v11, vcc, s18, v11
	v_addc_co_u32_e32 v12, vcc, v15, v12, vcc
	global_load_sbyte v11, v[11:12], off
	v_add_co_u32_e32 v2, vcc, 0x100, v2
	s_waitcnt vmcnt(1)
	v_cvt_f32_i32_e32 v12, v13
	v_addc_co_u32_e32 v3, vcc, 0, v3, vcc
	v_cmp_le_i64_e64 s[10:11], s[34:35], v[2:3]
	v_add_co_u32_e32 v4, vcc, 0x800, v4
	v_addc_co_u32_e32 v5, vcc, 0, v5, vcc
	s_or_b64 s[38:39], s[10:11], s[38:39]
	s_waitcnt vmcnt(0)
	v_cvt_f32_i32_e32 v11, v11
	v_fmac_f32_e32 v10, v12, v11
	s_andn2_b64 exec, exec, s[38:39]
	s_cbranch_execnz .LBB63_10
; %bb.11:                               ;   in Loop: Header=BB63_8 Depth=1
	s_or_b64 exec, exec, s[38:39]
.LBB63_12:                              ;   in Loop: Header=BB63_8 Depth=1
	s_or_b64 exec, exec, s[36:37]
	ds_write_b32 v6, v10
	s_waitcnt lgkmcnt(0)
	s_barrier
	s_and_saveexec_b64 s[10:11], s[0:1]
	s_cbranch_execz .LBB63_14
; %bb.13:                               ;   in Loop: Header=BB63_8 Depth=1
	ds_read2st64_b32 v[2:3], v6 offset1:4
	ds_read2st64_b32 v[4:5], v6 offset0:8 offset1:12
	s_waitcnt lgkmcnt(0)
	v_add_f32_e32 v3, v3, v4
	v_add_f32_e32 v3, v3, v5
	;; [unrolled: 1-line block ×3, first 2 shown]
	ds_write_b32 v6, v2
.LBB63_14:                              ;   in Loop: Header=BB63_8 Depth=1
	s_or_b64 exec, exec, s[10:11]
	s_waitcnt lgkmcnt(0)
	s_barrier
	s_and_saveexec_b64 s[10:11], s[2:3]
	s_cbranch_execz .LBB63_16
; %bb.15:                               ;   in Loop: Header=BB63_8 Depth=1
	ds_read2st64_b32 v[2:3], v6 offset1:1
	ds_read2st64_b32 v[4:5], v6 offset0:2 offset1:3
	s_waitcnt lgkmcnt(0)
	v_add_f32_e32 v3, v3, v4
	v_add_f32_e32 v3, v3, v5
	;; [unrolled: 1-line block ×3, first 2 shown]
	ds_write_b32 v6, v2
.LBB63_16:                              ;   in Loop: Header=BB63_8 Depth=1
	s_or_b64 exec, exec, s[10:11]
	s_waitcnt lgkmcnt(0)
	s_barrier
	s_and_saveexec_b64 s[10:11], s[4:5]
	s_cbranch_execz .LBB63_18
; %bb.17:                               ;   in Loop: Header=BB63_8 Depth=1
	ds_read2_b32 v[2:3], v6 offset1:16
	ds_read2_b32 v[4:5], v6 offset0:32 offset1:48
	s_waitcnt lgkmcnt(0)
	v_add_f32_e32 v3, v3, v4
	v_add_f32_e32 v3, v3, v5
	;; [unrolled: 1-line block ×3, first 2 shown]
	ds_write_b32 v6, v2
.LBB63_18:                              ;   in Loop: Header=BB63_8 Depth=1
	s_or_b64 exec, exec, s[10:11]
	s_waitcnt lgkmcnt(0)
	s_barrier
	s_and_saveexec_b64 s[10:11], s[6:7]
	s_cbranch_execz .LBB63_20
; %bb.19:                               ;   in Loop: Header=BB63_8 Depth=1
	ds_read2_b32 v[2:3], v6 offset1:4
	ds_read2_b32 v[4:5], v6 offset0:8 offset1:12
	s_waitcnt lgkmcnt(0)
	v_add_f32_e32 v3, v3, v4
	v_add_f32_e32 v3, v3, v5
	;; [unrolled: 1-line block ×3, first 2 shown]
	ds_write_b32 v6, v2
.LBB63_20:                              ;   in Loop: Header=BB63_8 Depth=1
	s_or_b64 exec, exec, s[10:11]
	s_waitcnt lgkmcnt(0)
	s_barrier
	s_and_saveexec_b64 s[10:11], s[8:9]
	s_cbranch_execz .LBB63_22
; %bb.21:                               ;   in Loop: Header=BB63_8 Depth=1
	ds_read2_b32 v[2:3], v7 offset0:1 offset1:2
	ds_read_b32 v4, v7 offset:12
	ds_read_b32 v5, v6
	s_waitcnt lgkmcnt(2)
	v_add_f32_e32 v2, v2, v3
	s_waitcnt lgkmcnt(1)
	v_add_f32_e32 v2, v2, v4
	;; [unrolled: 2-line block ×3, first 2 shown]
	ds_write_b32 v6, v2
.LBB63_22:                              ;   in Loop: Header=BB63_8 Depth=1
	s_or_b64 exec, exec, s[10:11]
	s_waitcnt lgkmcnt(0)
	s_barrier
	s_and_saveexec_b64 s[10:11], s[8:9]
	s_cbranch_execz .LBB63_7
; %bb.23:                               ;   in Loop: Header=BB63_8 Depth=1
	s_mov_b64 s[36:37], exec
	v_mbcnt_lo_u32_b32 v2, s36, 0
	v_mbcnt_hi_u32_b32 v2, s37, v2
	v_cmp_eq_u32_e32 vcc, 0, v2
	s_and_b64 s[34:35], exec, vcc
	s_mov_b64 exec, s[34:35]
	s_cbranch_execz .LBB63_7
; %bb.24:                               ;   in Loop: Header=BB63_8 Depth=1
	s_lshl_b64 s[34:35], s[30:31], 2
	s_add_u32 s34, s28, s34
	s_addc_u32 s35, s29, s35
	global_load_dword v3, v7, s[34:35]
	ds_read_b32 v2, v7
	s_bcnt1_i32_b64 s25, s[36:37]
	v_cvt_f32_ubyte0_e32 v4, s25
	s_mov_b64 s[36:37], 0
	s_waitcnt lgkmcnt(0)
	v_mul_f32_e32 v2, s26, v2
	v_mul_f32_e32 v4, v2, v4
.LBB63_25:                              ;   Parent Loop BB63_8 Depth=1
                                        ; =>  This Inner Loop Header: Depth=2
	s_waitcnt vmcnt(0)
	v_add_f32_e32 v2, v3, v4
	global_atomic_cmpswap v2, v7, v[2:3], s[34:35] glc
	s_waitcnt vmcnt(0)
	v_cmp_eq_u32_e32 vcc, v2, v3
	s_or_b64 s[36:37], vcc, s[36:37]
	v_mov_b32_e32 v3, v2
	s_andn2_b64 exec, exec, s[36:37]
	s_cbranch_execnz .LBB63_25
	s_branch .LBB63_7
.LBB63_26:
	s_lshl_b64 s[0:1], s[20:21], 3
	s_add_u32 s0, s12, s0
	s_addc_u32 s1, s13, s1
	s_lshl_b64 s[2:3], s[22:23], 3
	s_add_u32 s2, s12, s2
	s_addc_u32 s3, s13, s3
	s_load_dwordx2 s[6:7], s[0:1], 0x0
	s_load_dwordx2 s[4:5], s[2:3], 0x0
	s_waitcnt lgkmcnt(0)
	v_mov_b32_e32 v1, s7
	s_sub_u32 s4, s4, s24
	v_add_co_u32_e32 v0, vcc, s6, v8
	s_subb_u32 s5, s5, 0
	v_addc_co_u32_e32 v1, vcc, v1, v9, vcc
	v_cmp_gt_i64_e32 vcc, s[4:5], v[0:1]
	s_and_saveexec_b64 s[0:1], vcc
	s_cbranch_execz .LBB63_36
; %bb.27:
	s_add_u32 s6, s22, -1
	s_addc_u32 s7, s23, -1
	v_mov_b32_e32 v2, s6
	s_add_u32 s0, s22, -2
	v_mov_b32_e32 v3, s7
	s_addc_u32 s1, s23, -1
	v_cmp_lt_i64_e32 vcc, s[20:21], v[2:3]
	s_cmp_lg_u64 s[20:21], s[0:1]
	s_cselect_b64 s[0:1], -1, 0
	s_and_b64 s[0:1], vcc, s[0:1]
	v_cndmask_b32_e64 v2, 0, 1, s[0:1]
	s_mov_b64 s[8:9], 0
	v_cmp_ne_u32_e64 s[0:1], 1, v2
	v_mov_b32_e32 v6, s13
	v_mov_b32_e32 v7, s15
	s_branch .LBB63_29
.LBB63_28:                              ;   in Loop: Header=BB63_29 Depth=1
	s_or_b64 exec, exec, s[2:3]
	v_add_co_u32_e32 v0, vcc, 0x100, v0
	v_addc_co_u32_e32 v1, vcc, 0, v1, vcc
	v_cmp_le_i64_e32 vcc, s[4:5], v[0:1]
	s_or_b64 s[8:9], vcc, s[8:9]
	s_andn2_b64 exec, exec, s[8:9]
	s_cbranch_execz .LBB63_36
.LBB63_29:                              ; =>This Loop Header: Depth=1
                                        ;     Child Loop BB63_31 Depth 2
                                        ;     Child Loop BB63_35 Depth 2
	v_mov_b32_e32 v2, s20
	v_mov_b32_e32 v4, s6
	s_and_b64 vcc, exec, s[0:1]
	v_mov_b32_e32 v3, s21
	v_mov_b32_e32 v5, s7
	s_cbranch_vccnz .LBB63_33
; %bb.30:                               ;   in Loop: Header=BB63_29 Depth=1
	v_mov_b32_e32 v2, s20
	v_mov_b32_e32 v4, s6
	s_mov_b64 s[10:11], 0
	v_mov_b32_e32 v3, s21
	v_mov_b32_e32 v5, s7
.LBB63_31:                              ;   Parent Loop BB63_29 Depth=1
                                        ; =>  This Inner Loop Header: Depth=2
	v_add_co_u32_e32 v8, vcc, v4, v2
	v_addc_co_u32_e32 v9, vcc, v5, v3, vcc
	v_lshrrev_b32_e32 v10, 31, v9
	v_add_co_u32_e32 v8, vcc, v8, v10
	v_addc_co_u32_e32 v9, vcc, 0, v9, vcc
	v_ashrrev_i64 v[8:9], 1, v[8:9]
	v_mov_b32_e32 v12, s13
	v_lshlrev_b64 v[10:11], 3, v[8:9]
	v_add_co_u32_e32 v10, vcc, s12, v10
	v_addc_co_u32_e32 v11, vcc, v12, v11, vcc
	global_load_dwordx2 v[10:11], v[10:11], off
	s_waitcnt vmcnt(0)
	v_subrev_co_u32_e32 v10, vcc, s24, v10
	v_subbrev_co_u32_e32 v11, vcc, 0, v11, vcc
	v_cmp_lt_i64_e32 vcc, v[0:1], v[10:11]
	v_cndmask_b32_e32 v4, v4, v8, vcc
	v_cndmask_b32_e32 v5, v5, v9, vcc
	;; [unrolled: 1-line block ×3, first 2 shown]
	v_add_co_u32_e64 v8, s[2:3], -1, v4
	v_cndmask_b32_e32 v3, v9, v3, vcc
	v_addc_co_u32_e64 v9, s[2:3], -1, v5, s[2:3]
	v_cmp_ge_i64_e32 vcc, v[2:3], v[4:5]
	v_cmp_eq_u64_e64 s[2:3], v[2:3], v[8:9]
	s_or_b64 s[2:3], vcc, s[2:3]
	s_and_b64 s[2:3], exec, s[2:3]
	s_or_b64 s[10:11], s[2:3], s[10:11]
	s_andn2_b64 exec, exec, s[10:11]
	s_cbranch_execnz .LBB63_31
; %bb.32:                               ;   in Loop: Header=BB63_29 Depth=1
	s_or_b64 exec, exec, s[10:11]
.LBB63_33:                              ;   in Loop: Header=BB63_29 Depth=1
	v_lshlrev_b64 v[8:9], 3, v[4:5]
	v_lshlrev_b64 v[10:11], 3, v[0:1]
	v_add_co_u32_e32 v8, vcc, s12, v8
	v_addc_co_u32_e32 v9, vcc, v6, v9, vcc
	global_load_dwordx2 v[8:9], v[8:9], off
	v_add_co_u32_e32 v10, vcc, s14, v10
	v_addc_co_u32_e32 v11, vcc, v7, v11, vcc
	global_load_dwordx2 v[10:11], v[10:11], off
	s_waitcnt vmcnt(1)
	v_subrev_co_u32_e32 v8, vcc, s24, v8
	v_subbrev_co_u32_e32 v9, vcc, 0, v9, vcc
	v_cmp_lt_i64_e32 vcc, v[0:1], v[8:9]
	v_cndmask_b32_e32 v3, v5, v3, vcc
	v_cndmask_b32_e32 v2, v4, v2, vcc
	s_waitcnt vmcnt(0)
	v_subrev_co_u32_e32 v4, vcc, s24, v10
	v_subbrev_co_u32_e32 v5, vcc, 0, v11, vcc
	v_cmp_ne_u64_e32 vcc, v[4:5], v[2:3]
	s_and_saveexec_b64 s[2:3], vcc
	s_cbranch_execz .LBB63_28
; %bb.34:                               ;   in Loop: Header=BB63_29 Depth=1
	v_mov_b32_e32 v9, s17
	v_add_co_u32_e32 v8, vcc, s16, v0
	v_addc_co_u32_e32 v9, vcc, v9, v1, vcc
	global_load_sbyte v8, v[8:9], off
	v_mov_b32_e32 v9, s19
	v_add_co_u32_e32 v2, vcc, s18, v2
	v_addc_co_u32_e32 v3, vcc, v9, v3, vcc
	global_load_sbyte v9, v[2:3], off
	v_lshlrev_b64 v[4:5], 2, v[4:5]
	v_mov_b32_e32 v3, s29
	v_add_co_u32_e32 v2, vcc, s28, v4
	v_addc_co_u32_e32 v3, vcc, v3, v5, vcc
	global_load_dword v5, v[2:3], off
	s_mov_b64 s[10:11], 0
	s_waitcnt vmcnt(2)
	v_cvt_f32_i32_e32 v4, v8
	v_mul_f32_e32 v4, s26, v4
	s_waitcnt vmcnt(1)
	v_cvt_f32_i32_e32 v8, v9
	v_mul_f32_e32 v8, v4, v8
.LBB63_35:                              ;   Parent Loop BB63_29 Depth=1
                                        ; =>  This Inner Loop Header: Depth=2
	s_waitcnt vmcnt(0)
	v_add_f32_e32 v4, v5, v8
	global_atomic_cmpswap v4, v[2:3], v[4:5], off glc
	s_waitcnt vmcnt(0)
	v_cmp_eq_u32_e32 vcc, v4, v5
	s_or_b64 s[10:11], vcc, s[10:11]
	v_mov_b32_e32 v5, v4
	s_andn2_b64 exec, exec, s[10:11]
	s_cbranch_execnz .LBB63_35
	s_branch .LBB63_28
.LBB63_36:
	s_endpgm
	.section	.rodata,"a",@progbits
	.p2align	6, 0x0
	.amdhsa_kernel _ZL33csrmvn_symm_large_adaptive_kernelIllaaffEvbT_PKS0_N9rocsparse24const_host_device_scalarIT4_EES2_PKT0_PKT1_PKT2_S6_PT3_21rocsparse_index_base_b
		.amdhsa_group_segment_fixed_size 4096
		.amdhsa_private_segment_fixed_size 0
		.amdhsa_kernarg_size 88
		.amdhsa_user_sgpr_count 6
		.amdhsa_user_sgpr_private_segment_buffer 1
		.amdhsa_user_sgpr_dispatch_ptr 0
		.amdhsa_user_sgpr_queue_ptr 0
		.amdhsa_user_sgpr_kernarg_segment_ptr 1
		.amdhsa_user_sgpr_dispatch_id 0
		.amdhsa_user_sgpr_flat_scratch_init 0
		.amdhsa_user_sgpr_private_segment_size 0
		.amdhsa_uses_dynamic_stack 0
		.amdhsa_system_sgpr_private_segment_wavefront_offset 0
		.amdhsa_system_sgpr_workgroup_id_x 1
		.amdhsa_system_sgpr_workgroup_id_y 0
		.amdhsa_system_sgpr_workgroup_id_z 0
		.amdhsa_system_sgpr_workgroup_info 0
		.amdhsa_system_vgpr_workitem_id 0
		.amdhsa_next_free_vgpr 16
		.amdhsa_next_free_sgpr 40
		.amdhsa_reserve_vcc 1
		.amdhsa_reserve_flat_scratch 0
		.amdhsa_float_round_mode_32 0
		.amdhsa_float_round_mode_16_64 0
		.amdhsa_float_denorm_mode_32 3
		.amdhsa_float_denorm_mode_16_64 3
		.amdhsa_dx10_clamp 1
		.amdhsa_ieee_mode 1
		.amdhsa_fp16_overflow 0
		.amdhsa_exception_fp_ieee_invalid_op 0
		.amdhsa_exception_fp_denorm_src 0
		.amdhsa_exception_fp_ieee_div_zero 0
		.amdhsa_exception_fp_ieee_overflow 0
		.amdhsa_exception_fp_ieee_underflow 0
		.amdhsa_exception_fp_ieee_inexact 0
		.amdhsa_exception_int_div_zero 0
	.end_amdhsa_kernel
	.section	.text._ZL33csrmvn_symm_large_adaptive_kernelIllaaffEvbT_PKS0_N9rocsparse24const_host_device_scalarIT4_EES2_PKT0_PKT1_PKT2_S6_PT3_21rocsparse_index_base_b,"axG",@progbits,_ZL33csrmvn_symm_large_adaptive_kernelIllaaffEvbT_PKS0_N9rocsparse24const_host_device_scalarIT4_EES2_PKT0_PKT1_PKT2_S6_PT3_21rocsparse_index_base_b,comdat
.Lfunc_end63:
	.size	_ZL33csrmvn_symm_large_adaptive_kernelIllaaffEvbT_PKS0_N9rocsparse24const_host_device_scalarIT4_EES2_PKT0_PKT1_PKT2_S6_PT3_21rocsparse_index_base_b, .Lfunc_end63-_ZL33csrmvn_symm_large_adaptive_kernelIllaaffEvbT_PKS0_N9rocsparse24const_host_device_scalarIT4_EES2_PKT0_PKT1_PKT2_S6_PT3_21rocsparse_index_base_b
                                        ; -- End function
	.set _ZL33csrmvn_symm_large_adaptive_kernelIllaaffEvbT_PKS0_N9rocsparse24const_host_device_scalarIT4_EES2_PKT0_PKT1_PKT2_S6_PT3_21rocsparse_index_base_b.num_vgpr, 16
	.set _ZL33csrmvn_symm_large_adaptive_kernelIllaaffEvbT_PKS0_N9rocsparse24const_host_device_scalarIT4_EES2_PKT0_PKT1_PKT2_S6_PT3_21rocsparse_index_base_b.num_agpr, 0
	.set _ZL33csrmvn_symm_large_adaptive_kernelIllaaffEvbT_PKS0_N9rocsparse24const_host_device_scalarIT4_EES2_PKT0_PKT1_PKT2_S6_PT3_21rocsparse_index_base_b.numbered_sgpr, 40
	.set _ZL33csrmvn_symm_large_adaptive_kernelIllaaffEvbT_PKS0_N9rocsparse24const_host_device_scalarIT4_EES2_PKT0_PKT1_PKT2_S6_PT3_21rocsparse_index_base_b.num_named_barrier, 0
	.set _ZL33csrmvn_symm_large_adaptive_kernelIllaaffEvbT_PKS0_N9rocsparse24const_host_device_scalarIT4_EES2_PKT0_PKT1_PKT2_S6_PT3_21rocsparse_index_base_b.private_seg_size, 0
	.set _ZL33csrmvn_symm_large_adaptive_kernelIllaaffEvbT_PKS0_N9rocsparse24const_host_device_scalarIT4_EES2_PKT0_PKT1_PKT2_S6_PT3_21rocsparse_index_base_b.uses_vcc, 1
	.set _ZL33csrmvn_symm_large_adaptive_kernelIllaaffEvbT_PKS0_N9rocsparse24const_host_device_scalarIT4_EES2_PKT0_PKT1_PKT2_S6_PT3_21rocsparse_index_base_b.uses_flat_scratch, 0
	.set _ZL33csrmvn_symm_large_adaptive_kernelIllaaffEvbT_PKS0_N9rocsparse24const_host_device_scalarIT4_EES2_PKT0_PKT1_PKT2_S6_PT3_21rocsparse_index_base_b.has_dyn_sized_stack, 0
	.set _ZL33csrmvn_symm_large_adaptive_kernelIllaaffEvbT_PKS0_N9rocsparse24const_host_device_scalarIT4_EES2_PKT0_PKT1_PKT2_S6_PT3_21rocsparse_index_base_b.has_recursion, 0
	.set _ZL33csrmvn_symm_large_adaptive_kernelIllaaffEvbT_PKS0_N9rocsparse24const_host_device_scalarIT4_EES2_PKT0_PKT1_PKT2_S6_PT3_21rocsparse_index_base_b.has_indirect_call, 0
	.section	.AMDGPU.csdata,"",@progbits
; Kernel info:
; codeLenInByte = 1600
; TotalNumSgprs: 44
; NumVgprs: 16
; ScratchSize: 0
; MemoryBound: 0
; FloatMode: 240
; IeeeMode: 1
; LDSByteSize: 4096 bytes/workgroup (compile time only)
; SGPRBlocks: 5
; VGPRBlocks: 3
; NumSGPRsForWavesPerEU: 44
; NumVGPRsForWavesPerEU: 16
; Occupancy: 10
; WaveLimiterHint : 1
; COMPUTE_PGM_RSRC2:SCRATCH_EN: 0
; COMPUTE_PGM_RSRC2:USER_SGPR: 6
; COMPUTE_PGM_RSRC2:TRAP_HANDLER: 0
; COMPUTE_PGM_RSRC2:TGID_X_EN: 1
; COMPUTE_PGM_RSRC2:TGID_Y_EN: 0
; COMPUTE_PGM_RSRC2:TGID_Z_EN: 0
; COMPUTE_PGM_RSRC2:TIDIG_COMP_CNT: 0
	.section	.text._ZN9rocsparseL22csrmvn_adaptive_kernelIiiDF16_DF16_ffEEvbT_PKS1_PjPKT0_NS_24const_host_device_scalarIT4_EES3_S7_PKT1_PKT2_SA_PT3_21rocsparse_index_base_b,"axG",@progbits,_ZN9rocsparseL22csrmvn_adaptive_kernelIiiDF16_DF16_ffEEvbT_PKS1_PjPKT0_NS_24const_host_device_scalarIT4_EES3_S7_PKT1_PKT2_SA_PT3_21rocsparse_index_base_b,comdat
	.globl	_ZN9rocsparseL22csrmvn_adaptive_kernelIiiDF16_DF16_ffEEvbT_PKS1_PjPKT0_NS_24const_host_device_scalarIT4_EES3_S7_PKT1_PKT2_SA_PT3_21rocsparse_index_base_b ; -- Begin function _ZN9rocsparseL22csrmvn_adaptive_kernelIiiDF16_DF16_ffEEvbT_PKS1_PjPKT0_NS_24const_host_device_scalarIT4_EES3_S7_PKT1_PKT2_SA_PT3_21rocsparse_index_base_b
	.p2align	8
	.type	_ZN9rocsparseL22csrmvn_adaptive_kernelIiiDF16_DF16_ffEEvbT_PKS1_PjPKT0_NS_24const_host_device_scalarIT4_EES3_S7_PKT1_PKT2_SA_PT3_21rocsparse_index_base_b,@function
_ZN9rocsparseL22csrmvn_adaptive_kernelIiiDF16_DF16_ffEEvbT_PKS1_PjPKT0_NS_24const_host_device_scalarIT4_EES3_S7_PKT1_PKT2_SA_PT3_21rocsparse_index_base_b: ; @_ZN9rocsparseL22csrmvn_adaptive_kernelIiiDF16_DF16_ffEEvbT_PKS1_PjPKT0_NS_24const_host_device_scalarIT4_EES3_S7_PKT1_PKT2_SA_PT3_21rocsparse_index_base_b
; %bb.0:
	s_load_dwordx2 s[44:45], s[4:5], 0x58
	s_load_dwordx2 s[42:43], s[4:5], 0x20
	;; [unrolled: 1-line block ×3, first 2 shown]
	s_waitcnt lgkmcnt(0)
	s_bitcmp1_b32 s45, 0
	s_cselect_b64 s[2:3], -1, 0
	s_xor_b64 s[0:1], s[2:3], -1
	s_and_b64 vcc, exec, s[2:3]
	s_cbranch_vccnz .LBB64_2
; %bb.1:
	s_load_dword s42, s[42:43], 0x0
.LBB64_2:
	s_andn2_b64 vcc, exec, s[0:1]
	s_cbranch_vccnz .LBB64_4
; %bb.3:
	s_load_dword s34, s[34:35], 0x0
.LBB64_4:
	s_waitcnt lgkmcnt(0)
	v_cmp_neq_f32_e64 s[0:1], s42, 0
	v_cmp_neq_f32_e64 s[2:3], s34, 1.0
	s_or_b64 s[0:1], s[0:1], s[2:3]
	s_andn2_b64 vcc, exec, s[0:1]
	s_cbranch_vccnz .LBB64_115
; %bb.5:
	s_load_dwordx2 s[0:1], s[4:5], 0x8
	s_load_dwordx2 s[8:9], s[4:5], 0x18
	s_ashr_i32 s7, s6, 31
	s_lshl_b64 s[48:49], s[6:7], 2
	s_waitcnt lgkmcnt(0)
	s_add_u32 s0, s0, s48
	s_addc_u32 s1, s1, s49
	s_load_dwordx2 s[38:39], s[0:1], 0x0
	s_load_dwordx2 s[36:37], s[4:5], 0x50
	s_load_dwordx8 s[24:31], s[4:5], 0x28
	s_waitcnt lgkmcnt(0)
	s_sub_i32 s2, s39, s38
	s_add_u32 s8, s8, s48
	s_mov_b32 s0, s38
	s_addc_u32 s9, s9, s49
	s_ashr_i32 s1, s38, 31
	s_lshl_b64 s[46:47], s[0:1], 2
	s_add_u32 s40, s24, s46
	s_addc_u32 s41, s25, s47
	s_load_dword s33, s[8:9], 0x0
	s_load_dword s35, s[40:41], 0x0
	s_cmp_lt_i32 s2, 2
	s_mov_b64 s[0:1], -1
	s_cbranch_scc0 .LBB64_71
; %bb.6:
	s_cmp_lg_u32 s2, 1
	s_cselect_b64 s[0:1], -1, 0
	s_waitcnt lgkmcnt(0)
	s_cmp_lg_u32 s33, 0
	s_cselect_b64 s[2:3], -1, 0
	s_or_b64 s[0:1], s[0:1], s[2:3]
	s_mov_b64 s[18:19], -1
	s_and_b64 vcc, exec, s[0:1]
	v_cmp_gt_u32_e64 s[0:1], 64, v0
	v_cmp_gt_u32_e64 s[2:3], 32, v0
	;; [unrolled: 1-line block ×6, first 2 shown]
	v_cmp_eq_u32_e64 s[16:17], 0, v0
	s_cbranch_vccnz .LBB64_34
; %bb.7:
	v_cmp_neq_f32_e64 s[20:21], s34, 0
	s_movk_i32 s7, 0x80
	v_cndmask_b32_e64 v1, 0, 1, s[20:21]
	v_subrev_u32_e32 v7, s44, v0
	v_lshlrev_b32_e32 v8, 2, v0
	v_cmp_gt_u32_e64 s[18:19], s7, v0
	v_mov_b32_e32 v9, 0
	v_cmp_ne_u32_e64 s[20:21], 1, v1
	s_mov_b32 s50, s38
	s_branch .LBB64_10
.LBB64_8:                               ;   in Loop: Header=BB64_10 Depth=1
	s_add_u32 s52, s36, s52
	s_addc_u32 s53, s37, s53
	s_waitcnt lgkmcnt(0)
	global_store_dword v9, v1, s[52:53]
.LBB64_9:                               ;   in Loop: Header=BB64_10 Depth=1
	s_or_b64 exec, exec, s[22:23]
	s_add_i32 s50, s50, 1
	s_cmp_ge_i32 s50, s39
	s_cbranch_scc1 .LBB64_33
.LBB64_10:                              ; =>This Loop Header: Depth=1
                                        ;     Child Loop BB64_12 Depth 2
	s_ashr_i32 s51, s50, 31
	s_lshl_b64 s[52:53], s[50:51], 2
	s_add_u32 s22, s24, s52
	s_addc_u32 s23, s25, s53
	s_load_dwordx2 s[54:55], s[22:23], 0x0
	v_mov_b32_e32 v2, 0
	s_waitcnt lgkmcnt(0)
	s_sub_i32 s7, s55, s44
	v_add_u32_e32 v1, s54, v7
	v_cmp_gt_i32_e32 vcc, s7, v1
	s_and_saveexec_b64 s[54:55], vcc
	s_cbranch_execz .LBB64_14
; %bb.11:                               ;   in Loop: Header=BB64_10 Depth=1
	v_ashrrev_i32_e32 v2, 31, v1
	v_lshlrev_b64 v[3:4], 1, v[1:2]
	v_mov_b32_e32 v5, s29
	v_add_co_u32_e32 v3, vcc, s28, v3
	v_addc_co_u32_e32 v4, vcc, v5, v4, vcc
	v_lshlrev_b64 v[5:6], 2, v[1:2]
	v_mov_b32_e32 v2, s27
	v_add_co_u32_e32 v5, vcc, s26, v5
	v_addc_co_u32_e32 v6, vcc, v2, v6, vcc
	v_mov_b32_e32 v2, 0
	s_mov_b64 s[56:57], 0
.LBB64_12:                              ;   Parent Loop BB64_10 Depth=1
                                        ; =>  This Inner Loop Header: Depth=2
	global_load_dword v10, v[5:6], off
	global_load_ushort v12, v[3:4], off
	v_mov_b32_e32 v13, s31
	v_add_u32_e32 v1, 0x100, v1
	v_cmp_le_i32_e64 s[22:23], s7, v1
	s_or_b64 s[56:57], s[22:23], s[56:57]
	s_waitcnt vmcnt(1)
	v_subrev_u32_e32 v10, s44, v10
	v_ashrrev_i32_e32 v11, 31, v10
	v_lshlrev_b64 v[10:11], 1, v[10:11]
	v_add_co_u32_e32 v10, vcc, s30, v10
	v_addc_co_u32_e32 v11, vcc, v13, v11, vcc
	global_load_ushort v10, v[10:11], off
	s_waitcnt vmcnt(1)
	v_cvt_f32_f16_e32 v11, v12
	v_add_co_u32_e32 v3, vcc, 0x200, v3
	v_addc_co_u32_e32 v4, vcc, 0, v4, vcc
	v_add_co_u32_e32 v5, vcc, 0x400, v5
	v_mul_f32_e32 v11, s42, v11
	v_addc_co_u32_e32 v6, vcc, 0, v6, vcc
	s_waitcnt vmcnt(0)
	v_fma_mix_f32 v2, v11, v10, v2 op_sel_hi:[0,1,0]
	s_andn2_b64 exec, exec, s[56:57]
	s_cbranch_execnz .LBB64_12
; %bb.13:                               ;   in Loop: Header=BB64_10 Depth=1
	s_or_b64 exec, exec, s[56:57]
.LBB64_14:                              ;   in Loop: Header=BB64_10 Depth=1
	s_or_b64 exec, exec, s[54:55]
	ds_write_b32 v8, v2
	s_waitcnt vmcnt(0) lgkmcnt(0)
	s_barrier
	s_and_saveexec_b64 s[22:23], s[18:19]
	s_cbranch_execz .LBB64_16
; %bb.15:                               ;   in Loop: Header=BB64_10 Depth=1
	ds_read2st64_b32 v[1:2], v8 offset1:2
	s_waitcnt lgkmcnt(0)
	v_add_f32_e32 v1, v1, v2
	ds_write_b32 v8, v1
.LBB64_16:                              ;   in Loop: Header=BB64_10 Depth=1
	s_or_b64 exec, exec, s[22:23]
	s_waitcnt lgkmcnt(0)
	s_barrier
	s_and_saveexec_b64 s[22:23], s[0:1]
	s_cbranch_execz .LBB64_18
; %bb.17:                               ;   in Loop: Header=BB64_10 Depth=1
	ds_read2st64_b32 v[1:2], v8 offset1:1
	s_waitcnt lgkmcnt(0)
	v_add_f32_e32 v1, v1, v2
	ds_write_b32 v8, v1
.LBB64_18:                              ;   in Loop: Header=BB64_10 Depth=1
	s_or_b64 exec, exec, s[22:23]
	s_waitcnt lgkmcnt(0)
	s_barrier
	s_and_saveexec_b64 s[22:23], s[2:3]
	s_cbranch_execz .LBB64_20
; %bb.19:                               ;   in Loop: Header=BB64_10 Depth=1
	ds_read2_b32 v[1:2], v8 offset1:32
	s_waitcnt lgkmcnt(0)
	v_add_f32_e32 v1, v1, v2
	ds_write_b32 v8, v1
.LBB64_20:                              ;   in Loop: Header=BB64_10 Depth=1
	s_or_b64 exec, exec, s[22:23]
	s_waitcnt lgkmcnt(0)
	s_barrier
	s_and_saveexec_b64 s[22:23], s[8:9]
	s_cbranch_execz .LBB64_22
; %bb.21:                               ;   in Loop: Header=BB64_10 Depth=1
	ds_read2_b32 v[1:2], v8 offset1:16
	s_waitcnt lgkmcnt(0)
	v_add_f32_e32 v1, v1, v2
	ds_write_b32 v8, v1
.LBB64_22:                              ;   in Loop: Header=BB64_10 Depth=1
	;; [unrolled: 11-line block ×5, first 2 shown]
	s_or_b64 exec, exec, s[22:23]
	s_waitcnt lgkmcnt(0)
	s_barrier
	s_and_saveexec_b64 s[22:23], s[16:17]
	s_cbranch_execz .LBB64_30
; %bb.29:                               ;   in Loop: Header=BB64_10 Depth=1
	ds_read_b64 v[1:2], v9
	s_waitcnt lgkmcnt(0)
	v_add_f32_e32 v1, v1, v2
	ds_write_b32 v9, v1
.LBB64_30:                              ;   in Loop: Header=BB64_10 Depth=1
	s_or_b64 exec, exec, s[22:23]
	s_waitcnt lgkmcnt(0)
	s_barrier
	s_and_saveexec_b64 s[22:23], s[16:17]
	s_cbranch_execz .LBB64_9
; %bb.31:                               ;   in Loop: Header=BB64_10 Depth=1
	ds_read_b32 v1, v9
	s_and_b64 vcc, exec, s[20:21]
	s_cbranch_vccnz .LBB64_8
; %bb.32:                               ;   in Loop: Header=BB64_10 Depth=1
	s_add_u32 s54, s36, s52
	s_addc_u32 s55, s37, s53
	global_load_dword v2, v9, s[54:55]
	s_waitcnt vmcnt(0) lgkmcnt(0)
	v_fmac_f32_e32 v1, s34, v2
	s_branch .LBB64_8
.LBB64_33:
	s_mov_b64 s[18:19], 0
.LBB64_34:
	s_and_b64 vcc, exec, s[18:19]
	s_cbranch_vccz .LBB64_70
; %bb.35:
	s_load_dwordx2 s[8:9], s[4:5], 0x10
	s_sub_i32 s6, s6, s33
	v_mov_b32_e32 v8, 0
	v_or_b32_e32 v1, s33, v0
	v_cmp_eq_u32_e32 vcc, 0, v1
	s_waitcnt lgkmcnt(0)
	s_add_u32 s2, s8, s48
	s_addc_u32 s3, s9, s49
	global_load_dword v7, v8, s[2:3]
	s_and_saveexec_b64 s[0:1], vcc
	s_cbranch_execz .LBB64_39
; %bb.36:
	s_add_u32 s12, s36, s46
	s_addc_u32 s13, s37, s47
	v_mov_b32_e32 v3, 0
	global_load_dword v1, v3, s[12:13]
	s_mov_b64 s[10:11], exec
	v_mbcnt_lo_u32_b32 v4, s10, 0
	v_mbcnt_hi_u32_b32 v4, s11, v4
	v_add_f32_e64 v2, s34, -1.0
	v_cmp_eq_u32_e32 vcc, 0, v4
	s_waitcnt vmcnt(0) expcnt(0) lgkmcnt(0)
	s_and_saveexec_b64 s[12:13], vcc
	s_cbranch_execz .LBB64_38
; %bb.37:
	s_ashr_i32 s7, s6, 31
	s_lshl_b64 s[14:15], s[6:7], 2
	s_add_u32 s14, s8, s14
	s_addc_u32 s15, s9, s15
	s_bcnt1_i32_b64 s7, s[10:11]
	s_and_b32 s7, s7, 1
	v_mov_b32_e32 v4, s7
	global_atomic_xor v3, v4, s[14:15]
.LBB64_38:
	s_or_b64 exec, exec, s[12:13]
	v_mul_f32_e32 v8, v2, v1
.LBB64_39:
	s_or_b64 exec, exec, s[0:1]
	s_load_dword s1, s[40:41], 0x4
	s_mul_i32 s0, s33, 0xc00
	s_sub_i32 s7, s35, s44
	s_add_i32 s0, s7, s0
	v_add_u32_e32 v1, s0, v0
	s_waitcnt lgkmcnt(0)
	s_sub_i32 s1, s1, s44
	v_cmp_gt_i32_e32 vcc, s1, v1
	s_and_saveexec_b64 s[10:11], vcc
	s_cbranch_execz .LBB64_43
; %bb.40:
	v_ashrrev_i32_e32 v2, 31, v1
	v_lshlrev_b64 v[3:4], 1, v[1:2]
	v_mov_b32_e32 v5, s29
	v_add_co_u32_e32 v3, vcc, s28, v3
	v_addc_co_u32_e32 v4, vcc, v5, v4, vcc
	v_lshlrev_b64 v[5:6], 2, v[1:2]
	s_addk_i32 s0, 0xc00
	v_mov_b32_e32 v2, s27
	v_add_co_u32_e32 v5, vcc, s26, v5
	s_min_i32 s7, s0, s1
	v_addc_co_u32_e32 v6, vcc, v2, v6, vcc
	s_mov_b64 s[12:13], 0
	v_mov_b32_e32 v2, s31
.LBB64_41:                              ; =>This Inner Loop Header: Depth=1
	global_load_dword v9, v[5:6], off
	global_load_ushort v11, v[3:4], off
	v_add_u32_e32 v1, 0x100, v1
	v_cmp_le_i32_e64 s[0:1], s7, v1
	s_or_b64 s[12:13], s[0:1], s[12:13]
	s_waitcnt vmcnt(1)
	v_subrev_u32_e32 v9, s44, v9
	v_ashrrev_i32_e32 v10, 31, v9
	v_lshlrev_b64 v[9:10], 1, v[9:10]
	v_add_co_u32_e32 v9, vcc, s30, v9
	v_addc_co_u32_e32 v10, vcc, v2, v10, vcc
	global_load_ushort v9, v[9:10], off
	s_waitcnt vmcnt(1)
	v_cvt_f32_f16_e32 v10, v11
	v_add_co_u32_e32 v3, vcc, 0x200, v3
	v_addc_co_u32_e32 v4, vcc, 0, v4, vcc
	v_add_co_u32_e32 v5, vcc, 0x400, v5
	v_mul_f32_e32 v10, s42, v10
	v_addc_co_u32_e32 v6, vcc, 0, v6, vcc
	s_waitcnt vmcnt(0)
	v_fma_mix_f32 v8, v10, v9, v8 op_sel_hi:[0,1,0]
	s_andn2_b64 exec, exec, s[12:13]
	s_cbranch_execnz .LBB64_41
; %bb.42:
	s_or_b64 exec, exec, s[12:13]
.LBB64_43:
	s_or_b64 exec, exec, s[10:11]
	s_movk_i32 s0, 0x80
	v_lshlrev_b32_e32 v1, 2, v0
	v_cmp_gt_u32_e32 vcc, s0, v0
	ds_write_b32 v1, v8
	s_waitcnt vmcnt(0) lgkmcnt(0)
	s_barrier
	s_and_saveexec_b64 s[0:1], vcc
	s_cbranch_execz .LBB64_45
; %bb.44:
	ds_read2st64_b32 v[2:3], v1 offset1:2
	s_waitcnt lgkmcnt(0)
	v_add_f32_e32 v2, v2, v3
	ds_write_b32 v1, v2
.LBB64_45:
	s_or_b64 exec, exec, s[0:1]
	v_cmp_gt_u32_e32 vcc, 64, v0
	s_waitcnt lgkmcnt(0)
	s_barrier
	s_and_saveexec_b64 s[0:1], vcc
	s_cbranch_execz .LBB64_47
; %bb.46:
	ds_read2st64_b32 v[2:3], v1 offset1:1
	s_waitcnt lgkmcnt(0)
	v_add_f32_e32 v2, v2, v3
	ds_write_b32 v1, v2
.LBB64_47:
	s_or_b64 exec, exec, s[0:1]
	v_cmp_gt_u32_e32 vcc, 32, v0
	s_waitcnt lgkmcnt(0)
	s_barrier
	s_and_saveexec_b64 s[0:1], vcc
	s_cbranch_execz .LBB64_49
; %bb.48:
	ds_read2_b32 v[2:3], v1 offset1:32
	s_waitcnt lgkmcnt(0)
	v_add_f32_e32 v2, v2, v3
	ds_write_b32 v1, v2
.LBB64_49:
	s_or_b64 exec, exec, s[0:1]
	v_cmp_gt_u32_e32 vcc, 16, v0
	s_waitcnt lgkmcnt(0)
	s_barrier
	s_and_saveexec_b64 s[0:1], vcc
	s_cbranch_execz .LBB64_51
; %bb.50:
	ds_read2_b32 v[2:3], v1 offset1:16
	s_waitcnt lgkmcnt(0)
	v_add_f32_e32 v2, v2, v3
	ds_write_b32 v1, v2
.LBB64_51:
	s_or_b64 exec, exec, s[0:1]
	v_cmp_gt_u32_e32 vcc, 8, v0
	s_waitcnt lgkmcnt(0)
	s_barrier
	s_and_saveexec_b64 s[0:1], vcc
	s_cbranch_execz .LBB64_53
; %bb.52:
	ds_read2_b32 v[2:3], v1 offset1:8
	s_waitcnt lgkmcnt(0)
	v_add_f32_e32 v2, v2, v3
	ds_write_b32 v1, v2
.LBB64_53:
	s_or_b64 exec, exec, s[0:1]
	v_cmp_gt_u32_e32 vcc, 4, v0
	s_waitcnt lgkmcnt(0)
	s_barrier
	s_and_saveexec_b64 s[0:1], vcc
	s_cbranch_execz .LBB64_55
; %bb.54:
	ds_read2_b32 v[2:3], v1 offset1:4
	s_waitcnt lgkmcnt(0)
	v_add_f32_e32 v2, v2, v3
	ds_write_b32 v1, v2
.LBB64_55:
	s_or_b64 exec, exec, s[0:1]
	v_cmp_gt_u32_e32 vcc, 2, v0
	s_waitcnt lgkmcnt(0)
	s_barrier
	s_and_saveexec_b64 s[0:1], vcc
	s_cbranch_execz .LBB64_57
; %bb.56:
	ds_read2_b32 v[2:3], v1 offset1:2
	s_waitcnt lgkmcnt(0)
	v_add_f32_e32 v2, v2, v3
	ds_write_b32 v1, v2
.LBB64_57:
	s_or_b64 exec, exec, s[0:1]
	v_cmp_eq_u32_e32 vcc, 0, v0
	s_waitcnt lgkmcnt(0)
	s_barrier
	s_and_saveexec_b64 s[0:1], vcc
	s_cbranch_execz .LBB64_59
; %bb.58:
	v_mov_b32_e32 v3, 0
	ds_read_b64 v[1:2], v3
	s_waitcnt lgkmcnt(0)
	v_add_f32_e32 v1, v1, v2
	ds_write_b32 v3, v1
.LBB64_59:
	s_or_b64 exec, exec, s[0:1]
	s_waitcnt lgkmcnt(0)
	s_barrier
	s_and_saveexec_b64 s[0:1], vcc
	s_cbranch_execz .LBB64_69
; %bb.60:
	s_cmp_eq_u32 s33, 0
	s_cbranch_scc1 .LBB64_66
; %bb.61:
	s_ashr_i32 s7, s6, 31
	s_lshl_b64 s[6:7], s[6:7], 2
	s_add_u32 s6, s8, s6
	s_addc_u32 s7, s9, s7
	v_mov_b32_e32 v1, 0
	s_branch .LBB64_63
.LBB64_62:                              ;   in Loop: Header=BB64_63 Depth=1
	s_or_b64 exec, exec, s[8:9]
	s_waitcnt vmcnt(0)
	v_readfirstlane_b32 s8, v2
	v_cmp_eq_u32_e32 vcc, s8, v7
	s_cbranch_vccz .LBB64_65
.LBB64_63:                              ; =>This Inner Loop Header: Depth=1
	v_mbcnt_lo_u32_b32 v2, exec_lo, 0
	v_mbcnt_hi_u32_b32 v2, exec_hi, v2
	v_cmp_eq_u32_e32 vcc, 0, v2
                                        ; implicit-def: $vgpr2
	s_and_saveexec_b64 s[8:9], vcc
	s_cbranch_execz .LBB64_62
; %bb.64:                               ;   in Loop: Header=BB64_63 Depth=1
	global_load_dword v2, v1, s[6:7] glc
	s_branch .LBB64_62
.LBB64_65:
	v_mov_b32_e32 v1, 0
	global_load_ushort v2, v1, s[2:3]
	s_waitcnt vmcnt(0)
	v_xor_b32_e32 v2, 1, v2
	global_store_short v1, v2, s[2:3]
.LBB64_66:
	s_mov_b64 s[6:7], exec
	v_mbcnt_lo_u32_b32 v1, s6, 0
	v_mbcnt_hi_u32_b32 v1, s7, v1
	v_cmp_eq_u32_e32 vcc, 0, v1
	s_and_b64 s[2:3], exec, vcc
	s_mov_b64 exec, s[2:3]
	s_cbranch_execz .LBB64_69
; %bb.67:
	s_add_u32 s2, s36, s46
	s_addc_u32 s3, s37, s47
	v_mov_b32_e32 v3, 0
	global_load_dword v2, v3, s[2:3]
	ds_read_b32 v1, v3
	s_bcnt1_i32_b64 s6, s[6:7]
	v_cvt_f32_ubyte0_e32 v4, s6
	s_mov_b64 s[6:7], 0
	s_waitcnt lgkmcnt(0)
	v_mul_f32_e32 v4, v1, v4
.LBB64_68:                              ; =>This Inner Loop Header: Depth=1
	s_waitcnt vmcnt(0)
	v_add_f32_e32 v1, v2, v4
	global_atomic_cmpswap v1, v3, v[1:2], s[2:3] glc
	s_waitcnt vmcnt(0)
	v_cmp_eq_u32_e32 vcc, v1, v2
	s_or_b64 s[6:7], vcc, s[6:7]
	v_mov_b32_e32 v2, v1
	s_andn2_b64 exec, exec, s[6:7]
	s_cbranch_execnz .LBB64_68
.LBB64_69:
	s_or_b64 exec, exec, s[0:1]
.LBB64_70:
	s_mov_b64 s[0:1], 0
.LBB64_71:
	s_andn2_b64 vcc, exec, s[0:1]
	s_cbranch_vccnz .LBB64_115
; %bb.72:
	s_load_dword s0, s[4:5], 0x4
	v_subrev_u32_e32 v1, s44, v0
	s_waitcnt lgkmcnt(0)
	v_add_u32_e32 v1, s35, v1
	v_add_u32_e32 v2, 0x300, v1
	v_cmp_le_i32_e32 vcc, s0, v2
	s_and_saveexec_b64 s[0:1], vcc
	s_xor_b64 s[0:1], exec, s[0:1]
	s_cbranch_execz .LBB64_77
; %bb.73:
	s_ashr_i32 s3, s39, 31
	s_mov_b32 s2, s39
	s_lshl_b64 s[2:3], s[2:3], 2
	s_add_u32 s2, s24, s2
	s_addc_u32 s3, s25, s3
	s_load_dword s2, s[2:3], 0x0
	s_waitcnt lgkmcnt(0)
	s_sub_i32 s6, s2, s44
	v_cmp_gt_i32_e32 vcc, s6, v1
	s_and_saveexec_b64 s[2:3], vcc
	s_cbranch_execz .LBB64_76
; %bb.74:
	v_lshlrev_b32_e32 v3, 2, v0
	s_mov_b64 s[4:5], 0
	v_mov_b32_e32 v4, s29
	v_mov_b32_e32 v5, s27
	;; [unrolled: 1-line block ×3, first 2 shown]
.LBB64_75:                              ; =>This Inner Loop Header: Depth=1
	v_ashrrev_i32_e32 v2, 31, v1
	v_lshlrev_b64 v[7:8], 2, v[1:2]
	v_add_co_u32_e32 v7, vcc, s26, v7
	v_addc_co_u32_e32 v8, vcc, v5, v8, vcc
	global_load_dword v9, v[7:8], off
	v_lshlrev_b64 v[7:8], 1, v[1:2]
	v_add_u32_e32 v1, 0x100, v1
	v_add_co_u32_e32 v7, vcc, s28, v7
	v_addc_co_u32_e32 v8, vcc, v4, v8, vcc
	global_load_ushort v2, v[7:8], off
	s_waitcnt vmcnt(1)
	v_subrev_u32_e32 v7, s44, v9
	v_ashrrev_i32_e32 v8, 31, v7
	v_lshlrev_b64 v[7:8], 1, v[7:8]
	v_add_co_u32_e32 v7, vcc, s30, v7
	v_addc_co_u32_e32 v8, vcc, v6, v8, vcc
	global_load_ushort v7, v[7:8], off
	s_waitcnt vmcnt(1)
	v_cvt_f32_f16_e32 v2, v2
	v_cmp_le_i32_e32 vcc, s6, v1
	s_or_b64 s[4:5], vcc, s[4:5]
	v_mul_f32_e32 v2, s42, v2
	s_waitcnt vmcnt(0)
	v_cvt_f32_f16_e32 v7, v7
	v_mul_f32_e32 v2, v2, v7
	ds_write_b32 v3, v2
	v_add_u32_e32 v3, 0x400, v3
	s_andn2_b64 exec, exec, s[4:5]
	s_cbranch_execnz .LBB64_75
.LBB64_76:
	s_or_b64 exec, exec, s[2:3]
                                        ; implicit-def: $vgpr1
.LBB64_77:
	s_or_saveexec_b64 s[0:1], s[0:1]
	v_lshlrev_b32_e32 v6, 2, v0
	s_xor_b64 exec, exec, s[0:1]
	s_cbranch_execz .LBB64_79
; %bb.78:
	v_ashrrev_i32_e32 v2, 31, v1
	v_lshlrev_b64 v[3:4], 2, v[1:2]
	v_mov_b32_e32 v5, s27
	v_add_co_u32_e32 v3, vcc, s26, v3
	v_addc_co_u32_e32 v4, vcc, v5, v4, vcc
	global_load_dword v5, v[3:4], off
	global_load_dword v7, v[3:4], off offset:1024
	global_load_dword v8, v[3:4], off offset:2048
	;; [unrolled: 1-line block ×3, first 2 shown]
	v_lshlrev_b64 v[1:2], 1, v[1:2]
	v_mov_b32_e32 v3, s29
	v_add_co_u32_e32 v1, vcc, s28, v1
	v_addc_co_u32_e32 v2, vcc, v3, v2, vcc
	global_load_ushort v15, v[1:2], off
	global_load_ushort v16, v[1:2], off offset:512
	global_load_ushort v17, v[1:2], off offset:1024
	;; [unrolled: 1-line block ×3, first 2 shown]
	v_mov_b32_e32 v11, s31
	v_mov_b32_e32 v12, s31
	;; [unrolled: 1-line block ×4, first 2 shown]
	s_waitcnt vmcnt(7)
	v_subrev_u32_e32 v1, s44, v5
	v_ashrrev_i32_e32 v2, 31, v1
	s_waitcnt vmcnt(6)
	v_subrev_u32_e32 v3, s44, v7
	v_lshlrev_b64 v[1:2], 1, v[1:2]
	v_ashrrev_i32_e32 v4, 31, v3
	s_waitcnt vmcnt(5)
	v_subrev_u32_e32 v7, s44, v8
	v_lshlrev_b64 v[3:4], 1, v[3:4]
	v_add_co_u32_e32 v1, vcc, s30, v1
	v_ashrrev_i32_e32 v8, 31, v7
	v_addc_co_u32_e32 v2, vcc, v11, v2, vcc
	s_waitcnt vmcnt(4)
	v_subrev_u32_e32 v9, s44, v9
	v_lshlrev_b64 v[7:8], 1, v[7:8]
	v_add_co_u32_e32 v3, vcc, s30, v3
	v_ashrrev_i32_e32 v10, 31, v9
	v_addc_co_u32_e32 v4, vcc, v12, v4, vcc
	v_lshlrev_b64 v[9:10], 1, v[9:10]
	v_add_co_u32_e32 v7, vcc, s30, v7
	v_addc_co_u32_e32 v8, vcc, v13, v8, vcc
	v_add_co_u32_e32 v9, vcc, s30, v9
	v_addc_co_u32_e32 v10, vcc, v14, v10, vcc
	global_load_ushort v5, v[1:2], off
	global_load_ushort v11, v[3:4], off
	;; [unrolled: 1-line block ×4, first 2 shown]
	s_waitcnt vmcnt(7)
	v_cvt_f32_f16_e32 v1, v15
	s_waitcnt vmcnt(6)
	v_cvt_f32_f16_e32 v2, v16
	;; [unrolled: 2-line block ×4, first 2 shown]
	v_mul_f32_e32 v1, s42, v1
	v_mul_f32_e32 v2, s42, v2
	;; [unrolled: 1-line block ×4, first 2 shown]
	s_waitcnt vmcnt(3)
	v_cvt_f32_f16_e32 v5, v5
	s_waitcnt vmcnt(2)
	v_cvt_f32_f16_e32 v7, v11
	;; [unrolled: 2-line block ×4, first 2 shown]
	v_mul_f32_e32 v1, v1, v5
	v_mul_f32_e32 v2, v2, v7
	;; [unrolled: 1-line block ×4, first 2 shown]
	ds_write2st64_b32 v6, v1, v2 offset1:4
	ds_write2st64_b32 v6, v3, v4 offset0:8 offset1:12
.LBB64_79:
	s_or_b64 exec, exec, s[0:1]
	s_cmp_lt_i32 s33, 2
	s_mov_b64 s[0:1], -1
	s_waitcnt vmcnt(0) lgkmcnt(0)
	s_barrier
	s_cbranch_scc0 .LBB64_90
; %bb.80:
	v_add_u32_e32 v1, s38, v0
	v_cmp_gt_i32_e32 vcc, s39, v1
	s_and_saveexec_b64 s[0:1], vcc
	s_cbranch_execz .LBB64_89
; %bb.81:
	s_lshl_b32 s4, s35, 2
	v_cmp_neq_f32_e64 s[2:3], s34, 0
	s_sub_i32 s10, 0, s4
	s_mov_b64 s[4:5], 0
	v_mov_b32_e32 v7, s25
	v_mov_b32_e32 v8, s37
	s_branch .LBB64_83
.LBB64_82:                              ;   in Loop: Header=BB64_83 Depth=1
	v_add_co_u32_e32 v2, vcc, s36, v2
	v_addc_co_u32_e32 v3, vcc, v8, v3, vcc
	v_add_u32_e32 v1, 0x100, v1
	v_cmp_le_i32_e32 vcc, s39, v1
	s_or_b64 s[4:5], vcc, s[4:5]
	global_store_dword v[2:3], v9, off
	s_andn2_b64 exec, exec, s[4:5]
	s_cbranch_execz .LBB64_89
.LBB64_83:                              ; =>This Loop Header: Depth=1
                                        ;     Child Loop BB64_85 Depth 2
	v_ashrrev_i32_e32 v2, 31, v1
	v_lshlrev_b64 v[2:3], 2, v[1:2]
	v_mov_b32_e32 v9, 0
	v_add_co_u32_e32 v4, vcc, s24, v2
	v_addc_co_u32_e32 v5, vcc, v7, v3, vcc
	global_load_dwordx2 v[4:5], v[4:5], off
	s_waitcnt vmcnt(0)
	v_cmp_lt_i32_e32 vcc, v4, v5
	s_and_saveexec_b64 s[6:7], vcc
	s_cbranch_execz .LBB64_87
; %bb.84:                               ;   in Loop: Header=BB64_83 Depth=1
	v_subrev_u32_e32 v5, s35, v5
	v_subrev_u32_e32 v10, s35, v4
	v_lshl_add_u32 v4, v4, 2, s10
	v_mov_b32_e32 v9, 0
	s_mov_b64 s[8:9], 0
.LBB64_85:                              ;   Parent Loop BB64_83 Depth=1
                                        ; =>  This Inner Loop Header: Depth=2
	ds_read_b32 v11, v4
	v_add_u32_e32 v10, 1, v10
	v_cmp_ge_i32_e32 vcc, v10, v5
	v_add_u32_e32 v4, 4, v4
	s_or_b64 s[8:9], vcc, s[8:9]
	s_waitcnt lgkmcnt(0)
	v_add_f32_e32 v9, v9, v11
	s_andn2_b64 exec, exec, s[8:9]
	s_cbranch_execnz .LBB64_85
; %bb.86:                               ;   in Loop: Header=BB64_83 Depth=1
	s_or_b64 exec, exec, s[8:9]
.LBB64_87:                              ;   in Loop: Header=BB64_83 Depth=1
	s_or_b64 exec, exec, s[6:7]
	s_and_b64 vcc, exec, s[2:3]
	s_cbranch_vccz .LBB64_82
; %bb.88:                               ;   in Loop: Header=BB64_83 Depth=1
	v_mov_b32_e32 v5, s37
	v_add_co_u32_e32 v4, vcc, s36, v2
	v_addc_co_u32_e32 v5, vcc, v5, v3, vcc
	global_load_dword v4, v[4:5], off
	s_waitcnt vmcnt(0)
	v_fmac_f32_e32 v9, s34, v4
	s_branch .LBB64_82
.LBB64_89:
	s_or_b64 exec, exec, s[0:1]
	s_mov_b64 s[0:1], 0
.LBB64_90:
	s_andn2_b64 vcc, exec, s[0:1]
	s_cbranch_vccnz .LBB64_115
; %bb.91:
	s_flbit_i32_b32 s0, s33
	s_xor_b32 s0, s0, 31
	v_lshrrev_b32_e32 v3, s0, v0
	v_add_u32_e32 v1, s38, v3
	s_add_i32 s0, s33, -1
	v_and_b32_e32 v0, s0, v0
	v_cmp_le_i32_e32 vcc, s39, v1
	v_cmp_gt_i32_e64 s[0:1], s39, v1
	v_mov_b32_e32 v2, 0
	s_and_saveexec_b64 s[2:3], s[0:1]
	s_cbranch_execz .LBB64_97
; %bb.92:
	v_lshlrev_b32_e32 v2, 2, v3
	global_load_dwordx2 v[2:3], v2, s[40:41]
	v_subrev_u32_e32 v4, s35, v0
	s_waitcnt vmcnt(0)
	v_subrev_u32_e32 v3, s35, v3
	v_add_u32_e32 v4, v2, v4
	v_cmp_lt_i32_e64 s[0:1], v4, v3
	v_mov_b32_e32 v2, 0
	s_and_saveexec_b64 s[4:5], s[0:1]
	s_cbranch_execz .LBB64_96
; %bb.93:
	v_lshlrev_b32_e32 v5, 2, v4
	s_lshl_b32 s8, s33, 2
	v_mov_b32_e32 v2, 0
	s_mov_b64 s[6:7], 0
.LBB64_94:                              ; =>This Inner Loop Header: Depth=1
	ds_read_b32 v7, v5
	v_add_u32_e32 v4, s33, v4
	v_cmp_ge_i32_e64 s[0:1], v4, v3
	v_add_u32_e32 v5, s8, v5
	s_or_b64 s[6:7], s[0:1], s[6:7]
	s_waitcnt lgkmcnt(0)
	v_add_f32_e32 v2, v2, v7
	s_andn2_b64 exec, exec, s[6:7]
	s_cbranch_execnz .LBB64_94
; %bb.95:
	s_or_b64 exec, exec, s[6:7]
.LBB64_96:
	s_or_b64 exec, exec, s[4:5]
.LBB64_97:
	s_or_b64 exec, exec, s[2:3]
	s_cmpk_lt_u32 s33, 0x81
	s_waitcnt vmcnt(0)
	s_barrier
	ds_write_b32 v6, v2
	s_waitcnt lgkmcnt(0)
	s_barrier
	s_cbranch_scc1 .LBB64_99
; %bb.98:
	ds_read_b32 v3, v6 offset:512
	s_waitcnt lgkmcnt(0)
	s_barrier
	v_add_f32_e32 v2, v2, v3
	ds_write_b32 v6, v2
.LBB64_99:
	s_cmpk_lt_u32 s33, 0x41
	s_waitcnt lgkmcnt(0)
	s_barrier
	s_cbranch_scc1 .LBB64_101
; %bb.100:
	ds_read_b32 v3, v6 offset:256
	s_waitcnt lgkmcnt(0)
	s_barrier
	v_add_f32_e32 v2, v2, v3
	ds_write_b32 v6, v2
.LBB64_101:
	s_cmp_lt_u32 s33, 33
	s_waitcnt lgkmcnt(0)
	s_barrier
	s_cbranch_scc1 .LBB64_103
; %bb.102:
	ds_read_b32 v3, v6 offset:128
	s_waitcnt lgkmcnt(0)
	s_barrier
	v_add_f32_e32 v2, v2, v3
	ds_write_b32 v6, v2
.LBB64_103:
	s_cmp_lt_u32 s33, 17
	;; [unrolled: 11-line block ×4, first 2 shown]
	s_waitcnt lgkmcnt(0)
	s_barrier
	s_cbranch_scc1 .LBB64_109
; %bb.108:
	ds_read_b32 v3, v6 offset:16
	s_waitcnt lgkmcnt(0)
	s_barrier
	v_add_f32_e32 v2, v2, v3
	ds_write_b32 v6, v2
.LBB64_109:
	s_cmp_eq_u32 s33, 2
	s_waitcnt lgkmcnt(0)
	s_barrier
	s_cbranch_scc1 .LBB64_111
; %bb.110:
	ds_read_b32 v3, v6 offset:8
	s_waitcnt lgkmcnt(0)
	s_barrier
	v_add_f32_e32 v2, v2, v3
	ds_write_b32 v6, v2
.LBB64_111:
	s_waitcnt lgkmcnt(0)
	s_barrier
	ds_read_b32 v3, v6 offset:4
	v_cmp_eq_u32_e64 s[0:1], 0, v0
	s_xor_b64 s[2:3], vcc, -1
	s_and_b64 s[0:1], s[0:1], s[2:3]
	s_waitcnt lgkmcnt(0)
	v_add_f32_e32 v3, v2, v3
	s_barrier
	ds_write_b32 v6, v3
	s_and_saveexec_b64 s[2:3], s[0:1]
	s_cbranch_execz .LBB64_115
; %bb.112:
	v_ashrrev_i32_e32 v2, 31, v1
	v_cmp_eq_f32_e64 s[0:1], s34, 0
	v_lshlrev_b64 v[0:1], 2, v[1:2]
	s_and_b64 vcc, exec, s[0:1]
	s_cbranch_vccnz .LBB64_114
; %bb.113:
	v_mov_b32_e32 v2, s37
	v_add_co_u32_e32 v4, vcc, s36, v0
	v_addc_co_u32_e32 v5, vcc, v2, v1, vcc
	global_load_dword v2, v[4:5], off
	s_waitcnt vmcnt(0)
	v_fmac_f32_e32 v3, s34, v2
.LBB64_114:
	v_mov_b32_e32 v2, s37
	v_add_co_u32_e32 v0, vcc, s36, v0
	v_addc_co_u32_e32 v1, vcc, v2, v1, vcc
	global_store_dword v[0:1], v3, off
.LBB64_115:
	s_endpgm
	.section	.rodata,"a",@progbits
	.p2align	6, 0x0
	.amdhsa_kernel _ZN9rocsparseL22csrmvn_adaptive_kernelIiiDF16_DF16_ffEEvbT_PKS1_PjPKT0_NS_24const_host_device_scalarIT4_EES3_S7_PKT1_PKT2_SA_PT3_21rocsparse_index_base_b
		.amdhsa_group_segment_fixed_size 4096
		.amdhsa_private_segment_fixed_size 0
		.amdhsa_kernarg_size 96
		.amdhsa_user_sgpr_count 6
		.amdhsa_user_sgpr_private_segment_buffer 1
		.amdhsa_user_sgpr_dispatch_ptr 0
		.amdhsa_user_sgpr_queue_ptr 0
		.amdhsa_user_sgpr_kernarg_segment_ptr 1
		.amdhsa_user_sgpr_dispatch_id 0
		.amdhsa_user_sgpr_flat_scratch_init 0
		.amdhsa_user_sgpr_private_segment_size 0
		.amdhsa_uses_dynamic_stack 0
		.amdhsa_system_sgpr_private_segment_wavefront_offset 0
		.amdhsa_system_sgpr_workgroup_id_x 1
		.amdhsa_system_sgpr_workgroup_id_y 0
		.amdhsa_system_sgpr_workgroup_id_z 0
		.amdhsa_system_sgpr_workgroup_info 0
		.amdhsa_system_vgpr_workitem_id 0
		.amdhsa_next_free_vgpr 19
		.amdhsa_next_free_sgpr 58
		.amdhsa_reserve_vcc 1
		.amdhsa_reserve_flat_scratch 0
		.amdhsa_float_round_mode_32 0
		.amdhsa_float_round_mode_16_64 0
		.amdhsa_float_denorm_mode_32 3
		.amdhsa_float_denorm_mode_16_64 3
		.amdhsa_dx10_clamp 1
		.amdhsa_ieee_mode 1
		.amdhsa_fp16_overflow 0
		.amdhsa_exception_fp_ieee_invalid_op 0
		.amdhsa_exception_fp_denorm_src 0
		.amdhsa_exception_fp_ieee_div_zero 0
		.amdhsa_exception_fp_ieee_overflow 0
		.amdhsa_exception_fp_ieee_underflow 0
		.amdhsa_exception_fp_ieee_inexact 0
		.amdhsa_exception_int_div_zero 0
	.end_amdhsa_kernel
	.section	.text._ZN9rocsparseL22csrmvn_adaptive_kernelIiiDF16_DF16_ffEEvbT_PKS1_PjPKT0_NS_24const_host_device_scalarIT4_EES3_S7_PKT1_PKT2_SA_PT3_21rocsparse_index_base_b,"axG",@progbits,_ZN9rocsparseL22csrmvn_adaptive_kernelIiiDF16_DF16_ffEEvbT_PKS1_PjPKT0_NS_24const_host_device_scalarIT4_EES3_S7_PKT1_PKT2_SA_PT3_21rocsparse_index_base_b,comdat
.Lfunc_end64:
	.size	_ZN9rocsparseL22csrmvn_adaptive_kernelIiiDF16_DF16_ffEEvbT_PKS1_PjPKT0_NS_24const_host_device_scalarIT4_EES3_S7_PKT1_PKT2_SA_PT3_21rocsparse_index_base_b, .Lfunc_end64-_ZN9rocsparseL22csrmvn_adaptive_kernelIiiDF16_DF16_ffEEvbT_PKS1_PjPKT0_NS_24const_host_device_scalarIT4_EES3_S7_PKT1_PKT2_SA_PT3_21rocsparse_index_base_b
                                        ; -- End function
	.set _ZN9rocsparseL22csrmvn_adaptive_kernelIiiDF16_DF16_ffEEvbT_PKS1_PjPKT0_NS_24const_host_device_scalarIT4_EES3_S7_PKT1_PKT2_SA_PT3_21rocsparse_index_base_b.num_vgpr, 19
	.set _ZN9rocsparseL22csrmvn_adaptive_kernelIiiDF16_DF16_ffEEvbT_PKS1_PjPKT0_NS_24const_host_device_scalarIT4_EES3_S7_PKT1_PKT2_SA_PT3_21rocsparse_index_base_b.num_agpr, 0
	.set _ZN9rocsparseL22csrmvn_adaptive_kernelIiiDF16_DF16_ffEEvbT_PKS1_PjPKT0_NS_24const_host_device_scalarIT4_EES3_S7_PKT1_PKT2_SA_PT3_21rocsparse_index_base_b.numbered_sgpr, 58
	.set _ZN9rocsparseL22csrmvn_adaptive_kernelIiiDF16_DF16_ffEEvbT_PKS1_PjPKT0_NS_24const_host_device_scalarIT4_EES3_S7_PKT1_PKT2_SA_PT3_21rocsparse_index_base_b.num_named_barrier, 0
	.set _ZN9rocsparseL22csrmvn_adaptive_kernelIiiDF16_DF16_ffEEvbT_PKS1_PjPKT0_NS_24const_host_device_scalarIT4_EES3_S7_PKT1_PKT2_SA_PT3_21rocsparse_index_base_b.private_seg_size, 0
	.set _ZN9rocsparseL22csrmvn_adaptive_kernelIiiDF16_DF16_ffEEvbT_PKS1_PjPKT0_NS_24const_host_device_scalarIT4_EES3_S7_PKT1_PKT2_SA_PT3_21rocsparse_index_base_b.uses_vcc, 1
	.set _ZN9rocsparseL22csrmvn_adaptive_kernelIiiDF16_DF16_ffEEvbT_PKS1_PjPKT0_NS_24const_host_device_scalarIT4_EES3_S7_PKT1_PKT2_SA_PT3_21rocsparse_index_base_b.uses_flat_scratch, 0
	.set _ZN9rocsparseL22csrmvn_adaptive_kernelIiiDF16_DF16_ffEEvbT_PKS1_PjPKT0_NS_24const_host_device_scalarIT4_EES3_S7_PKT1_PKT2_SA_PT3_21rocsparse_index_base_b.has_dyn_sized_stack, 0
	.set _ZN9rocsparseL22csrmvn_adaptive_kernelIiiDF16_DF16_ffEEvbT_PKS1_PjPKT0_NS_24const_host_device_scalarIT4_EES3_S7_PKT1_PKT2_SA_PT3_21rocsparse_index_base_b.has_recursion, 0
	.set _ZN9rocsparseL22csrmvn_adaptive_kernelIiiDF16_DF16_ffEEvbT_PKS1_PjPKT0_NS_24const_host_device_scalarIT4_EES3_S7_PKT1_PKT2_SA_PT3_21rocsparse_index_base_b.has_indirect_call, 0
	.section	.AMDGPU.csdata,"",@progbits
; Kernel info:
; codeLenInByte = 3760
; TotalNumSgprs: 62
; NumVgprs: 19
; ScratchSize: 0
; MemoryBound: 0
; FloatMode: 240
; IeeeMode: 1
; LDSByteSize: 4096 bytes/workgroup (compile time only)
; SGPRBlocks: 7
; VGPRBlocks: 4
; NumSGPRsForWavesPerEU: 62
; NumVGPRsForWavesPerEU: 19
; Occupancy: 10
; WaveLimiterHint : 1
; COMPUTE_PGM_RSRC2:SCRATCH_EN: 0
; COMPUTE_PGM_RSRC2:USER_SGPR: 6
; COMPUTE_PGM_RSRC2:TRAP_HANDLER: 0
; COMPUTE_PGM_RSRC2:TGID_X_EN: 1
; COMPUTE_PGM_RSRC2:TGID_Y_EN: 0
; COMPUTE_PGM_RSRC2:TGID_Z_EN: 0
; COMPUTE_PGM_RSRC2:TIDIG_COMP_CNT: 0
	.section	.text._ZN9rocsparseL27csrmvn_symm_adaptive_kernelIiiDF16_DF16_ffEEvbT_S1_PKS1_NS_24const_host_device_scalarIT4_EES3_PKT0_PKT1_PKT2_S6_PT3_21rocsparse_index_base_b,"axG",@progbits,_ZN9rocsparseL27csrmvn_symm_adaptive_kernelIiiDF16_DF16_ffEEvbT_S1_PKS1_NS_24const_host_device_scalarIT4_EES3_PKT0_PKT1_PKT2_S6_PT3_21rocsparse_index_base_b,comdat
	.globl	_ZN9rocsparseL27csrmvn_symm_adaptive_kernelIiiDF16_DF16_ffEEvbT_S1_PKS1_NS_24const_host_device_scalarIT4_EES3_PKT0_PKT1_PKT2_S6_PT3_21rocsparse_index_base_b ; -- Begin function _ZN9rocsparseL27csrmvn_symm_adaptive_kernelIiiDF16_DF16_ffEEvbT_S1_PKS1_NS_24const_host_device_scalarIT4_EES3_PKT0_PKT1_PKT2_S6_PT3_21rocsparse_index_base_b
	.p2align	8
	.type	_ZN9rocsparseL27csrmvn_symm_adaptive_kernelIiiDF16_DF16_ffEEvbT_S1_PKS1_NS_24const_host_device_scalarIT4_EES3_PKT0_PKT1_PKT2_S6_PT3_21rocsparse_index_base_b,@function
_ZN9rocsparseL27csrmvn_symm_adaptive_kernelIiiDF16_DF16_ffEEvbT_S1_PKS1_NS_24const_host_device_scalarIT4_EES3_PKT0_PKT1_PKT2_S6_PT3_21rocsparse_index_base_b: ; @_ZN9rocsparseL27csrmvn_symm_adaptive_kernelIiiDF16_DF16_ffEEvbT_S1_PKS1_NS_24const_host_device_scalarIT4_EES3_PKT0_PKT1_PKT2_S6_PT3_21rocsparse_index_base_b
; %bb.0:
	s_load_dwordx2 s[24:25], s[4:5], 0x50
	s_load_dwordx2 s[26:27], s[4:5], 0x18
	;; [unrolled: 1-line block ×3, first 2 shown]
	s_waitcnt lgkmcnt(0)
	s_bitcmp1_b32 s25, 0
	s_cselect_b64 s[8:9], -1, 0
	s_xor_b64 s[2:3], s[8:9], -1
	s_and_b64 vcc, exec, s[8:9]
	s_cbranch_vccnz .LBB65_2
; %bb.1:
	s_load_dword s26, s[26:27], 0x0
.LBB65_2:
	s_andn2_b64 vcc, exec, s[2:3]
	s_cbranch_vccnz .LBB65_4
; %bb.3:
	s_load_dword s0, s[0:1], 0x0
.LBB65_4:
	s_waitcnt lgkmcnt(0)
	v_cmp_neq_f32_e64 s[2:3], s26, 0
	v_cmp_neq_f32_e64 s[0:1], s0, 1.0
	s_or_b64 s[0:1], s[2:3], s[0:1]
	s_andn2_b64 vcc, exec, s[0:1]
	s_cbranch_vccnz .LBB65_158
; %bb.5:
	s_load_dwordx2 s[0:1], s[4:5], 0x10
	s_ashr_i32 s7, s6, 31
	s_lshl_b64 s[2:3], s[6:7], 2
	v_lshlrev_b32_e32 v9, 2, v0
	v_mov_b32_e32 v1, 0
	s_waitcnt lgkmcnt(0)
	s_add_u32 s0, s0, s2
	s_addc_u32 s1, s1, s3
	ds_write2st64_b32 v9, v1, v1 offset1:4
	ds_write2st64_b32 v9, v1, v1 offset0:8 offset1:12
	s_waitcnt lgkmcnt(0)
	s_barrier
	s_load_dwordx2 s[22:23], s[0:1], 0x0
	s_load_dwordx8 s[12:19], s[4:5], 0x20
	s_load_dwordx2 s[20:21], s[4:5], 0x48
	s_mov_b64 s[0:1], -1
	v_subrev_u32_e32 v7, s24, v0
	s_waitcnt lgkmcnt(0)
	s_sub_i32 s25, s23, s22
	s_cmp_gt_i32 s25, 2
	s_cbranch_scc1 .LBB65_36
; %bb.6:
	s_cmp_le_i32 s23, s22
	s_cbranch_scc1 .LBB65_25
; %bb.7:
	v_cmp_gt_u32_e64 s[0:1], 64, v0
	v_cmp_gt_u32_e64 s[2:3], 16, v0
	;; [unrolled: 1-line block ×3, first 2 shown]
	v_cmp_eq_u32_e64 s[8:9], 0, v0
	v_mov_b32_e32 v8, 0
	s_mov_b32 s28, s22
	s_branch .LBB65_9
.LBB65_8:                               ;   in Loop: Header=BB65_9 Depth=1
	s_or_b64 exec, exec, s[10:11]
	s_add_i32 s28, s28, 1
	s_cmp_ge_i32 s28, s23
	s_cbranch_scc1 .LBB65_25
.LBB65_9:                               ; =>This Loop Header: Depth=1
                                        ;     Child Loop BB65_11 Depth 2
                                        ;     Child Loop BB65_24 Depth 2
	s_ashr_i32 s29, s28, 31
	s_lshl_b64 s[30:31], s[28:29], 2
	s_add_u32 s10, s12, s30
	s_addc_u32 s11, s13, s31
	s_load_dwordx2 s[34:35], s[10:11], 0x0
	v_mov_b32_e32 v2, 0
	s_waitcnt lgkmcnt(0)
	s_sub_i32 s27, s35, s24
	v_add_u32_e32 v1, s34, v7
	v_cmp_gt_i32_e32 vcc, s27, v1
	s_and_saveexec_b64 s[34:35], vcc
	s_cbranch_execz .LBB65_13
; %bb.10:                               ;   in Loop: Header=BB65_9 Depth=1
	v_ashrrev_i32_e32 v2, 31, v1
	v_lshlrev_b64 v[3:4], 2, v[1:2]
	v_mov_b32_e32 v5, s15
	v_add_co_u32_e32 v3, vcc, s14, v3
	v_addc_co_u32_e32 v4, vcc, v5, v4, vcc
	v_lshlrev_b64 v[5:6], 1, v[1:2]
	v_mov_b32_e32 v2, s17
	v_add_co_u32_e32 v5, vcc, s16, v5
	v_addc_co_u32_e32 v6, vcc, v2, v6, vcc
	v_mov_b32_e32 v2, 0
	s_mov_b64 s[36:37], 0
.LBB65_11:                              ;   Parent Loop BB65_9 Depth=1
                                        ; =>  This Inner Loop Header: Depth=2
	global_load_dword v10, v[3:4], off
	global_load_ushort v12, v[5:6], off
	v_mov_b32_e32 v13, s19
	v_add_u32_e32 v1, 0x100, v1
	v_cmp_le_i32_e64 s[10:11], s27, v1
	s_or_b64 s[36:37], s[10:11], s[36:37]
	s_waitcnt vmcnt(1)
	v_subrev_u32_e32 v10, s24, v10
	v_ashrrev_i32_e32 v11, 31, v10
	v_lshlrev_b64 v[10:11], 1, v[10:11]
	v_add_co_u32_e32 v10, vcc, s18, v10
	v_addc_co_u32_e32 v11, vcc, v13, v11, vcc
	global_load_ushort v10, v[10:11], off
	v_add_co_u32_e32 v3, vcc, 0x400, v3
	v_addc_co_u32_e32 v4, vcc, 0, v4, vcc
	v_add_co_u32_e32 v5, vcc, 0x200, v5
	v_addc_co_u32_e32 v6, vcc, 0, v6, vcc
	s_waitcnt vmcnt(0)
	v_fma_mix_f32 v2, v12, v10, v2 op_sel_hi:[1,1,0]
	s_andn2_b64 exec, exec, s[36:37]
	s_cbranch_execnz .LBB65_11
; %bb.12:                               ;   in Loop: Header=BB65_9 Depth=1
	s_or_b64 exec, exec, s[36:37]
.LBB65_13:                              ;   in Loop: Header=BB65_9 Depth=1
	s_or_b64 exec, exec, s[34:35]
	ds_write_b32 v9, v2
	s_waitcnt lgkmcnt(0)
	s_barrier
	ds_read2st64_b32 v[1:2], v9 offset1:4
	ds_read2st64_b32 v[3:4], v9 offset0:8 offset1:12
	s_waitcnt lgkmcnt(0)
	v_add_f32_e32 v2, v2, v3
	v_add_f32_e32 v2, v2, v4
	;; [unrolled: 1-line block ×3, first 2 shown]
	ds_write_b32 v9, v1
	s_waitcnt lgkmcnt(0)
	s_barrier
	s_and_saveexec_b64 s[10:11], s[0:1]
	s_cbranch_execz .LBB65_15
; %bb.14:                               ;   in Loop: Header=BB65_9 Depth=1
	ds_read2st64_b32 v[1:2], v9 offset1:1
	ds_read2st64_b32 v[3:4], v9 offset0:2 offset1:3
	s_waitcnt lgkmcnt(0)
	v_add_f32_e32 v2, v2, v3
	v_add_f32_e32 v2, v2, v4
	;; [unrolled: 1-line block ×3, first 2 shown]
	ds_write_b32 v9, v1
.LBB65_15:                              ;   in Loop: Header=BB65_9 Depth=1
	s_or_b64 exec, exec, s[10:11]
	s_waitcnt lgkmcnt(0)
	s_barrier
	s_and_saveexec_b64 s[10:11], s[2:3]
	s_cbranch_execz .LBB65_17
; %bb.16:                               ;   in Loop: Header=BB65_9 Depth=1
	ds_read2_b32 v[1:2], v9 offset1:16
	ds_read2_b32 v[3:4], v9 offset0:32 offset1:48
	s_waitcnt lgkmcnt(0)
	v_add_f32_e32 v2, v2, v3
	v_add_f32_e32 v2, v2, v4
	v_add_f32_e32 v1, v1, v2
	ds_write_b32 v9, v1
.LBB65_17:                              ;   in Loop: Header=BB65_9 Depth=1
	s_or_b64 exec, exec, s[10:11]
	s_waitcnt lgkmcnt(0)
	s_barrier
	s_and_saveexec_b64 s[10:11], s[6:7]
	s_cbranch_execz .LBB65_19
; %bb.18:                               ;   in Loop: Header=BB65_9 Depth=1
	ds_read2_b32 v[1:2], v9 offset1:4
	ds_read2_b32 v[3:4], v9 offset0:8 offset1:12
	s_waitcnt lgkmcnt(0)
	v_add_f32_e32 v2, v2, v3
	v_add_f32_e32 v2, v2, v4
	;; [unrolled: 1-line block ×3, first 2 shown]
	ds_write_b32 v9, v1
.LBB65_19:                              ;   in Loop: Header=BB65_9 Depth=1
	s_or_b64 exec, exec, s[10:11]
	s_waitcnt lgkmcnt(0)
	s_barrier
	s_and_saveexec_b64 s[10:11], s[8:9]
	s_cbranch_execz .LBB65_21
; %bb.20:                               ;   in Loop: Header=BB65_9 Depth=1
	ds_read2_b32 v[1:2], v8 offset0:1 offset1:2
	ds_read_b32 v3, v8 offset:12
	ds_read_b32 v4, v9
	s_waitcnt lgkmcnt(2)
	v_add_f32_e32 v1, v1, v2
	s_waitcnt lgkmcnt(1)
	v_add_f32_e32 v1, v1, v3
	;; [unrolled: 2-line block ×3, first 2 shown]
	ds_write_b32 v9, v1
.LBB65_21:                              ;   in Loop: Header=BB65_9 Depth=1
	s_or_b64 exec, exec, s[10:11]
	s_waitcnt lgkmcnt(0)
	s_barrier
	s_and_saveexec_b64 s[10:11], s[8:9]
	s_cbranch_execz .LBB65_8
; %bb.22:                               ;   in Loop: Header=BB65_9 Depth=1
	s_mov_b64 s[34:35], exec
	v_mbcnt_lo_u32_b32 v1, s34, 0
	v_mbcnt_hi_u32_b32 v1, s35, v1
	v_cmp_eq_u32_e32 vcc, 0, v1
	s_and_b64 s[36:37], exec, vcc
	s_mov_b64 exec, s[36:37]
	s_cbranch_execz .LBB65_8
; %bb.23:                               ;   in Loop: Header=BB65_9 Depth=1
	s_add_u32 s30, s20, s30
	s_addc_u32 s31, s21, s31
	global_load_dword v2, v8, s[30:31]
	ds_read_b32 v1, v8
	s_bcnt1_i32_b64 s27, s[34:35]
	v_cvt_f32_ubyte0_e32 v3, s27
	s_mov_b64 s[34:35], 0
	s_waitcnt lgkmcnt(0)
	v_mul_f32_e32 v1, s26, v1
	v_mul_f32_e32 v3, v1, v3
.LBB65_24:                              ;   Parent Loop BB65_9 Depth=1
                                        ; =>  This Inner Loop Header: Depth=2
	s_waitcnt vmcnt(0)
	v_add_f32_e32 v1, v2, v3
	global_atomic_cmpswap v1, v8, v[1:2], s[30:31] glc
	s_waitcnt vmcnt(0)
	v_cmp_eq_u32_e32 vcc, v1, v2
	s_or_b64 s[34:35], vcc, s[34:35]
	v_mov_b32_e32 v2, v1
	s_andn2_b64 exec, exec, s[34:35]
	s_cbranch_execnz .LBB65_24
	s_branch .LBB65_8
.LBB65_25:
	s_ashr_i32 s1, s22, 31
	s_mov_b32 s0, s22
	s_lshl_b64 s[0:1], s[0:1], 2
	s_add_u32 s0, s12, s0
	s_addc_u32 s1, s13, s1
	s_ashr_i32 s3, s23, 31
	s_mov_b32 s2, s23
	s_lshl_b64 s[2:3], s[2:3], 2
	s_add_u32 s2, s12, s2
	s_addc_u32 s3, s13, s3
	s_load_dword s6, s[2:3], 0x0
	s_load_dword s7, s[0:1], 0x0
	s_waitcnt lgkmcnt(0)
	s_sub_i32 s27, s6, s24
	v_add_u32_e32 v1, s7, v7
	v_cmp_gt_i32_e32 vcc, s27, v1
	s_and_saveexec_b64 s[6:7], vcc
	s_cbranch_execz .LBB65_35
; %bb.26:
	s_add_i32 s28, s23, -1
	s_cmp_lt_i32 s22, s28
	s_cselect_b64 s[0:1], -1, 0
	s_add_i32 s2, s23, -2
	s_cmp_lg_u32 s22, s2
	s_cselect_b64 s[2:3], -1, 0
	s_and_b64 s[0:1], s[0:1], s[2:3]
	v_cndmask_b32_e64 v2, 0, 1, s[0:1]
	s_mov_b64 s[8:9], 0
	v_cmp_ne_u32_e64 s[0:1], 1, v2
	v_mov_b32_e32 v6, s13
	v_mov_b32_e32 v8, s15
	s_branch .LBB65_28
.LBB65_27:                              ;   in Loop: Header=BB65_28 Depth=1
	s_or_b64 exec, exec, s[2:3]
	v_add_u32_e32 v1, 0x100, v1
	v_cmp_le_i32_e32 vcc, s27, v1
	s_or_b64 s[8:9], vcc, s[8:9]
	s_andn2_b64 exec, exec, s[8:9]
	s_cbranch_execz .LBB65_35
.LBB65_28:                              ; =>This Loop Header: Depth=1
                                        ;     Child Loop BB65_30 Depth 2
                                        ;     Child Loop BB65_34 Depth 2
	s_and_b64 vcc, exec, s[0:1]
	v_mov_b32_e32 v5, s22
	v_mov_b32_e32 v3, s28
	s_cbranch_vccnz .LBB65_32
; %bb.29:                               ;   in Loop: Header=BB65_28 Depth=1
	s_mov_b64 s[10:11], 0
	v_mov_b32_e32 v5, s22
	v_mov_b32_e32 v3, s28
.LBB65_30:                              ;   Parent Loop BB65_28 Depth=1
                                        ; =>  This Inner Loop Header: Depth=2
	v_add_u32_e32 v2, v3, v5
	v_lshrrev_b32_e32 v10, 31, v2
	v_add_u32_e32 v2, v2, v10
	v_ashrrev_i32_e32 v10, 1, v2
	v_ashrrev_i32_e32 v11, 31, v10
	v_lshlrev_b64 v[11:12], 2, v[10:11]
	v_mov_b32_e32 v4, s13
	v_add_co_u32_e32 v11, vcc, s12, v11
	v_addc_co_u32_e32 v12, vcc, v4, v12, vcc
	global_load_dword v2, v[11:12], off
	s_waitcnt vmcnt(0)
	v_subrev_u32_e32 v2, s24, v2
	v_cmp_lt_i32_e32 vcc, v1, v2
	v_cndmask_b32_e32 v3, v3, v10, vcc
	v_cndmask_b32_e32 v5, v10, v5, vcc
	v_add_u32_e32 v2, -1, v3
	v_cmp_ge_i32_e32 vcc, v5, v3
	v_cmp_eq_u32_e64 s[2:3], v5, v2
	s_or_b64 s[2:3], vcc, s[2:3]
	s_and_b64 s[2:3], exec, s[2:3]
	s_or_b64 s[10:11], s[2:3], s[10:11]
	s_andn2_b64 exec, exec, s[10:11]
	s_cbranch_execnz .LBB65_30
; %bb.31:                               ;   in Loop: Header=BB65_28 Depth=1
	s_or_b64 exec, exec, s[10:11]
.LBB65_32:                              ;   in Loop: Header=BB65_28 Depth=1
	v_ashrrev_i32_e32 v4, 31, v3
	v_lshlrev_b64 v[10:11], 2, v[3:4]
	v_ashrrev_i32_e32 v2, 31, v1
	v_add_co_u32_e32 v10, vcc, s12, v10
	v_addc_co_u32_e32 v11, vcc, v6, v11, vcc
	global_load_dword v4, v[10:11], off
	v_lshlrev_b64 v[10:11], 2, v[1:2]
	v_add_co_u32_e32 v10, vcc, s14, v10
	v_addc_co_u32_e32 v11, vcc, v8, v11, vcc
	global_load_dword v10, v[10:11], off
	s_waitcnt vmcnt(1)
	v_subrev_u32_e32 v4, s24, v4
	v_cmp_lt_i32_e32 vcc, v1, v4
	v_cndmask_b32_e32 v3, v3, v5, vcc
	s_waitcnt vmcnt(0)
	v_subrev_u32_e32 v4, s24, v10
	v_cmp_ne_u32_e32 vcc, v4, v3
	s_and_saveexec_b64 s[2:3], vcc
	s_cbranch_execz .LBB65_27
; %bb.33:                               ;   in Loop: Header=BB65_28 Depth=1
	v_ashrrev_i32_e32 v5, 31, v4
	v_lshlrev_b64 v[10:11], 2, v[4:5]
	v_lshlrev_b64 v[4:5], 1, v[1:2]
	v_mov_b32_e32 v2, s17
	v_add_co_u32_e32 v4, vcc, s16, v4
	v_addc_co_u32_e32 v5, vcc, v2, v5, vcc
	global_load_ushort v12, v[4:5], off
	v_ashrrev_i32_e32 v4, 31, v3
	v_lshlrev_b64 v[2:3], 1, v[3:4]
	v_mov_b32_e32 v4, s19
	v_add_co_u32_e32 v2, vcc, s18, v2
	v_addc_co_u32_e32 v3, vcc, v4, v3, vcc
	global_load_ushort v4, v[2:3], off
	v_mov_b32_e32 v3, s21
	v_add_co_u32_e32 v2, vcc, s20, v10
	v_addc_co_u32_e32 v3, vcc, v3, v11, vcc
	global_load_dword v5, v[2:3], off
	s_mov_b64 s[10:11], 0
	s_waitcnt vmcnt(2)
	v_cvt_f32_f16_e32 v10, v12
	v_mul_f32_e32 v10, s26, v10
	s_waitcnt vmcnt(1)
	v_cvt_f32_f16_e32 v4, v4
	v_mul_f32_e32 v10, v10, v4
.LBB65_34:                              ;   Parent Loop BB65_28 Depth=1
                                        ; =>  This Inner Loop Header: Depth=2
	s_waitcnt vmcnt(0)
	v_add_f32_e32 v4, v5, v10
	global_atomic_cmpswap v4, v[2:3], v[4:5], off glc
	s_waitcnt vmcnt(0)
	v_cmp_eq_u32_e32 vcc, v4, v5
	s_or_b64 s[10:11], vcc, s[10:11]
	v_mov_b32_e32 v5, v4
	s_andn2_b64 exec, exec, s[10:11]
	s_cbranch_execnz .LBB65_34
	s_branch .LBB65_27
.LBB65_35:
	s_or_b64 exec, exec, s[6:7]
	s_mov_b64 s[0:1], 0
.LBB65_36:
	s_and_b64 vcc, exec, s[0:1]
	s_cbranch_vccz .LBB65_158
; %bb.37:
	v_cvt_f32_u32_e32 v1, s25
	s_ashr_i32 s1, s22, 31
	s_mov_b32 s0, s22
	s_sub_i32 s2, 0, s25
	v_rcp_iflag_f32_e32 v1, v1
	s_lshl_b64 s[0:1], s[0:1], 2
	s_add_u32 s6, s12, s0
	s_addc_u32 s7, s13, s1
	v_mul_f32_e32 v1, 0x4f7ffffe, v1
	v_cvt_u32_f32_e32 v1, v1
	s_load_dword s30, s[6:7], 0x0
	s_load_dwordx2 s[8:9], s[4:5], 0x4
	s_load_dword s27, s[4:5], 0x64
	v_readfirstlane_b32 s28, v1
	s_waitcnt lgkmcnt(0)
	v_add_u32_e32 v1, s30, v7
	s_mul_i32 s2, s2, s28
	v_add_u32_e32 v10, 0x300, v1
	s_mul_hi_u32 s29, s28, s2
	v_cmp_le_i32_e32 vcc, s8, v10
	s_and_saveexec_b64 s[0:1], vcc
	s_xor_b64 s[2:3], exec, s[0:1]
	s_cbranch_execz .LBB65_42
; %bb.38:
	s_ashr_i32 s1, s23, 31
	s_mov_b32 s0, s23
	s_lshl_b64 s[0:1], s[0:1], 2
	s_add_u32 s0, s12, s0
	s_addc_u32 s1, s13, s1
	s_load_dword s0, s[0:1], 0x0
	s_waitcnt lgkmcnt(0)
	s_sub_i32 s8, s0, s30
	v_cmp_gt_i32_e64 s[0:1], s8, v0
	s_and_saveexec_b64 s[4:5], s[0:1]
	s_cbranch_execz .LBB65_41
; %bb.39:
	s_sub_i32 s31, s30, s24
	s_mov_b64 s[10:11], 0
	v_mov_b32_e32 v2, s17
	v_mov_b32_e32 v3, v9
	;; [unrolled: 1-line block ×3, first 2 shown]
.LBB65_40:                              ; =>This Inner Loop Header: Depth=1
	v_add_u32_e32 v5, s31, v4
	v_ashrrev_i32_e32 v6, 31, v5
	v_lshlrev_b64 v[5:6], 1, v[5:6]
	v_add_u32_e32 v4, 0x100, v4
	v_add_co_u32_e64 v5, s[0:1], s16, v5
	v_addc_co_u32_e64 v6, s[0:1], v2, v6, s[0:1]
	global_load_ushort v5, v[5:6], off
	v_cmp_le_i32_e64 s[0:1], s8, v4
	s_or_b64 s[10:11], s[0:1], s[10:11]
	s_waitcnt vmcnt(0)
	v_cvt_f32_f16_e32 v5, v5
	v_mul_f32_e32 v5, s26, v5
	ds_write_b32 v3, v5
	v_add_u32_e32 v3, 0x400, v3
	s_andn2_b64 exec, exec, s[10:11]
	s_cbranch_execnz .LBB65_40
.LBB65_41:
	s_or_b64 exec, exec, s[4:5]
.LBB65_42:
	s_or_saveexec_b64 s[2:3], s[2:3]
	s_and_b32 s31, s27, 0xffff
	s_add_i32 s28, s28, s29
	v_ashrrev_i32_e32 v2, 31, v1
	s_xor_b64 exec, exec, s[2:3]
	s_cbranch_execz .LBB65_44
; %bb.43:
	v_lshlrev_b64 v[3:4], 1, v[1:2]
	v_mov_b32_e32 v5, s17
	v_add_co_u32_e64 v3, s[0:1], s16, v3
	v_addc_co_u32_e64 v4, s[0:1], v5, v4, s[0:1]
	global_load_ushort v5, v[3:4], off
	global_load_ushort v6, v[3:4], off offset:512
	global_load_ushort v7, v[3:4], off offset:1024
	;; [unrolled: 1-line block ×3, first 2 shown]
	s_waitcnt vmcnt(3)
	v_cvt_f32_f16_e32 v3, v5
	s_waitcnt vmcnt(2)
	v_cvt_f32_f16_e32 v4, v6
	;; [unrolled: 2-line block ×4, first 2 shown]
	v_mul_f32_e32 v3, s26, v3
	v_mul_f32_e32 v4, s26, v4
	;; [unrolled: 1-line block ×4, first 2 shown]
	ds_write2st64_b32 v9, v3, v4 offset1:4
	ds_write2st64_b32 v9, v5, v6 offset0:8 offset1:12
.LBB65_44:
	s_or_b64 exec, exec, s[2:3]
	s_mul_hi_u32 s8, s31, s28
	v_cmp_gt_i32_e64 s[0:1], s9, v0
	s_and_saveexec_b64 s[2:3], s[0:1]
	s_cbranch_execz .LBB65_47
; %bb.45:
	v_mov_b32_e32 v3, 0x1000
	v_lshl_add_u32 v3, v0, 2, v3
	s_mov_b64 s[4:5], 0
	v_mov_b32_e32 v4, 0
	v_mov_b32_e32 v5, v0
.LBB65_46:                              ; =>This Inner Loop Header: Depth=1
	v_add_u32_e32 v5, 0x100, v5
	v_cmp_le_i32_e64 s[0:1], s9, v5
	ds_write_b32 v3, v4
	s_or_b64 s[4:5], s[0:1], s[4:5]
	v_add_u32_e32 v3, 0x400, v3
	s_andn2_b64 exec, exec, s[4:5]
	s_cbranch_execnz .LBB65_46
.LBB65_47:
	s_or_b64 exec, exec, s[2:3]
	s_sub_i32 s0, s23, s9
	s_cmp_ge_i32 s23, s9
	s_cselect_b32 s33, s0, 0
	s_waitcnt lgkmcnt(0)
	s_barrier
	s_and_saveexec_b64 s[0:1], vcc
	s_xor_b64 s[4:5], exec, s[0:1]
	s_cbranch_execz .LBB65_66
; %bb.48:
	s_ashr_i32 s1, s23, 31
	s_mov_b32 s0, s23
	s_lshl_b64 s[0:1], s[0:1], 2
	s_add_u32 s0, s12, s0
	s_addc_u32 s1, s13, s1
	s_load_dword s0, s[0:1], 0x0
	s_waitcnt lgkmcnt(0)
	s_sub_i32 s34, s0, s30
	v_cmp_gt_i32_e32 vcc, s34, v0
	s_and_saveexec_b64 s[10:11], vcc
	s_cbranch_execz .LBB65_65
; %bb.49:
	s_add_i32 s35, s23, -1
	s_add_i32 s1, s23, -2
	s_cmp_lg_u32 s22, s1
	s_cselect_b64 s[2:3], -1, 0
	v_cndmask_b32_e64 v2, 0, 1, s[2:3]
	s_sub_i32 s36, s0, s24
	s_mov_b32 s37, 0
	s_mov_b64 s[16:17], 0
	v_cmp_ne_u32_e64 s[0:1], 1, v2
	v_mov_b32_e32 v7, s13
	v_mov_b32_e32 v8, s15
	;; [unrolled: 1-line block ×4, first 2 shown]
	s_branch .LBB65_52
.LBB65_50:                              ;   in Loop: Header=BB65_52 Depth=1
	s_or_b64 exec, exec, s[2:3]
.LBB65_51:                              ;   in Loop: Header=BB65_52 Depth=1
	s_or_b64 exec, exec, s[26:27]
	v_ashrrev_i32_e32 v3, 31, v2
	v_lshlrev_b64 v[2:3], 1, v[2:3]
	s_addk_i32 s37, 0x100
	v_add_co_u32_e32 v2, vcc, s18, v2
	v_addc_co_u32_e32 v3, vcc, v10, v3, vcc
	global_load_ushort v2, v[2:3], off
	v_add_u32_e32 v3, s37, v0
	v_cmp_le_i32_e32 vcc, s34, v3
	s_or_b64 s[16:17], vcc, s[16:17]
	s_waitcnt vmcnt(0)
	v_cvt_f32_f16_e32 v2, v2
	s_waitcnt lgkmcnt(0)
	v_mul_f32_e32 v2, v13, v2
	ds_write_b32 v12, v2
	s_andn2_b64 exec, exec, s[16:17]
	s_cbranch_execz .LBB65_65
.LBB65_52:                              ; =>This Loop Header: Depth=1
                                        ;     Child Loop BB65_54 Depth 2
                                        ;     Child Loop BB65_61 Depth 2
	v_add_u32_e32 v3, s37, v1
	s_and_b64 vcc, exec, s[0:1]
	v_mov_b32_e32 v12, s22
	v_mov_b32_e32 v5, s35
	s_cbranch_vccnz .LBB65_56
; %bb.53:                               ;   in Loop: Header=BB65_52 Depth=1
	s_mov_b64 s[26:27], 0
	v_mov_b32_e32 v12, s22
	v_mov_b32_e32 v5, s35
.LBB65_54:                              ;   Parent Loop BB65_52 Depth=1
                                        ; =>  This Inner Loop Header: Depth=2
	v_add_u32_e32 v2, v5, v12
	v_lshrrev_b32_e32 v6, 31, v2
	v_add_u32_e32 v2, v2, v6
	v_ashrrev_i32_e32 v13, 1, v2
	v_ashrrev_i32_e32 v14, 31, v13
	v_lshlrev_b64 v[14:15], 2, v[13:14]
	v_mov_b32_e32 v4, s13
	v_add_co_u32_e32 v14, vcc, s12, v14
	v_addc_co_u32_e32 v15, vcc, v4, v15, vcc
	global_load_dword v2, v[14:15], off
	s_waitcnt vmcnt(0)
	v_subrev_u32_e32 v2, s24, v2
	v_cmp_lt_i32_e32 vcc, v3, v2
	v_cndmask_b32_e32 v5, v5, v13, vcc
	v_cndmask_b32_e32 v12, v13, v12, vcc
	v_add_u32_e32 v2, -1, v5
	v_cmp_ge_i32_e32 vcc, v12, v5
	v_cmp_eq_u32_e64 s[2:3], v12, v2
	s_or_b64 s[2:3], vcc, s[2:3]
	s_and_b64 s[2:3], exec, s[2:3]
	s_or_b64 s[26:27], s[2:3], s[26:27]
	s_andn2_b64 exec, exec, s[26:27]
	s_cbranch_execnz .LBB65_54
; %bb.55:                               ;   in Loop: Header=BB65_52 Depth=1
	s_or_b64 exec, exec, s[26:27]
.LBB65_56:                              ;   in Loop: Header=BB65_52 Depth=1
	v_ashrrev_i32_e32 v6, 31, v5
	v_lshlrev_b64 v[13:14], 2, v[5:6]
	v_ashrrev_i32_e32 v4, 31, v3
	v_add_co_u32_e32 v13, vcc, s12, v13
	v_addc_co_u32_e32 v14, vcc, v7, v14, vcc
	global_load_dword v2, v[13:14], off
	v_lshlrev_b64 v[13:14], 2, v[3:4]
	v_add_co_u32_e32 v13, vcc, s14, v13
	v_addc_co_u32_e32 v14, vcc, v8, v14, vcc
	global_load_dword v4, v[13:14], off
	v_cmp_le_i32_e32 vcc, s36, v3
                                        ; implicit-def: $vgpr13
	s_waitcnt vmcnt(1)
	v_subrev_u32_e32 v6, s24, v2
	v_cmp_lt_i32_e64 s[2:3], v3, v6
	v_cndmask_b32_e64 v3, v5, v12, s[2:3]
	v_lshl_add_u32 v12, s37, 2, v9
	s_waitcnt vmcnt(0)
	v_subrev_u32_e32 v2, s24, v4
	v_cmp_eq_u32_e64 s[2:3], v2, v3
	s_or_b64 s[2:3], s[2:3], vcc
	s_and_saveexec_b64 s[26:27], s[2:3]
	s_xor_b64 s[2:3], exec, s[26:27]
; %bb.57:                               ;   in Loop: Header=BB65_52 Depth=1
	ds_read_b32 v13, v12
                                        ; implicit-def: $vgpr3
; %bb.58:                               ;   in Loop: Header=BB65_52 Depth=1
	s_andn2_saveexec_b64 s[26:27], s[2:3]
	s_cbranch_execz .LBB65_51
; %bb.59:                               ;   in Loop: Header=BB65_52 Depth=1
	v_ashrrev_i32_e32 v4, 31, v3
	v_lshlrev_b64 v[3:4], 1, v[3:4]
	v_mov_b32_e32 v5, s19
	v_add_co_u32_e32 v3, vcc, s18, v3
	v_addc_co_u32_e32 v4, vcc, v5, v4, vcc
	global_load_ushort v3, v[3:4], off
	s_waitcnt lgkmcnt(0)
	ds_read_b32 v13, v12
	v_cmp_gt_i32_e32 vcc, s33, v2
	v_cmp_le_i32_e64 s[2:3], s23, v2
	s_or_b64 s[2:3], vcc, s[2:3]
	s_waitcnt vmcnt(0)
	v_cvt_f32_f16_e32 v3, v3
	s_waitcnt lgkmcnt(0)
	v_mul_f32_e32 v14, v13, v3
	s_and_saveexec_b64 s[28:29], s[2:3]
	s_xor_b64 s[2:3], exec, s[28:29]
	s_cbranch_execz .LBB65_63
; %bb.60:                               ;   in Loop: Header=BB65_52 Depth=1
	v_ashrrev_i32_e32 v3, 31, v2
	v_lshlrev_b64 v[3:4], 2, v[2:3]
	v_mov_b32_e32 v5, s21
	v_add_co_u32_e32 v3, vcc, s20, v3
	v_addc_co_u32_e32 v4, vcc, v5, v4, vcc
	global_load_dword v6, v[3:4], off
	s_mov_b64 s[28:29], 0
.LBB65_61:                              ;   Parent Loop BB65_52 Depth=1
                                        ; =>  This Inner Loop Header: Depth=2
	s_waitcnt vmcnt(0)
	v_add_f32_e32 v5, v6, v14
	global_atomic_cmpswap v5, v[3:4], v[5:6], off glc
	s_waitcnt vmcnt(0)
	v_cmp_eq_u32_e32 vcc, v5, v6
	s_or_b64 s[28:29], vcc, s[28:29]
	v_mov_b32_e32 v6, v5
	s_andn2_b64 exec, exec, s[28:29]
	s_cbranch_execnz .LBB65_61
; %bb.62:                               ;   in Loop: Header=BB65_52 Depth=1
	s_or_b64 exec, exec, s[28:29]
                                        ; implicit-def: $vgpr14
.LBB65_63:                              ;   in Loop: Header=BB65_52 Depth=1
	s_andn2_saveexec_b64 s[2:3], s[2:3]
	s_cbranch_execz .LBB65_50
; %bb.64:                               ;   in Loop: Header=BB65_52 Depth=1
	v_subrev_u32_e32 v3, s33, v2
	v_lshl_add_u32 v3, v3, 2, v11
	ds_add_f32 v3, v14
	s_branch .LBB65_50
.LBB65_65:
	s_or_b64 exec, exec, s[10:11]
                                        ; implicit-def: $vgpr10
                                        ; implicit-def: $vgpr1
.LBB65_66:
	s_andn2_saveexec_b64 s[4:5], s[4:5]
	s_cbranch_execz .LBB65_128
; %bb.67:
	s_add_i32 s28, s23, -1
	s_add_i32 s0, s23, -2
	s_cmp_lg_u32 s22, s0
	s_cselect_b64 s[2:3], -1, 0
	s_cmp_eq_u32 s22, s0
	v_mov_b32_e32 v6, s22
	v_mov_b32_e32 v4, s28
	s_cbranch_scc1 .LBB65_71
; %bb.68:
	s_mov_b64 s[10:11], 0
	v_mov_b32_e32 v6, s22
	v_mov_b32_e32 v4, s28
	;; [unrolled: 1-line block ×3, first 2 shown]
.LBB65_69:                              ; =>This Inner Loop Header: Depth=1
	v_add_u32_e32 v5, v4, v6
	v_lshrrev_b32_e32 v7, 31, v5
	v_add_u32_e32 v5, v5, v7
	v_ashrrev_i32_e32 v7, 1, v5
	v_ashrrev_i32_e32 v8, 31, v7
	v_lshlrev_b64 v[11:12], 2, v[7:8]
	v_add_co_u32_e32 v11, vcc, s12, v11
	v_addc_co_u32_e32 v12, vcc, v3, v12, vcc
	global_load_dword v5, v[11:12], off
	s_waitcnt vmcnt(0)
	v_subrev_u32_e32 v5, s24, v5
	v_cmp_lt_i32_e32 vcc, v1, v5
	v_cndmask_b32_e32 v4, v4, v7, vcc
	v_cndmask_b32_e32 v6, v7, v6, vcc
	v_add_u32_e32 v5, -1, v4
	v_cmp_ge_i32_e32 vcc, v6, v4
	v_cmp_eq_u32_e64 s[0:1], v6, v5
	s_or_b64 s[0:1], vcc, s[0:1]
	s_and_b64 s[0:1], exec, s[0:1]
	s_or_b64 s[10:11], s[0:1], s[10:11]
	s_andn2_b64 exec, exec, s[10:11]
	s_cbranch_execnz .LBB65_69
; %bb.70:
	s_or_b64 exec, exec, s[10:11]
.LBB65_71:
	v_ashrrev_i32_e32 v5, 31, v4
	v_lshlrev_b64 v[7:8], 2, v[4:5]
	v_mov_b32_e32 v3, s13
	v_add_co_u32_e32 v7, vcc, s12, v7
	v_addc_co_u32_e32 v8, vcc, v3, v8, vcc
	v_lshlrev_b64 v[2:3], 2, v[1:2]
	global_load_dword v5, v[7:8], off
	v_mov_b32_e32 v7, s15
	v_add_co_u32_e32 v2, vcc, s14, v2
	v_addc_co_u32_e32 v3, vcc, v7, v3, vcc
	global_load_dword v7, v[2:3], off
	s_ashr_i32 s1, s23, 31
	s_mov_b32 s0, s23
	s_lshl_b64 s[0:1], s[0:1], 2
	s_add_u32 s10, s12, s0
	s_addc_u32 s11, s13, s1
                                        ; implicit-def: $vgpr11
	s_waitcnt vmcnt(1)
	v_subrev_u32_e32 v5, s24, v5
	v_cmp_lt_i32_e32 vcc, v1, v5
	v_cndmask_b32_e32 v5, v4, v6, vcc
	s_waitcnt vmcnt(0)
	v_subrev_u32_e32 v4, s24, v7
	v_cmp_ne_u32_e32 vcc, v4, v5
	s_and_saveexec_b64 s[0:1], vcc
	s_xor_b64 s[14:15], exec, s[0:1]
	s_cbranch_execz .LBB65_80
; %bb.72:
	s_load_dword s0, s[10:11], 0x0
	ds_read_b32 v11, v9
	s_waitcnt lgkmcnt(0)
	s_sub_i32 s0, s0, s24
	v_cmp_gt_i32_e32 vcc, s0, v1
	s_and_saveexec_b64 s[16:17], vcc
	s_cbranch_execz .LBB65_79
; %bb.73:
	v_ashrrev_i32_e32 v6, 31, v5
	v_lshlrev_b64 v[5:6], 1, v[5:6]
	v_mov_b32_e32 v7, s19
	v_add_co_u32_e32 v5, vcc, s18, v5
	v_addc_co_u32_e32 v6, vcc, v7, v6, vcc
	global_load_ushort v5, v[5:6], off
	v_cmp_gt_i32_e32 vcc, s33, v4
	v_cmp_le_i32_e64 s[0:1], s23, v4
	s_or_b64 s[0:1], vcc, s[0:1]
	s_waitcnt vmcnt(0)
	v_cvt_f32_f16_e32 v5, v5
	v_mul_f32_e32 v12, v11, v5
	s_and_saveexec_b64 s[26:27], s[0:1]
	s_xor_b64 s[0:1], exec, s[26:27]
	s_cbranch_execz .LBB65_77
; %bb.74:
	v_ashrrev_i32_e32 v5, 31, v4
	v_lshlrev_b64 v[5:6], 2, v[4:5]
	v_mov_b32_e32 v7, s21
	v_add_co_u32_e32 v5, vcc, s20, v5
	v_addc_co_u32_e32 v6, vcc, v7, v6, vcc
	global_load_dword v8, v[5:6], off
	s_mov_b64 s[26:27], 0
.LBB65_75:                              ; =>This Inner Loop Header: Depth=1
	s_waitcnt vmcnt(0)
	v_add_f32_e32 v7, v8, v12
	global_atomic_cmpswap v7, v[5:6], v[7:8], off glc
	s_waitcnt vmcnt(0)
	v_cmp_eq_u32_e32 vcc, v7, v8
	s_or_b64 s[26:27], vcc, s[26:27]
	v_mov_b32_e32 v8, v7
	s_andn2_b64 exec, exec, s[26:27]
	s_cbranch_execnz .LBB65_75
; %bb.76:
	s_or_b64 exec, exec, s[26:27]
                                        ; implicit-def: $vgpr12
.LBB65_77:
	s_andn2_saveexec_b64 s[0:1], s[0:1]
; %bb.78:
	v_subrev_u32_e32 v5, s33, v4
	v_mov_b32_e32 v6, 0x1000
	v_lshl_add_u32 v5, v5, 2, v6
	ds_add_f32 v5, v12
.LBB65_79:
	s_or_b64 exec, exec, s[16:17]
.LBB65_80:
	s_andn2_saveexec_b64 s[0:1], s[14:15]
; %bb.81:
	ds_read_b32 v11, v9
; %bb.82:
	s_or_b64 exec, exec, s[0:1]
	v_ashrrev_i32_e32 v5, 31, v4
	v_lshlrev_b64 v[4:5], 1, v[4:5]
	v_mov_b32_e32 v6, s19
	v_add_co_u32_e32 v4, vcc, s18, v4
	v_addc_co_u32_e32 v5, vcc, v6, v5, vcc
	global_load_ushort v4, v[4:5], off
	v_cndmask_b32_e64 v5, 0, 1, s[2:3]
	v_add_u32_e32 v6, 0x100, v1
	v_mov_b32_e32 v7, s22
	v_cmp_ne_u32_e64 s[0:1], 1, v5
	s_andn2_b64 vcc, exec, s[2:3]
	s_waitcnt vmcnt(0)
	v_cvt_f32_f16_e32 v4, v4
	s_waitcnt lgkmcnt(0)
	v_mul_f32_e32 v4, v11, v4
	ds_write_b32 v9, v4
	v_mov_b32_e32 v4, s28
	s_cbranch_vccnz .LBB65_86
; %bb.83:
	s_mov_b64 s[14:15], 0
	v_mov_b32_e32 v7, s22
	v_mov_b32_e32 v4, s28
	;; [unrolled: 1-line block ×3, first 2 shown]
.LBB65_84:                              ; =>This Inner Loop Header: Depth=1
	v_add_u32_e32 v8, v4, v7
	v_lshrrev_b32_e32 v11, 31, v8
	v_add_u32_e32 v8, v8, v11
	v_ashrrev_i32_e32 v11, 1, v8
	v_ashrrev_i32_e32 v12, 31, v11
	v_lshlrev_b64 v[12:13], 2, v[11:12]
	v_add_co_u32_e32 v12, vcc, s12, v12
	v_addc_co_u32_e32 v13, vcc, v5, v13, vcc
	global_load_dword v8, v[12:13], off
	s_waitcnt vmcnt(0)
	v_subrev_u32_e32 v8, s24, v8
	v_cmp_lt_i32_e32 vcc, v6, v8
	v_cndmask_b32_e32 v4, v4, v11, vcc
	v_cndmask_b32_e32 v7, v11, v7, vcc
	v_add_u32_e32 v8, -1, v4
	v_cmp_ge_i32_e32 vcc, v7, v4
	v_cmp_eq_u32_e64 s[2:3], v7, v8
	s_or_b64 s[2:3], vcc, s[2:3]
	s_and_b64 s[2:3], exec, s[2:3]
	s_or_b64 s[14:15], s[2:3], s[14:15]
	s_andn2_b64 exec, exec, s[14:15]
	s_cbranch_execnz .LBB65_84
; %bb.85:
	s_or_b64 exec, exec, s[14:15]
.LBB65_86:
	v_ashrrev_i32_e32 v5, 31, v4
	v_lshlrev_b64 v[11:12], 2, v[4:5]
	v_mov_b32_e32 v5, s13
	v_add_co_u32_e32 v11, vcc, s12, v11
	v_addc_co_u32_e32 v12, vcc, v5, v12, vcc
	global_load_dword v5, v[11:12], off
	global_load_dword v8, v[2:3], off offset:1024
                                        ; implicit-def: $vgpr11
	s_waitcnt vmcnt(1)
	v_subrev_u32_e32 v5, s24, v5
	v_cmp_lt_i32_e32 vcc, v6, v5
	v_cndmask_b32_e32 v5, v4, v7, vcc
	s_waitcnt vmcnt(0)
	v_subrev_u32_e32 v4, s24, v8
	v_cmp_ne_u32_e32 vcc, v4, v5
	s_and_saveexec_b64 s[2:3], vcc
	s_xor_b64 s[14:15], exec, s[2:3]
	s_cbranch_execz .LBB65_95
; %bb.87:
	s_load_dword s2, s[10:11], 0x0
	ds_read_b32 v11, v9 offset:1024
	s_waitcnt lgkmcnt(0)
	s_sub_i32 s2, s2, s24
	v_cmp_gt_i32_e32 vcc, s2, v6
	s_and_saveexec_b64 s[16:17], vcc
	s_cbranch_execz .LBB65_94
; %bb.88:
	v_ashrrev_i32_e32 v6, 31, v5
	v_lshlrev_b64 v[5:6], 1, v[5:6]
	v_mov_b32_e32 v7, s19
	v_add_co_u32_e32 v5, vcc, s18, v5
	v_addc_co_u32_e32 v6, vcc, v7, v6, vcc
	global_load_ushort v5, v[5:6], off
	v_cmp_gt_i32_e32 vcc, s33, v4
	v_cmp_le_i32_e64 s[2:3], s23, v4
	s_or_b64 s[2:3], vcc, s[2:3]
	s_waitcnt vmcnt(0)
	v_cvt_f32_f16_e32 v5, v5
	v_mul_f32_e32 v12, v11, v5
	s_and_saveexec_b64 s[26:27], s[2:3]
	s_xor_b64 s[2:3], exec, s[26:27]
	s_cbranch_execz .LBB65_92
; %bb.89:
	v_ashrrev_i32_e32 v5, 31, v4
	v_lshlrev_b64 v[5:6], 2, v[4:5]
	v_mov_b32_e32 v7, s21
	v_add_co_u32_e32 v5, vcc, s20, v5
	v_addc_co_u32_e32 v6, vcc, v7, v6, vcc
	global_load_dword v8, v[5:6], off
	s_mov_b64 s[26:27], 0
.LBB65_90:                              ; =>This Inner Loop Header: Depth=1
	s_waitcnt vmcnt(0)
	v_add_f32_e32 v7, v8, v12
	global_atomic_cmpswap v7, v[5:6], v[7:8], off glc
	s_waitcnt vmcnt(0)
	v_cmp_eq_u32_e32 vcc, v7, v8
	s_or_b64 s[26:27], vcc, s[26:27]
	v_mov_b32_e32 v8, v7
	s_andn2_b64 exec, exec, s[26:27]
	s_cbranch_execnz .LBB65_90
; %bb.91:
	s_or_b64 exec, exec, s[26:27]
                                        ; implicit-def: $vgpr12
.LBB65_92:
	s_andn2_saveexec_b64 s[2:3], s[2:3]
; %bb.93:
	v_subrev_u32_e32 v5, s33, v4
	v_mov_b32_e32 v6, 0x1000
	v_lshl_add_u32 v5, v5, 2, v6
	ds_add_f32 v5, v12
.LBB65_94:
	s_or_b64 exec, exec, s[16:17]
.LBB65_95:
	s_andn2_saveexec_b64 s[2:3], s[14:15]
; %bb.96:
	ds_read_b32 v11, v9 offset:1024
; %bb.97:
	s_or_b64 exec, exec, s[2:3]
	v_ashrrev_i32_e32 v5, 31, v4
	v_lshlrev_b64 v[4:5], 1, v[4:5]
	v_mov_b32_e32 v6, s19
	v_add_co_u32_e32 v4, vcc, s18, v4
	v_addc_co_u32_e32 v5, vcc, v6, v5, vcc
	global_load_ushort v4, v[4:5], off
	v_add_u32_e32 v6, 0x200, v1
	s_and_b64 vcc, exec, s[0:1]
	v_mov_b32_e32 v1, s22
	s_waitcnt vmcnt(0)
	v_cvt_f32_f16_e32 v4, v4
	s_waitcnt lgkmcnt(0)
	v_mul_f32_e32 v4, v11, v4
	ds_write_b32 v9, v4 offset:1024
	v_mov_b32_e32 v4, s28
	s_cbranch_vccnz .LBB65_101
; %bb.98:
	s_mov_b64 s[14:15], 0
	v_mov_b32_e32 v1, s22
	v_mov_b32_e32 v4, s28
	;; [unrolled: 1-line block ×3, first 2 shown]
.LBB65_99:                              ; =>This Inner Loop Header: Depth=1
	v_add_u32_e32 v7, v4, v1
	v_lshrrev_b32_e32 v8, 31, v7
	v_add_u32_e32 v7, v7, v8
	v_ashrrev_i32_e32 v7, 1, v7
	v_ashrrev_i32_e32 v8, 31, v7
	v_lshlrev_b64 v[11:12], 2, v[7:8]
	v_add_co_u32_e32 v11, vcc, s12, v11
	v_addc_co_u32_e32 v12, vcc, v5, v12, vcc
	global_load_dword v8, v[11:12], off
	s_waitcnt vmcnt(0)
	v_subrev_u32_e32 v8, s24, v8
	v_cmp_lt_i32_e32 vcc, v6, v8
	v_cndmask_b32_e32 v4, v4, v7, vcc
	v_cndmask_b32_e32 v1, v7, v1, vcc
	v_add_u32_e32 v7, -1, v4
	v_cmp_ge_i32_e32 vcc, v1, v4
	v_cmp_eq_u32_e64 s[2:3], v1, v7
	s_or_b64 s[2:3], vcc, s[2:3]
	s_and_b64 s[2:3], exec, s[2:3]
	s_or_b64 s[14:15], s[2:3], s[14:15]
	s_andn2_b64 exec, exec, s[14:15]
	s_cbranch_execnz .LBB65_99
; %bb.100:
	s_or_b64 exec, exec, s[14:15]
.LBB65_101:
	v_ashrrev_i32_e32 v5, 31, v4
	v_lshlrev_b64 v[7:8], 2, v[4:5]
	v_mov_b32_e32 v5, s13
	v_add_co_u32_e32 v7, vcc, s12, v7
	v_addc_co_u32_e32 v8, vcc, v5, v8, vcc
	global_load_dword v5, v[7:8], off
	global_load_dword v11, v[2:3], off offset:2048
	s_waitcnt vmcnt(1)
	v_subrev_u32_e32 v5, s24, v5
	v_cmp_lt_i32_e32 vcc, v6, v5
	v_cndmask_b32_e32 v5, v4, v1, vcc
	s_waitcnt vmcnt(0)
	v_subrev_u32_e32 v4, s24, v11
	v_cmp_ne_u32_e32 vcc, v4, v5
                                        ; implicit-def: $vgpr1
	s_and_saveexec_b64 s[2:3], vcc
	s_xor_b64 s[14:15], exec, s[2:3]
	s_cbranch_execz .LBB65_110
; %bb.102:
	s_load_dword s2, s[10:11], 0x0
	ds_read_b32 v1, v9 offset:2048
	s_waitcnt lgkmcnt(0)
	s_sub_i32 s2, s2, s24
	v_cmp_gt_i32_e32 vcc, s2, v6
	s_and_saveexec_b64 s[16:17], vcc
	s_cbranch_execz .LBB65_109
; %bb.103:
	v_ashrrev_i32_e32 v6, 31, v5
	v_lshlrev_b64 v[5:6], 1, v[5:6]
	v_mov_b32_e32 v7, s19
	v_add_co_u32_e32 v5, vcc, s18, v5
	v_addc_co_u32_e32 v6, vcc, v7, v6, vcc
	global_load_ushort v5, v[5:6], off
	v_cmp_gt_i32_e32 vcc, s33, v4
	v_cmp_le_i32_e64 s[2:3], s23, v4
	s_or_b64 s[2:3], vcc, s[2:3]
	s_waitcnt vmcnt(0)
	v_cvt_f32_f16_e32 v5, v5
	v_mul_f32_e32 v11, v1, v5
	s_and_saveexec_b64 s[26:27], s[2:3]
	s_xor_b64 s[2:3], exec, s[26:27]
	s_cbranch_execz .LBB65_107
; %bb.104:
	v_ashrrev_i32_e32 v5, 31, v4
	v_lshlrev_b64 v[5:6], 2, v[4:5]
	v_mov_b32_e32 v7, s21
	v_add_co_u32_e32 v5, vcc, s20, v5
	v_addc_co_u32_e32 v6, vcc, v7, v6, vcc
	global_load_dword v8, v[5:6], off
	s_mov_b64 s[26:27], 0
.LBB65_105:                             ; =>This Inner Loop Header: Depth=1
	s_waitcnt vmcnt(0)
	v_add_f32_e32 v7, v8, v11
	global_atomic_cmpswap v7, v[5:6], v[7:8], off glc
	s_waitcnt vmcnt(0)
	v_cmp_eq_u32_e32 vcc, v7, v8
	s_or_b64 s[26:27], vcc, s[26:27]
	v_mov_b32_e32 v8, v7
	s_andn2_b64 exec, exec, s[26:27]
	s_cbranch_execnz .LBB65_105
; %bb.106:
	s_or_b64 exec, exec, s[26:27]
                                        ; implicit-def: $vgpr11
.LBB65_107:
	s_andn2_saveexec_b64 s[2:3], s[2:3]
; %bb.108:
	v_subrev_u32_e32 v5, s33, v4
	v_mov_b32_e32 v6, 0x1000
	v_lshl_add_u32 v5, v5, 2, v6
	ds_add_f32 v5, v11
.LBB65_109:
	s_or_b64 exec, exec, s[16:17]
.LBB65_110:
	s_andn2_saveexec_b64 s[2:3], s[14:15]
; %bb.111:
	ds_read_b32 v1, v9 offset:2048
; %bb.112:
	s_or_b64 exec, exec, s[2:3]
	v_ashrrev_i32_e32 v5, 31, v4
	v_lshlrev_b64 v[4:5], 1, v[4:5]
	v_mov_b32_e32 v6, s19
	v_add_co_u32_e32 v4, vcc, s18, v4
	v_addc_co_u32_e32 v5, vcc, v6, v5, vcc
	global_load_ushort v4, v[4:5], off
	s_and_b64 vcc, exec, s[0:1]
	v_mov_b32_e32 v6, s22
	s_waitcnt vmcnt(0)
	v_cvt_f32_f16_e32 v4, v4
	s_waitcnt lgkmcnt(0)
	v_mul_f32_e32 v1, v1, v4
	v_mov_b32_e32 v4, s28
	ds_write_b32 v9, v1 offset:2048
	s_cbranch_vccnz .LBB65_116
; %bb.113:
	s_mov_b64 s[2:3], 0
	v_mov_b32_e32 v6, s22
	v_mov_b32_e32 v4, s28
	;; [unrolled: 1-line block ×3, first 2 shown]
.LBB65_114:                             ; =>This Inner Loop Header: Depth=1
	v_add_u32_e32 v5, v4, v6
	v_lshrrev_b32_e32 v7, 31, v5
	v_add_u32_e32 v5, v5, v7
	v_ashrrev_i32_e32 v7, 1, v5
	v_ashrrev_i32_e32 v8, 31, v7
	v_lshlrev_b64 v[11:12], 2, v[7:8]
	v_add_co_u32_e32 v11, vcc, s12, v11
	v_addc_co_u32_e32 v12, vcc, v1, v12, vcc
	global_load_dword v5, v[11:12], off
	s_waitcnt vmcnt(0)
	v_subrev_u32_e32 v5, s24, v5
	v_cmp_lt_i32_e32 vcc, v10, v5
	v_cndmask_b32_e32 v4, v4, v7, vcc
	v_cndmask_b32_e32 v6, v7, v6, vcc
	v_add_u32_e32 v5, -1, v4
	v_cmp_ge_i32_e32 vcc, v6, v4
	v_cmp_eq_u32_e64 s[0:1], v6, v5
	s_or_b64 s[0:1], vcc, s[0:1]
	s_and_b64 s[0:1], exec, s[0:1]
	s_or_b64 s[2:3], s[0:1], s[2:3]
	s_andn2_b64 exec, exec, s[2:3]
	s_cbranch_execnz .LBB65_114
; %bb.115:
	s_or_b64 exec, exec, s[2:3]
.LBB65_116:
	v_ashrrev_i32_e32 v5, 31, v4
	v_lshlrev_b64 v[7:8], 2, v[4:5]
	v_mov_b32_e32 v1, s13
	v_add_co_u32_e32 v7, vcc, s12, v7
	v_addc_co_u32_e32 v8, vcc, v1, v8, vcc
	global_load_dword v1, v[7:8], off
	global_load_dword v5, v[2:3], off offset:3072
	s_waitcnt vmcnt(1)
	v_subrev_u32_e32 v1, s24, v1
	v_cmp_lt_i32_e32 vcc, v10, v1
	v_cndmask_b32_e32 v2, v4, v6, vcc
	s_waitcnt vmcnt(0)
	v_subrev_u32_e32 v1, s24, v5
	v_cmp_ne_u32_e32 vcc, v1, v2
                                        ; implicit-def: $vgpr6
	s_and_saveexec_b64 s[0:1], vcc
	s_xor_b64 s[2:3], exec, s[0:1]
	s_cbranch_execz .LBB65_125
; %bb.117:
	s_load_dword s0, s[10:11], 0x0
	ds_read_b32 v6, v9 offset:3072
	s_waitcnt lgkmcnt(0)
	s_sub_i32 s0, s0, s24
	v_cmp_gt_i32_e32 vcc, s0, v10
	s_and_saveexec_b64 s[10:11], vcc
	s_cbranch_execz .LBB65_124
; %bb.118:
	v_ashrrev_i32_e32 v3, 31, v2
	v_lshlrev_b64 v[2:3], 1, v[2:3]
	v_mov_b32_e32 v4, s19
	v_add_co_u32_e32 v2, vcc, s18, v2
	v_addc_co_u32_e32 v3, vcc, v4, v3, vcc
	global_load_ushort v2, v[2:3], off
	v_cmp_gt_i32_e32 vcc, s33, v1
	v_cmp_le_i32_e64 s[0:1], s23, v1
	s_or_b64 s[0:1], vcc, s[0:1]
	s_waitcnt vmcnt(0)
	v_cvt_f32_f16_e32 v2, v2
	v_mul_f32_e32 v7, v6, v2
	s_and_saveexec_b64 s[14:15], s[0:1]
	s_xor_b64 s[0:1], exec, s[14:15]
	s_cbranch_execz .LBB65_122
; %bb.119:
	v_ashrrev_i32_e32 v2, 31, v1
	v_lshlrev_b64 v[2:3], 2, v[1:2]
	v_mov_b32_e32 v4, s21
	v_add_co_u32_e32 v2, vcc, s20, v2
	v_addc_co_u32_e32 v3, vcc, v4, v3, vcc
	global_load_dword v5, v[2:3], off
	s_mov_b64 s[14:15], 0
.LBB65_120:                             ; =>This Inner Loop Header: Depth=1
	s_waitcnt vmcnt(0)
	v_add_f32_e32 v4, v5, v7
	global_atomic_cmpswap v4, v[2:3], v[4:5], off glc
	s_waitcnt vmcnt(0)
	v_cmp_eq_u32_e32 vcc, v4, v5
	s_or_b64 s[14:15], vcc, s[14:15]
	v_mov_b32_e32 v5, v4
	s_andn2_b64 exec, exec, s[14:15]
	s_cbranch_execnz .LBB65_120
; %bb.121:
	s_or_b64 exec, exec, s[14:15]
                                        ; implicit-def: $vgpr7
.LBB65_122:
	s_andn2_saveexec_b64 s[0:1], s[0:1]
; %bb.123:
	v_subrev_u32_e32 v2, s33, v1
	v_mov_b32_e32 v3, 0x1000
	v_lshl_add_u32 v2, v2, 2, v3
	ds_add_f32 v2, v7
.LBB65_124:
	s_or_b64 exec, exec, s[10:11]
.LBB65_125:
	s_andn2_saveexec_b64 s[0:1], s[2:3]
; %bb.126:
	ds_read_b32 v6, v9 offset:3072
; %bb.127:
	s_or_b64 exec, exec, s[0:1]
	v_ashrrev_i32_e32 v2, 31, v1
	v_lshlrev_b64 v[1:2], 1, v[1:2]
	v_mov_b32_e32 v3, s19
	v_add_co_u32_e32 v1, vcc, s18, v1
	v_addc_co_u32_e32 v2, vcc, v3, v2, vcc
	global_load_ushort v1, v[1:2], off
	s_waitcnt vmcnt(0)
	v_cvt_f32_f16_e32 v1, v1
	s_waitcnt lgkmcnt(0)
	v_mul_f32_e32 v1, v6, v1
	ds_write_b32 v9, v1 offset:3072
.LBB65_128:
	s_or_b64 exec, exec, s[4:5]
	s_min_i32 s9, s23, s9
	s_sub_i32 s10, s9, s25
	v_cmp_gt_i32_e32 vcc, s10, v0
	s_waitcnt lgkmcnt(0)
	s_barrier
	s_and_saveexec_b64 s[0:1], vcc
	s_cbranch_execz .LBB65_133
; %bb.129:
	s_mov_b64 s[2:3], 0
	v_mov_b32_e32 v5, s21
	v_mov_b32_e32 v6, 0x1000
	;; [unrolled: 1-line block ×3, first 2 shown]
.LBB65_130:                             ; =>This Loop Header: Depth=1
                                        ;     Child Loop BB65_131 Depth 2
	v_add_u32_e32 v1, s33, v7
	v_ashrrev_i32_e32 v2, 31, v1
	v_lshlrev_b64 v[1:2], 2, v[1:2]
	v_lshl_add_u32 v3, v7, 2, v6
	v_add_co_u32_e32 v1, vcc, s20, v1
	v_addc_co_u32_e32 v2, vcc, v5, v2, vcc
	global_load_dword v4, v[1:2], off
	ds_read_b32 v8, v3
	s_mov_b64 s[4:5], 0
.LBB65_131:                             ;   Parent Loop BB65_130 Depth=1
                                        ; =>  This Inner Loop Header: Depth=2
	s_waitcnt vmcnt(0) lgkmcnt(0)
	v_add_f32_e32 v3, v4, v8
	global_atomic_cmpswap v3, v[1:2], v[3:4], off glc
	s_waitcnt vmcnt(0)
	v_cmp_eq_u32_e32 vcc, v3, v4
	s_or_b64 s[4:5], vcc, s[4:5]
	v_mov_b32_e32 v4, v3
	s_andn2_b64 exec, exec, s[4:5]
	s_cbranch_execnz .LBB65_131
; %bb.132:                              ;   in Loop: Header=BB65_130 Depth=1
	s_or_b64 exec, exec, s[4:5]
	v_add_u32_e32 v7, 0x100, v7
	v_cmp_le_i32_e32 vcc, s10, v7
	s_or_b64 s[2:3], vcc, s[2:3]
	s_andn2_b64 exec, exec, s[2:3]
	s_cbranch_execnz .LBB65_130
.LBB65_133:
	s_or_b64 exec, exec, s[0:1]
	s_mul_i32 s0, s8, s25
	s_sub_i32 s0, s31, s0
	s_add_i32 s1, s8, 1
	s_sub_i32 s2, s0, s25
	s_cmp_ge_u32 s0, s25
	s_cselect_b32 s1, s1, s8
	s_cselect_b32 s0, s2, s0
	s_add_i32 s2, s1, 1
	s_cmp_ge_u32 s0, s25
	s_cselect_b32 s0, s2, s1
	s_add_i32 s0, s0, -1
	s_ashr_i32 s1, s0, 1
	s_or_b32 s0, s1, s0
	s_ashr_i32 s1, s0, 2
	s_or_b32 s0, s1, s0
	;; [unrolled: 2-line block ×5, first 2 shown]
	s_add_i32 s0, s0, 1
	s_ashr_i32 s11, s0, 1
	v_add_u32_e32 v1, s22, v0
	s_cmp_gt_i32 s11, 1
	s_mov_b64 s[0:1], -1
	s_barrier
	s_cbranch_scc1 .LBB65_144
; %bb.134:
	v_cmp_gt_i32_e32 vcc, s23, v1
	s_and_saveexec_b64 s[0:1], vcc
	s_cbranch_execz .LBB65_143
; %bb.135:
	s_sub_i32 s2, s9, s23
	s_lshl_b32 s2, s2, 2
	s_add_i32 s14, s2, 0x1000
	s_lshl_b32 s2, s30, 2
	s_sub_i32 s15, 0, s2
	s_mov_b64 s[2:3], 0
	v_mov_b32_e32 v7, s13
	v_mov_b32_e32 v8, s21
	;; [unrolled: 1-line block ×3, first 2 shown]
.LBB65_136:                             ; =>This Loop Header: Depth=1
                                        ;     Child Loop BB65_138 Depth 2
                                        ;     Child Loop BB65_141 Depth 2
	v_ashrrev_i32_e32 v3, 31, v2
	v_lshlrev_b64 v[3:4], 2, v[2:3]
	v_mov_b32_e32 v10, 0
	v_add_co_u32_e32 v5, vcc, s12, v3
	v_addc_co_u32_e32 v6, vcc, v7, v4, vcc
	global_load_dwordx2 v[5:6], v[5:6], off
	s_waitcnt vmcnt(0)
	v_cmp_lt_i32_e32 vcc, v5, v6
	s_and_saveexec_b64 s[4:5], vcc
	s_cbranch_execz .LBB65_140
; %bb.137:                              ;   in Loop: Header=BB65_136 Depth=1
	v_subrev_u32_e32 v6, s30, v6
	v_subrev_u32_e32 v11, s30, v5
	v_lshl_add_u32 v5, v5, 2, s15
	v_mov_b32_e32 v10, 0
	s_mov_b64 s[8:9], 0
.LBB65_138:                             ;   Parent Loop BB65_136 Depth=1
                                        ; =>  This Inner Loop Header: Depth=2
	ds_read_b32 v12, v5
	v_add_u32_e32 v11, 1, v11
	v_cmp_ge_i32_e32 vcc, v11, v6
	v_add_u32_e32 v5, 4, v5
	s_or_b64 s[8:9], vcc, s[8:9]
	s_waitcnt lgkmcnt(0)
	v_add_f32_e32 v10, v10, v12
	s_andn2_b64 exec, exec, s[8:9]
	s_cbranch_execnz .LBB65_138
; %bb.139:                              ;   in Loop: Header=BB65_136 Depth=1
	s_or_b64 exec, exec, s[8:9]
.LBB65_140:                             ;   in Loop: Header=BB65_136 Depth=1
	s_or_b64 exec, exec, s[4:5]
	v_add_co_u32_e32 v3, vcc, s20, v3
	v_addc_co_u32_e32 v4, vcc, v8, v4, vcc
	global_load_dword v6, v[3:4], off
	v_lshl_add_u32 v5, v2, 2, s14
	ds_read_b32 v5, v5
	s_mov_b64 s[4:5], 0
	s_waitcnt lgkmcnt(0)
	v_add_f32_e32 v10, v10, v5
.LBB65_141:                             ;   Parent Loop BB65_136 Depth=1
                                        ; =>  This Inner Loop Header: Depth=2
	s_waitcnt vmcnt(0)
	v_add_f32_e32 v5, v6, v10
	global_atomic_cmpswap v5, v[3:4], v[5:6], off glc
	s_waitcnt vmcnt(0)
	v_cmp_eq_u32_e32 vcc, v5, v6
	s_or_b64 s[4:5], vcc, s[4:5]
	v_mov_b32_e32 v6, v5
	s_andn2_b64 exec, exec, s[4:5]
	s_cbranch_execnz .LBB65_141
; %bb.142:                              ;   in Loop: Header=BB65_136 Depth=1
	s_or_b64 exec, exec, s[4:5]
	v_add_u32_e32 v2, s31, v2
	v_cmp_le_i32_e32 vcc, s23, v2
	s_or_b64 s[2:3], vcc, s[2:3]
	s_andn2_b64 exec, exec, s[2:3]
	s_cbranch_execnz .LBB65_136
.LBB65_143:
	s_or_b64 exec, exec, s[0:1]
	s_mov_b64 s[0:1], 0
.LBB65_144:
	s_andn2_b64 vcc, exec, s[0:1]
	s_cbranch_vccnz .LBB65_158
; %bb.145:
	v_cvt_f32_u32_e32 v2, s11
	s_sub_i32 s0, 0, s11
	v_rcp_iflag_f32_e32 v2, v2
	v_mul_f32_e32 v2, 0x4f7ffffe, v2
	v_cvt_u32_f32_e32 v2, v2
	v_mul_lo_u32 v3, s0, v2
	v_mul_hi_u32 v3, v2, v3
	v_add_u32_e32 v2, v2, v3
	v_mul_hi_u32 v2, v0, v2
	v_mul_lo_u32 v3, v2, s11
	v_add_u32_e32 v4, 1, v2
	v_sub_u32_e32 v3, v0, v3
	v_cmp_le_u32_e32 vcc, s11, v3
	v_cndmask_b32_e32 v2, v2, v4, vcc
	v_subrev_u32_e32 v4, s11, v3
	v_cndmask_b32_e32 v3, v3, v4, vcc
	v_add_u32_e32 v4, 1, v2
	v_cmp_le_u32_e32 vcc, s11, v3
	v_cndmask_b32_e32 v4, v2, v4, vcc
	v_lshlrev_b32_e32 v2, 2, v4
	global_load_dwordx2 v[2:3], v2, s[6:7]
	v_cmp_gt_i32_e32 vcc, s25, v4
	v_mov_b32_e32 v4, 0
	s_and_saveexec_b64 s[0:1], vcc
	s_cbranch_execz .LBB65_153
; %bb.146:
	s_abs_i32 s4, s11
	v_cvt_f32_u32_e32 v4, s4
	s_sub_i32 s2, 0, s4
	s_waitcnt vmcnt(0)
	v_subrev_u32_e32 v5, s30, v3
	v_subrev_u32_e32 v2, s30, v2
	v_rcp_iflag_f32_e32 v4, v4
	v_sub_u32_e32 v8, v5, v2
	s_ashr_i32 s5, s11, 31
	v_mul_f32_e32 v4, 0x4f7ffffe, v4
	v_cvt_u32_f32_e32 v4, v4
	v_mul_lo_u32 v6, s2, v4
	v_mul_hi_u32 v3, v4, v6
	v_sub_u32_e32 v6, 0, v8
	v_max_i32_e32 v10, v8, v6
	v_ashrrev_i32_e32 v8, 31, v8
	v_add_u32_e32 v3, v4, v3
	v_mad_u64_u32 v[6:7], s[2:3], v10, v3, 0
	v_xor_b32_e32 v8, s5, v8
	s_add_i32 s2, s11, -1
	v_mul_lo_u32 v3, v7, s4
	v_add_u32_e32 v11, 1, v7
	v_and_b32_e32 v6, s2, v0
	v_mov_b32_e32 v4, 0
	v_sub_u32_e32 v3, v10, v3
	v_cmp_le_u32_e32 vcc, s4, v3
	v_subrev_u32_e32 v10, s4, v3
	v_cndmask_b32_e32 v7, v7, v11, vcc
	v_cndmask_b32_e32 v3, v3, v10, vcc
	v_add_u32_e32 v10, 1, v7
	v_cmp_le_u32_e32 vcc, s4, v3
	v_cndmask_b32_e32 v3, v7, v10, vcc
	v_xor_b32_e32 v3, v3, v8
	v_sub_u32_e32 v3, v3, v8
	v_cmp_lt_i32_e32 vcc, 0, v3
	v_lshlrev_b32_e32 v7, 2, v6
	s_and_saveexec_b64 s[2:3], vcc
	s_cbranch_execz .LBB65_150
; %bb.147:
	v_lshl_add_u32 v8, v2, 2, v7
	s_lshl_b32 s6, s11, 2
	v_mov_b32_e32 v4, 0
	s_mov_b64 s[4:5], 0
	v_mov_b32_e32 v10, v3
.LBB65_148:                             ; =>This Inner Loop Header: Depth=1
	ds_read_b32 v11, v8
	v_add_u32_e32 v10, -1, v10
	v_cmp_eq_u32_e32 vcc, 0, v10
	v_add_u32_e32 v8, s6, v8
	s_or_b64 s[4:5], vcc, s[4:5]
	s_waitcnt lgkmcnt(0)
	v_add_f32_e32 v4, v4, v11
	s_andn2_b64 exec, exec, s[4:5]
	s_cbranch_execnz .LBB65_148
; %bb.149:
	s_or_b64 exec, exec, s[4:5]
.LBB65_150:
	s_or_b64 exec, exec, s[2:3]
	v_mad_u64_u32 v[2:3], s[2:3], v3, s11, v[2:3]
	v_sub_u32_e32 v3, v5, v2
	v_cmp_lt_i32_e32 vcc, v6, v3
	s_and_saveexec_b64 s[2:3], vcc
	s_cbranch_execz .LBB65_152
; %bb.151:
	v_lshl_add_u32 v2, v2, 2, v7
	ds_read_b32 v2, v2
	s_waitcnt lgkmcnt(0)
	v_add_f32_e32 v4, v4, v2
.LBB65_152:
	s_or_b64 exec, exec, s[2:3]
.LBB65_153:
	s_or_b64 exec, exec, s[0:1]
	v_cmp_gt_i32_e32 vcc, s25, v0
	s_waitcnt vmcnt(0)
	s_barrier
	ds_write_b32 v9, v4
	s_waitcnt lgkmcnt(0)
	s_barrier
	s_and_saveexec_b64 s[0:1], vcc
	s_cbranch_execz .LBB65_158
; %bb.154:
	v_mul_lo_u32 v2, s11, v0
	v_mov_b32_e32 v3, 0
	v_lshlrev_b32_e32 v2, 2, v2
.LBB65_155:                             ; =>This Inner Loop Header: Depth=1
	ds_read_b32 v4, v2
	s_add_i32 s11, s11, -1
	v_add_u32_e32 v2, 4, v2
	s_cmp_eq_u32 s11, 0
	s_waitcnt lgkmcnt(0)
	v_add_f32_e32 v3, v3, v4
	s_cbranch_scc0 .LBB65_155
; %bb.156:
	v_ashrrev_i32_e32 v2, 31, v1
	v_lshlrev_b64 v[1:2], 2, v[1:2]
	v_mov_b32_e32 v4, s21
	v_add_co_u32_e32 v1, vcc, s20, v1
	v_addc_co_u32_e32 v2, vcc, v4, v2, vcc
	global_load_dword v4, v[1:2], off
	s_lshl_b32 s0, s10, 2
	s_addk_i32 s0, 0x1000
	v_lshl_add_u32 v0, v0, 2, s0
	ds_read_b32 v0, v0
	s_mov_b64 s[0:1], 0
	s_waitcnt lgkmcnt(0)
	v_add_f32_e32 v0, v3, v0
.LBB65_157:                             ; =>This Inner Loop Header: Depth=1
	s_waitcnt vmcnt(0)
	v_add_f32_e32 v3, v4, v0
	global_atomic_cmpswap v3, v[1:2], v[3:4], off glc
	s_waitcnt vmcnt(0)
	v_cmp_eq_u32_e32 vcc, v3, v4
	s_or_b64 s[0:1], vcc, s[0:1]
	v_mov_b32_e32 v4, v3
	s_andn2_b64 exec, exec, s[0:1]
	s_cbranch_execnz .LBB65_157
.LBB65_158:
	s_endpgm
	.section	.rodata,"a",@progbits
	.p2align	6, 0x0
	.amdhsa_kernel _ZN9rocsparseL27csrmvn_symm_adaptive_kernelIiiDF16_DF16_ffEEvbT_S1_PKS1_NS_24const_host_device_scalarIT4_EES3_PKT0_PKT1_PKT2_S6_PT3_21rocsparse_index_base_b
		.amdhsa_group_segment_fixed_size 4096
		.amdhsa_private_segment_fixed_size 0
		.amdhsa_kernarg_size 344
		.amdhsa_user_sgpr_count 6
		.amdhsa_user_sgpr_private_segment_buffer 1
		.amdhsa_user_sgpr_dispatch_ptr 0
		.amdhsa_user_sgpr_queue_ptr 0
		.amdhsa_user_sgpr_kernarg_segment_ptr 1
		.amdhsa_user_sgpr_dispatch_id 0
		.amdhsa_user_sgpr_flat_scratch_init 0
		.amdhsa_user_sgpr_private_segment_size 0
		.amdhsa_uses_dynamic_stack 0
		.amdhsa_system_sgpr_private_segment_wavefront_offset 0
		.amdhsa_system_sgpr_workgroup_id_x 1
		.amdhsa_system_sgpr_workgroup_id_y 0
		.amdhsa_system_sgpr_workgroup_id_z 0
		.amdhsa_system_sgpr_workgroup_info 0
		.amdhsa_system_vgpr_workitem_id 0
		.amdhsa_next_free_vgpr 16
		.amdhsa_next_free_sgpr 38
		.amdhsa_reserve_vcc 1
		.amdhsa_reserve_flat_scratch 0
		.amdhsa_float_round_mode_32 0
		.amdhsa_float_round_mode_16_64 0
		.amdhsa_float_denorm_mode_32 3
		.amdhsa_float_denorm_mode_16_64 3
		.amdhsa_dx10_clamp 1
		.amdhsa_ieee_mode 1
		.amdhsa_fp16_overflow 0
		.amdhsa_exception_fp_ieee_invalid_op 0
		.amdhsa_exception_fp_denorm_src 0
		.amdhsa_exception_fp_ieee_div_zero 0
		.amdhsa_exception_fp_ieee_overflow 0
		.amdhsa_exception_fp_ieee_underflow 0
		.amdhsa_exception_fp_ieee_inexact 0
		.amdhsa_exception_int_div_zero 0
	.end_amdhsa_kernel
	.section	.text._ZN9rocsparseL27csrmvn_symm_adaptive_kernelIiiDF16_DF16_ffEEvbT_S1_PKS1_NS_24const_host_device_scalarIT4_EES3_PKT0_PKT1_PKT2_S6_PT3_21rocsparse_index_base_b,"axG",@progbits,_ZN9rocsparseL27csrmvn_symm_adaptive_kernelIiiDF16_DF16_ffEEvbT_S1_PKS1_NS_24const_host_device_scalarIT4_EES3_PKT0_PKT1_PKT2_S6_PT3_21rocsparse_index_base_b,comdat
.Lfunc_end65:
	.size	_ZN9rocsparseL27csrmvn_symm_adaptive_kernelIiiDF16_DF16_ffEEvbT_S1_PKS1_NS_24const_host_device_scalarIT4_EES3_PKT0_PKT1_PKT2_S6_PT3_21rocsparse_index_base_b, .Lfunc_end65-_ZN9rocsparseL27csrmvn_symm_adaptive_kernelIiiDF16_DF16_ffEEvbT_S1_PKS1_NS_24const_host_device_scalarIT4_EES3_PKT0_PKT1_PKT2_S6_PT3_21rocsparse_index_base_b
                                        ; -- End function
	.set _ZN9rocsparseL27csrmvn_symm_adaptive_kernelIiiDF16_DF16_ffEEvbT_S1_PKS1_NS_24const_host_device_scalarIT4_EES3_PKT0_PKT1_PKT2_S6_PT3_21rocsparse_index_base_b.num_vgpr, 16
	.set _ZN9rocsparseL27csrmvn_symm_adaptive_kernelIiiDF16_DF16_ffEEvbT_S1_PKS1_NS_24const_host_device_scalarIT4_EES3_PKT0_PKT1_PKT2_S6_PT3_21rocsparse_index_base_b.num_agpr, 0
	.set _ZN9rocsparseL27csrmvn_symm_adaptive_kernelIiiDF16_DF16_ffEEvbT_S1_PKS1_NS_24const_host_device_scalarIT4_EES3_PKT0_PKT1_PKT2_S6_PT3_21rocsparse_index_base_b.numbered_sgpr, 38
	.set _ZN9rocsparseL27csrmvn_symm_adaptive_kernelIiiDF16_DF16_ffEEvbT_S1_PKS1_NS_24const_host_device_scalarIT4_EES3_PKT0_PKT1_PKT2_S6_PT3_21rocsparse_index_base_b.num_named_barrier, 0
	.set _ZN9rocsparseL27csrmvn_symm_adaptive_kernelIiiDF16_DF16_ffEEvbT_S1_PKS1_NS_24const_host_device_scalarIT4_EES3_PKT0_PKT1_PKT2_S6_PT3_21rocsparse_index_base_b.private_seg_size, 0
	.set _ZN9rocsparseL27csrmvn_symm_adaptive_kernelIiiDF16_DF16_ffEEvbT_S1_PKS1_NS_24const_host_device_scalarIT4_EES3_PKT0_PKT1_PKT2_S6_PT3_21rocsparse_index_base_b.uses_vcc, 1
	.set _ZN9rocsparseL27csrmvn_symm_adaptive_kernelIiiDF16_DF16_ffEEvbT_S1_PKS1_NS_24const_host_device_scalarIT4_EES3_PKT0_PKT1_PKT2_S6_PT3_21rocsparse_index_base_b.uses_flat_scratch, 0
	.set _ZN9rocsparseL27csrmvn_symm_adaptive_kernelIiiDF16_DF16_ffEEvbT_S1_PKS1_NS_24const_host_device_scalarIT4_EES3_PKT0_PKT1_PKT2_S6_PT3_21rocsparse_index_base_b.has_dyn_sized_stack, 0
	.set _ZN9rocsparseL27csrmvn_symm_adaptive_kernelIiiDF16_DF16_ffEEvbT_S1_PKS1_NS_24const_host_device_scalarIT4_EES3_PKT0_PKT1_PKT2_S6_PT3_21rocsparse_index_base_b.has_recursion, 0
	.set _ZN9rocsparseL27csrmvn_symm_adaptive_kernelIiiDF16_DF16_ffEEvbT_S1_PKS1_NS_24const_host_device_scalarIT4_EES3_PKT0_PKT1_PKT2_S6_PT3_21rocsparse_index_base_b.has_indirect_call, 0
	.section	.AMDGPU.csdata,"",@progbits
; Kernel info:
; codeLenInByte = 6140
; TotalNumSgprs: 42
; NumVgprs: 16
; ScratchSize: 0
; MemoryBound: 0
; FloatMode: 240
; IeeeMode: 1
; LDSByteSize: 4096 bytes/workgroup (compile time only)
; SGPRBlocks: 5
; VGPRBlocks: 3
; NumSGPRsForWavesPerEU: 42
; NumVGPRsForWavesPerEU: 16
; Occupancy: 10
; WaveLimiterHint : 1
; COMPUTE_PGM_RSRC2:SCRATCH_EN: 0
; COMPUTE_PGM_RSRC2:USER_SGPR: 6
; COMPUTE_PGM_RSRC2:TRAP_HANDLER: 0
; COMPUTE_PGM_RSRC2:TGID_X_EN: 1
; COMPUTE_PGM_RSRC2:TGID_Y_EN: 0
; COMPUTE_PGM_RSRC2:TGID_Z_EN: 0
; COMPUTE_PGM_RSRC2:TIDIG_COMP_CNT: 0
	.section	.text._ZL33csrmvn_symm_large_adaptive_kernelIiiDF16_DF16_ffEvbT_PKS0_N9rocsparse24const_host_device_scalarIT4_EES2_PKT0_PKT1_PKT2_S6_PT3_21rocsparse_index_base_b,"axG",@progbits,_ZL33csrmvn_symm_large_adaptive_kernelIiiDF16_DF16_ffEvbT_PKS0_N9rocsparse24const_host_device_scalarIT4_EES2_PKT0_PKT1_PKT2_S6_PT3_21rocsparse_index_base_b,comdat
	.globl	_ZL33csrmvn_symm_large_adaptive_kernelIiiDF16_DF16_ffEvbT_PKS0_N9rocsparse24const_host_device_scalarIT4_EES2_PKT0_PKT1_PKT2_S6_PT3_21rocsparse_index_base_b ; -- Begin function _ZL33csrmvn_symm_large_adaptive_kernelIiiDF16_DF16_ffEvbT_PKS0_N9rocsparse24const_host_device_scalarIT4_EES2_PKT0_PKT1_PKT2_S6_PT3_21rocsparse_index_base_b
	.p2align	8
	.type	_ZL33csrmvn_symm_large_adaptive_kernelIiiDF16_DF16_ffEvbT_PKS0_N9rocsparse24const_host_device_scalarIT4_EES2_PKT0_PKT1_PKT2_S6_PT3_21rocsparse_index_base_b,@function
_ZL33csrmvn_symm_large_adaptive_kernelIiiDF16_DF16_ffEvbT_PKS0_N9rocsparse24const_host_device_scalarIT4_EES2_PKT0_PKT1_PKT2_S6_PT3_21rocsparse_index_base_b: ; @_ZL33csrmvn_symm_large_adaptive_kernelIiiDF16_DF16_ffEvbT_PKS0_N9rocsparse24const_host_device_scalarIT4_EES2_PKT0_PKT1_PKT2_S6_PT3_21rocsparse_index_base_b
; %bb.0:
	s_load_dwordx2 s[10:11], s[4:5], 0x48
	s_load_dwordx2 s[20:21], s[4:5], 0x10
	;; [unrolled: 1-line block ×3, first 2 shown]
	s_waitcnt lgkmcnt(0)
	s_bitcmp1_b32 s11, 0
	s_cselect_b64 s[8:9], -1, 0
	s_xor_b64 s[2:3], s[8:9], -1
	s_and_b64 vcc, exec, s[8:9]
	s_cbranch_vccnz .LBB66_2
; %bb.1:
	s_load_dword s20, s[20:21], 0x0
.LBB66_2:
	s_andn2_b64 vcc, exec, s[2:3]
	s_cbranch_vccnz .LBB66_4
; %bb.3:
	s_load_dword s0, s[0:1], 0x0
.LBB66_4:
	s_waitcnt lgkmcnt(0)
	v_cmp_neq_f32_e64 s[2:3], s20, 0
	v_cmp_neq_f32_e64 s[0:1], s0, 1.0
	s_or_b64 s[0:1], s[2:3], s[0:1]
	s_andn2_b64 vcc, exec, s[0:1]
	s_cbranch_vccnz .LBB66_34
; %bb.5:
	s_load_dwordx2 s[0:1], s[4:5], 0x8
	s_ashr_i32 s7, s6, 31
	s_lshl_b64 s[2:3], s[6:7], 2
	v_lshlrev_b32_e32 v7, 2, v0
	v_mov_b32_e32 v8, 0
	s_waitcnt lgkmcnt(0)
	s_add_u32 s0, s0, s2
	s_addc_u32 s1, s1, s3
	ds_write2st64_b32 v7, v8, v8 offset1:4
	ds_write2st64_b32 v7, v8, v8 offset0:8 offset1:12
	s_waitcnt lgkmcnt(0)
	s_barrier
	s_load_dwordx2 s[22:23], s[0:1], 0x0
	s_load_dwordx8 s[12:19], s[4:5], 0x18
	s_load_dwordx2 s[24:25], s[4:5], 0x40
	v_subrev_u32_e32 v6, s10, v0
	s_waitcnt lgkmcnt(0)
	s_cmp_ge_i32 s22, s23
	s_cbranch_scc1 .LBB66_24
; %bb.6:
	v_cmp_gt_u32_e64 s[0:1], 64, v0
	v_cmp_gt_u32_e64 s[2:3], 16, v0
	v_cmp_gt_u32_e64 s[4:5], 4, v0
	v_cmp_eq_u32_e64 s[6:7], 0, v0
	s_mov_b32 s26, s22
	s_branch .LBB66_8
.LBB66_7:                               ;   in Loop: Header=BB66_8 Depth=1
	s_or_b64 exec, exec, s[8:9]
	s_add_i32 s26, s26, 1
	s_cmp_ge_i32 s26, s23
	s_cbranch_scc1 .LBB66_24
.LBB66_8:                               ; =>This Loop Header: Depth=1
                                        ;     Child Loop BB66_10 Depth 2
                                        ;     Child Loop BB66_23 Depth 2
	s_ashr_i32 s27, s26, 31
	s_lshl_b64 s[28:29], s[26:27], 2
	s_add_u32 s8, s12, s28
	s_addc_u32 s9, s13, s29
	s_load_dwordx2 s[30:31], s[8:9], 0x0
	v_mov_b32_e32 v1, 0
	s_waitcnt lgkmcnt(0)
	s_sub_i32 s11, s31, s10
	v_add_u32_e32 v0, s30, v6
	v_cmp_gt_i32_e32 vcc, s11, v0
	s_and_saveexec_b64 s[30:31], vcc
	s_cbranch_execz .LBB66_12
; %bb.9:                                ;   in Loop: Header=BB66_8 Depth=1
	v_ashrrev_i32_e32 v1, 31, v0
	v_lshlrev_b64 v[2:3], 2, v[0:1]
	v_mov_b32_e32 v4, s15
	v_add_co_u32_e32 v2, vcc, s14, v2
	v_addc_co_u32_e32 v3, vcc, v4, v3, vcc
	v_lshlrev_b64 v[4:5], 1, v[0:1]
	v_mov_b32_e32 v1, s17
	v_add_co_u32_e32 v4, vcc, s16, v4
	v_addc_co_u32_e32 v5, vcc, v1, v5, vcc
	v_mov_b32_e32 v1, 0
	s_mov_b64 s[34:35], 0
.LBB66_10:                              ;   Parent Loop BB66_8 Depth=1
                                        ; =>  This Inner Loop Header: Depth=2
	global_load_dword v9, v[2:3], off
	global_load_ushort v11, v[4:5], off
	v_mov_b32_e32 v12, s19
	v_add_u32_e32 v0, 0x100, v0
	v_cmp_le_i32_e64 s[8:9], s11, v0
	s_or_b64 s[34:35], s[8:9], s[34:35]
	s_waitcnt vmcnt(1)
	v_subrev_u32_e32 v9, s10, v9
	v_ashrrev_i32_e32 v10, 31, v9
	v_lshlrev_b64 v[9:10], 1, v[9:10]
	v_add_co_u32_e32 v9, vcc, s18, v9
	v_addc_co_u32_e32 v10, vcc, v12, v10, vcc
	global_load_ushort v9, v[9:10], off
	v_add_co_u32_e32 v2, vcc, 0x400, v2
	v_addc_co_u32_e32 v3, vcc, 0, v3, vcc
	v_add_co_u32_e32 v4, vcc, 0x200, v4
	v_addc_co_u32_e32 v5, vcc, 0, v5, vcc
	s_waitcnt vmcnt(0)
	v_fma_mix_f32 v1, v11, v9, v1 op_sel_hi:[1,1,0]
	s_andn2_b64 exec, exec, s[34:35]
	s_cbranch_execnz .LBB66_10
; %bb.11:                               ;   in Loop: Header=BB66_8 Depth=1
	s_or_b64 exec, exec, s[34:35]
.LBB66_12:                              ;   in Loop: Header=BB66_8 Depth=1
	s_or_b64 exec, exec, s[30:31]
	ds_write_b32 v7, v1
	s_waitcnt lgkmcnt(0)
	s_barrier
	ds_read2st64_b32 v[0:1], v7 offset1:4
	ds_read2st64_b32 v[2:3], v7 offset0:8 offset1:12
	s_waitcnt lgkmcnt(0)
	v_add_f32_e32 v1, v1, v2
	v_add_f32_e32 v1, v1, v3
	;; [unrolled: 1-line block ×3, first 2 shown]
	ds_write_b32 v7, v0
	s_waitcnt lgkmcnt(0)
	s_barrier
	s_and_saveexec_b64 s[8:9], s[0:1]
	s_cbranch_execz .LBB66_14
; %bb.13:                               ;   in Loop: Header=BB66_8 Depth=1
	ds_read2st64_b32 v[0:1], v7 offset1:1
	ds_read2st64_b32 v[2:3], v7 offset0:2 offset1:3
	s_waitcnt lgkmcnt(0)
	v_add_f32_e32 v1, v1, v2
	v_add_f32_e32 v1, v1, v3
	;; [unrolled: 1-line block ×3, first 2 shown]
	ds_write_b32 v7, v0
.LBB66_14:                              ;   in Loop: Header=BB66_8 Depth=1
	s_or_b64 exec, exec, s[8:9]
	s_waitcnt lgkmcnt(0)
	s_barrier
	s_and_saveexec_b64 s[8:9], s[2:3]
	s_cbranch_execz .LBB66_16
; %bb.15:                               ;   in Loop: Header=BB66_8 Depth=1
	ds_read2_b32 v[0:1], v7 offset1:16
	ds_read2_b32 v[2:3], v7 offset0:32 offset1:48
	s_waitcnt lgkmcnt(0)
	v_add_f32_e32 v1, v1, v2
	v_add_f32_e32 v1, v1, v3
	;; [unrolled: 1-line block ×3, first 2 shown]
	ds_write_b32 v7, v0
.LBB66_16:                              ;   in Loop: Header=BB66_8 Depth=1
	s_or_b64 exec, exec, s[8:9]
	s_waitcnt lgkmcnt(0)
	s_barrier
	s_and_saveexec_b64 s[8:9], s[4:5]
	s_cbranch_execz .LBB66_18
; %bb.17:                               ;   in Loop: Header=BB66_8 Depth=1
	ds_read2_b32 v[0:1], v7 offset1:4
	ds_read2_b32 v[2:3], v7 offset0:8 offset1:12
	s_waitcnt lgkmcnt(0)
	v_add_f32_e32 v1, v1, v2
	v_add_f32_e32 v1, v1, v3
	;; [unrolled: 1-line block ×3, first 2 shown]
	ds_write_b32 v7, v0
.LBB66_18:                              ;   in Loop: Header=BB66_8 Depth=1
	s_or_b64 exec, exec, s[8:9]
	s_waitcnt lgkmcnt(0)
	s_barrier
	s_and_saveexec_b64 s[8:9], s[6:7]
	s_cbranch_execz .LBB66_20
; %bb.19:                               ;   in Loop: Header=BB66_8 Depth=1
	ds_read2_b32 v[0:1], v8 offset0:1 offset1:2
	ds_read_b32 v2, v8 offset:12
	ds_read_b32 v3, v7
	s_waitcnt lgkmcnt(2)
	v_add_f32_e32 v0, v0, v1
	s_waitcnt lgkmcnt(1)
	v_add_f32_e32 v0, v0, v2
	;; [unrolled: 2-line block ×3, first 2 shown]
	ds_write_b32 v7, v0
.LBB66_20:                              ;   in Loop: Header=BB66_8 Depth=1
	s_or_b64 exec, exec, s[8:9]
	s_waitcnt lgkmcnt(0)
	s_barrier
	s_and_saveexec_b64 s[8:9], s[6:7]
	s_cbranch_execz .LBB66_7
; %bb.21:                               ;   in Loop: Header=BB66_8 Depth=1
	s_mov_b64 s[30:31], exec
	v_mbcnt_lo_u32_b32 v0, s30, 0
	v_mbcnt_hi_u32_b32 v0, s31, v0
	v_cmp_eq_u32_e32 vcc, 0, v0
	s_and_b64 s[34:35], exec, vcc
	s_mov_b64 exec, s[34:35]
	s_cbranch_execz .LBB66_7
; %bb.22:                               ;   in Loop: Header=BB66_8 Depth=1
	s_add_u32 s28, s24, s28
	s_addc_u32 s29, s25, s29
	global_load_dword v1, v8, s[28:29]
	ds_read_b32 v0, v8
	s_bcnt1_i32_b64 s11, s[30:31]
	v_cvt_f32_ubyte0_e32 v2, s11
	s_mov_b64 s[30:31], 0
	s_waitcnt lgkmcnt(0)
	v_mul_f32_e32 v0, s20, v0
	v_mul_f32_e32 v2, v0, v2
.LBB66_23:                              ;   Parent Loop BB66_8 Depth=1
                                        ; =>  This Inner Loop Header: Depth=2
	s_waitcnt vmcnt(0)
	v_add_f32_e32 v0, v1, v2
	global_atomic_cmpswap v0, v8, v[0:1], s[28:29] glc
	s_waitcnt vmcnt(0)
	v_cmp_eq_u32_e32 vcc, v0, v1
	s_or_b64 s[30:31], vcc, s[30:31]
	v_mov_b32_e32 v1, v0
	s_andn2_b64 exec, exec, s[30:31]
	s_cbranch_execnz .LBB66_23
	s_branch .LBB66_7
.LBB66_24:
	s_ashr_i32 s1, s22, 31
	s_mov_b32 s0, s22
	s_lshl_b64 s[0:1], s[0:1], 2
	s_add_u32 s0, s12, s0
	s_addc_u32 s1, s13, s1
	s_ashr_i32 s3, s23, 31
	s_mov_b32 s2, s23
	s_lshl_b64 s[2:3], s[2:3], 2
	s_add_u32 s2, s12, s2
	s_addc_u32 s3, s13, s3
	s_load_dword s4, s[2:3], 0x0
	s_load_dword s5, s[0:1], 0x0
	s_waitcnt lgkmcnt(0)
	s_sub_i32 s8, s4, s10
	v_add_u32_e32 v0, s5, v6
	v_cmp_gt_i32_e32 vcc, s8, v0
	s_and_saveexec_b64 s[0:1], vcc
	s_cbranch_execz .LBB66_34
; %bb.25:
	s_add_i32 s9, s23, -1
	s_cmp_lt_i32 s22, s9
	s_cselect_b64 s[0:1], -1, 0
	s_add_i32 s2, s23, -2
	s_cmp_lg_u32 s22, s2
	s_cselect_b64 s[2:3], -1, 0
	s_and_b64 s[0:1], s[0:1], s[2:3]
	v_cndmask_b32_e64 v1, 0, 1, s[0:1]
	s_mov_b64 s[4:5], 0
	v_cmp_ne_u32_e64 s[0:1], 1, v1
	v_mov_b32_e32 v5, s13
	v_mov_b32_e32 v6, s15
	s_branch .LBB66_27
.LBB66_26:                              ;   in Loop: Header=BB66_27 Depth=1
	s_or_b64 exec, exec, s[2:3]
	v_add_u32_e32 v0, 0x100, v0
	v_cmp_le_i32_e32 vcc, s8, v0
	s_or_b64 s[4:5], vcc, s[4:5]
	s_andn2_b64 exec, exec, s[4:5]
	s_cbranch_execz .LBB66_34
.LBB66_27:                              ; =>This Loop Header: Depth=1
                                        ;     Child Loop BB66_29 Depth 2
                                        ;     Child Loop BB66_33 Depth 2
	s_and_b64 vcc, exec, s[0:1]
	v_mov_b32_e32 v4, s22
	v_mov_b32_e32 v2, s9
	s_cbranch_vccnz .LBB66_31
; %bb.28:                               ;   in Loop: Header=BB66_27 Depth=1
	s_mov_b64 s[6:7], 0
	v_mov_b32_e32 v4, s22
	v_mov_b32_e32 v2, s9
.LBB66_29:                              ;   Parent Loop BB66_27 Depth=1
                                        ; =>  This Inner Loop Header: Depth=2
	v_add_u32_e32 v1, v2, v4
	v_lshrrev_b32_e32 v7, 31, v1
	v_add_u32_e32 v1, v1, v7
	v_ashrrev_i32_e32 v7, 1, v1
	v_ashrrev_i32_e32 v8, 31, v7
	v_lshlrev_b64 v[8:9], 2, v[7:8]
	v_mov_b32_e32 v3, s13
	v_add_co_u32_e32 v8, vcc, s12, v8
	v_addc_co_u32_e32 v9, vcc, v3, v9, vcc
	global_load_dword v1, v[8:9], off
	s_waitcnt vmcnt(0)
	v_subrev_u32_e32 v1, s10, v1
	v_cmp_lt_i32_e32 vcc, v0, v1
	v_cndmask_b32_e32 v2, v2, v7, vcc
	v_cndmask_b32_e32 v4, v7, v4, vcc
	v_add_u32_e32 v1, -1, v2
	v_cmp_ge_i32_e32 vcc, v4, v2
	v_cmp_eq_u32_e64 s[2:3], v4, v1
	s_or_b64 s[2:3], vcc, s[2:3]
	s_and_b64 s[2:3], exec, s[2:3]
	s_or_b64 s[6:7], s[2:3], s[6:7]
	s_andn2_b64 exec, exec, s[6:7]
	s_cbranch_execnz .LBB66_29
; %bb.30:                               ;   in Loop: Header=BB66_27 Depth=1
	s_or_b64 exec, exec, s[6:7]
.LBB66_31:                              ;   in Loop: Header=BB66_27 Depth=1
	v_ashrrev_i32_e32 v3, 31, v2
	v_lshlrev_b64 v[7:8], 2, v[2:3]
	v_ashrrev_i32_e32 v1, 31, v0
	v_add_co_u32_e32 v7, vcc, s12, v7
	v_addc_co_u32_e32 v8, vcc, v5, v8, vcc
	global_load_dword v3, v[7:8], off
	v_lshlrev_b64 v[7:8], 2, v[0:1]
	v_add_co_u32_e32 v7, vcc, s14, v7
	v_addc_co_u32_e32 v8, vcc, v6, v8, vcc
	global_load_dword v7, v[7:8], off
	s_waitcnt vmcnt(1)
	v_subrev_u32_e32 v3, s10, v3
	v_cmp_lt_i32_e32 vcc, v0, v3
	v_cndmask_b32_e32 v2, v2, v4, vcc
	s_waitcnt vmcnt(0)
	v_subrev_u32_e32 v3, s10, v7
	v_cmp_ne_u32_e32 vcc, v3, v2
	s_and_saveexec_b64 s[2:3], vcc
	s_cbranch_execz .LBB66_26
; %bb.32:                               ;   in Loop: Header=BB66_27 Depth=1
	v_ashrrev_i32_e32 v4, 31, v3
	v_lshlrev_b64 v[7:8], 2, v[3:4]
	v_lshlrev_b64 v[3:4], 1, v[0:1]
	v_mov_b32_e32 v1, s17
	v_add_co_u32_e32 v3, vcc, s16, v3
	v_addc_co_u32_e32 v4, vcc, v1, v4, vcc
	global_load_ushort v9, v[3:4], off
	v_ashrrev_i32_e32 v3, 31, v2
	v_lshlrev_b64 v[1:2], 1, v[2:3]
	v_mov_b32_e32 v3, s19
	v_add_co_u32_e32 v1, vcc, s18, v1
	v_addc_co_u32_e32 v2, vcc, v3, v2, vcc
	global_load_ushort v3, v[1:2], off
	v_mov_b32_e32 v2, s25
	v_add_co_u32_e32 v1, vcc, s24, v7
	v_addc_co_u32_e32 v2, vcc, v2, v8, vcc
	global_load_dword v4, v[1:2], off
	s_mov_b64 s[6:7], 0
	s_waitcnt vmcnt(2)
	v_cvt_f32_f16_e32 v7, v9
	v_mul_f32_e32 v7, s20, v7
	s_waitcnt vmcnt(1)
	v_cvt_f32_f16_e32 v3, v3
	v_mul_f32_e32 v7, v7, v3
.LBB66_33:                              ;   Parent Loop BB66_27 Depth=1
                                        ; =>  This Inner Loop Header: Depth=2
	s_waitcnt vmcnt(0)
	v_add_f32_e32 v3, v4, v7
	global_atomic_cmpswap v3, v[1:2], v[3:4], off glc
	s_waitcnt vmcnt(0)
	v_cmp_eq_u32_e32 vcc, v3, v4
	s_or_b64 s[6:7], vcc, s[6:7]
	v_mov_b32_e32 v4, v3
	s_andn2_b64 exec, exec, s[6:7]
	s_cbranch_execnz .LBB66_33
	s_branch .LBB66_26
.LBB66_34:
	s_endpgm
	.section	.rodata,"a",@progbits
	.p2align	6, 0x0
	.amdhsa_kernel _ZL33csrmvn_symm_large_adaptive_kernelIiiDF16_DF16_ffEvbT_PKS0_N9rocsparse24const_host_device_scalarIT4_EES2_PKT0_PKT1_PKT2_S6_PT3_21rocsparse_index_base_b
		.amdhsa_group_segment_fixed_size 4096
		.amdhsa_private_segment_fixed_size 0
		.amdhsa_kernarg_size 80
		.amdhsa_user_sgpr_count 6
		.amdhsa_user_sgpr_private_segment_buffer 1
		.amdhsa_user_sgpr_dispatch_ptr 0
		.amdhsa_user_sgpr_queue_ptr 0
		.amdhsa_user_sgpr_kernarg_segment_ptr 1
		.amdhsa_user_sgpr_dispatch_id 0
		.amdhsa_user_sgpr_flat_scratch_init 0
		.amdhsa_user_sgpr_private_segment_size 0
		.amdhsa_uses_dynamic_stack 0
		.amdhsa_system_sgpr_private_segment_wavefront_offset 0
		.amdhsa_system_sgpr_workgroup_id_x 1
		.amdhsa_system_sgpr_workgroup_id_y 0
		.amdhsa_system_sgpr_workgroup_id_z 0
		.amdhsa_system_sgpr_workgroup_info 0
		.amdhsa_system_vgpr_workitem_id 0
		.amdhsa_next_free_vgpr 13
		.amdhsa_next_free_sgpr 36
		.amdhsa_reserve_vcc 1
		.amdhsa_reserve_flat_scratch 0
		.amdhsa_float_round_mode_32 0
		.amdhsa_float_round_mode_16_64 0
		.amdhsa_float_denorm_mode_32 3
		.amdhsa_float_denorm_mode_16_64 3
		.amdhsa_dx10_clamp 1
		.amdhsa_ieee_mode 1
		.amdhsa_fp16_overflow 0
		.amdhsa_exception_fp_ieee_invalid_op 0
		.amdhsa_exception_fp_denorm_src 0
		.amdhsa_exception_fp_ieee_div_zero 0
		.amdhsa_exception_fp_ieee_overflow 0
		.amdhsa_exception_fp_ieee_underflow 0
		.amdhsa_exception_fp_ieee_inexact 0
		.amdhsa_exception_int_div_zero 0
	.end_amdhsa_kernel
	.section	.text._ZL33csrmvn_symm_large_adaptive_kernelIiiDF16_DF16_ffEvbT_PKS0_N9rocsparse24const_host_device_scalarIT4_EES2_PKT0_PKT1_PKT2_S6_PT3_21rocsparse_index_base_b,"axG",@progbits,_ZL33csrmvn_symm_large_adaptive_kernelIiiDF16_DF16_ffEvbT_PKS0_N9rocsparse24const_host_device_scalarIT4_EES2_PKT0_PKT1_PKT2_S6_PT3_21rocsparse_index_base_b,comdat
.Lfunc_end66:
	.size	_ZL33csrmvn_symm_large_adaptive_kernelIiiDF16_DF16_ffEvbT_PKS0_N9rocsparse24const_host_device_scalarIT4_EES2_PKT0_PKT1_PKT2_S6_PT3_21rocsparse_index_base_b, .Lfunc_end66-_ZL33csrmvn_symm_large_adaptive_kernelIiiDF16_DF16_ffEvbT_PKS0_N9rocsparse24const_host_device_scalarIT4_EES2_PKT0_PKT1_PKT2_S6_PT3_21rocsparse_index_base_b
                                        ; -- End function
	.set _ZL33csrmvn_symm_large_adaptive_kernelIiiDF16_DF16_ffEvbT_PKS0_N9rocsparse24const_host_device_scalarIT4_EES2_PKT0_PKT1_PKT2_S6_PT3_21rocsparse_index_base_b.num_vgpr, 13
	.set _ZL33csrmvn_symm_large_adaptive_kernelIiiDF16_DF16_ffEvbT_PKS0_N9rocsparse24const_host_device_scalarIT4_EES2_PKT0_PKT1_PKT2_S6_PT3_21rocsparse_index_base_b.num_agpr, 0
	.set _ZL33csrmvn_symm_large_adaptive_kernelIiiDF16_DF16_ffEvbT_PKS0_N9rocsparse24const_host_device_scalarIT4_EES2_PKT0_PKT1_PKT2_S6_PT3_21rocsparse_index_base_b.numbered_sgpr, 36
	.set _ZL33csrmvn_symm_large_adaptive_kernelIiiDF16_DF16_ffEvbT_PKS0_N9rocsparse24const_host_device_scalarIT4_EES2_PKT0_PKT1_PKT2_S6_PT3_21rocsparse_index_base_b.num_named_barrier, 0
	.set _ZL33csrmvn_symm_large_adaptive_kernelIiiDF16_DF16_ffEvbT_PKS0_N9rocsparse24const_host_device_scalarIT4_EES2_PKT0_PKT1_PKT2_S6_PT3_21rocsparse_index_base_b.private_seg_size, 0
	.set _ZL33csrmvn_symm_large_adaptive_kernelIiiDF16_DF16_ffEvbT_PKS0_N9rocsparse24const_host_device_scalarIT4_EES2_PKT0_PKT1_PKT2_S6_PT3_21rocsparse_index_base_b.uses_vcc, 1
	.set _ZL33csrmvn_symm_large_adaptive_kernelIiiDF16_DF16_ffEvbT_PKS0_N9rocsparse24const_host_device_scalarIT4_EES2_PKT0_PKT1_PKT2_S6_PT3_21rocsparse_index_base_b.uses_flat_scratch, 0
	.set _ZL33csrmvn_symm_large_adaptive_kernelIiiDF16_DF16_ffEvbT_PKS0_N9rocsparse24const_host_device_scalarIT4_EES2_PKT0_PKT1_PKT2_S6_PT3_21rocsparse_index_base_b.has_dyn_sized_stack, 0
	.set _ZL33csrmvn_symm_large_adaptive_kernelIiiDF16_DF16_ffEvbT_PKS0_N9rocsparse24const_host_device_scalarIT4_EES2_PKT0_PKT1_PKT2_S6_PT3_21rocsparse_index_base_b.has_recursion, 0
	.set _ZL33csrmvn_symm_large_adaptive_kernelIiiDF16_DF16_ffEvbT_PKS0_N9rocsparse24const_host_device_scalarIT4_EES2_PKT0_PKT1_PKT2_S6_PT3_21rocsparse_index_base_b.has_indirect_call, 0
	.section	.AMDGPU.csdata,"",@progbits
; Kernel info:
; codeLenInByte = 1512
; TotalNumSgprs: 40
; NumVgprs: 13
; ScratchSize: 0
; MemoryBound: 0
; FloatMode: 240
; IeeeMode: 1
; LDSByteSize: 4096 bytes/workgroup (compile time only)
; SGPRBlocks: 4
; VGPRBlocks: 3
; NumSGPRsForWavesPerEU: 40
; NumVGPRsForWavesPerEU: 13
; Occupancy: 10
; WaveLimiterHint : 1
; COMPUTE_PGM_RSRC2:SCRATCH_EN: 0
; COMPUTE_PGM_RSRC2:USER_SGPR: 6
; COMPUTE_PGM_RSRC2:TRAP_HANDLER: 0
; COMPUTE_PGM_RSRC2:TGID_X_EN: 1
; COMPUTE_PGM_RSRC2:TGID_Y_EN: 0
; COMPUTE_PGM_RSRC2:TGID_Z_EN: 0
; COMPUTE_PGM_RSRC2:TIDIG_COMP_CNT: 0
	.section	.text._ZN9rocsparseL22csrmvn_adaptive_kernelIliDF16_DF16_ffEEvbT_PKS1_PjPKT0_NS_24const_host_device_scalarIT4_EES3_S7_PKT1_PKT2_SA_PT3_21rocsparse_index_base_b,"axG",@progbits,_ZN9rocsparseL22csrmvn_adaptive_kernelIliDF16_DF16_ffEEvbT_PKS1_PjPKT0_NS_24const_host_device_scalarIT4_EES3_S7_PKT1_PKT2_SA_PT3_21rocsparse_index_base_b,comdat
	.globl	_ZN9rocsparseL22csrmvn_adaptive_kernelIliDF16_DF16_ffEEvbT_PKS1_PjPKT0_NS_24const_host_device_scalarIT4_EES3_S7_PKT1_PKT2_SA_PT3_21rocsparse_index_base_b ; -- Begin function _ZN9rocsparseL22csrmvn_adaptive_kernelIliDF16_DF16_ffEEvbT_PKS1_PjPKT0_NS_24const_host_device_scalarIT4_EES3_S7_PKT1_PKT2_SA_PT3_21rocsparse_index_base_b
	.p2align	8
	.type	_ZN9rocsparseL22csrmvn_adaptive_kernelIliDF16_DF16_ffEEvbT_PKS1_PjPKT0_NS_24const_host_device_scalarIT4_EES3_S7_PKT1_PKT2_SA_PT3_21rocsparse_index_base_b,@function
_ZN9rocsparseL22csrmvn_adaptive_kernelIliDF16_DF16_ffEEvbT_PKS1_PjPKT0_NS_24const_host_device_scalarIT4_EES3_S7_PKT1_PKT2_SA_PT3_21rocsparse_index_base_b: ; @_ZN9rocsparseL22csrmvn_adaptive_kernelIliDF16_DF16_ffEEvbT_PKS1_PjPKT0_NS_24const_host_device_scalarIT4_EES3_S7_PKT1_PKT2_SA_PT3_21rocsparse_index_base_b
; %bb.0:
	s_load_dwordx2 s[48:49], s[4:5], 0x60
	s_load_dwordx2 s[46:47], s[4:5], 0x28
	;; [unrolled: 1-line block ×3, first 2 shown]
	s_waitcnt lgkmcnt(0)
	s_bitcmp1_b32 s49, 0
	s_cselect_b64 s[2:3], -1, 0
	s_xor_b64 s[0:1], s[2:3], -1
	s_and_b64 vcc, exec, s[2:3]
	s_cbranch_vccnz .LBB67_2
; %bb.1:
	s_load_dword s46, s[46:47], 0x0
.LBB67_2:
	s_andn2_b64 vcc, exec, s[0:1]
	s_cbranch_vccnz .LBB67_4
; %bb.3:
	s_load_dword s34, s[34:35], 0x0
.LBB67_4:
	s_waitcnt lgkmcnt(0)
	v_cmp_neq_f32_e64 s[0:1], s46, 0
	v_cmp_neq_f32_e64 s[2:3], s34, 1.0
	s_or_b64 s[0:1], s[0:1], s[2:3]
	s_andn2_b64 vcc, exec, s[0:1]
	s_cbranch_vccnz .LBB67_116
; %bb.5:
	s_load_dwordx2 s[0:1], s[4:5], 0x10
	s_load_dwordx2 s[8:9], s[4:5], 0x20
	s_ashr_i32 s7, s6, 31
	s_lshl_b64 s[2:3], s[6:7], 3
	s_waitcnt lgkmcnt(0)
	s_add_u32 s0, s0, s2
	s_addc_u32 s1, s1, s3
	s_load_dwordx4 s[36:39], s[0:1], 0x0
	s_load_dwordx2 s[40:41], s[4:5], 0x58
	s_load_dwordx8 s[24:31], s[4:5], 0x30
	s_lshl_b64 s[50:51], s[6:7], 2
	s_waitcnt lgkmcnt(0)
	s_sub_i32 s2, s38, s36
	s_add_u32 s0, s8, s50
	s_addc_u32 s1, s9, s51
	s_lshl_b64 s[8:9], s[36:37], 3
	s_add_u32 s42, s24, s8
	s_addc_u32 s43, s25, s9
	s_load_dword s33, s[0:1], 0x0
	s_load_dwordx2 s[44:45], s[42:43], 0x0
	s_cmp_lt_i32 s2, 2
	s_mov_b64 s[0:1], -1
	s_cbranch_scc0 .LBB67_72
; %bb.6:
	s_cmp_lg_u32 s2, 1
	s_cselect_b64 s[0:1], -1, 0
	s_waitcnt lgkmcnt(0)
	s_cmp_lg_u32 s33, 0
	s_cselect_b64 s[2:3], -1, 0
	s_or_b64 s[2:3], s[0:1], s[2:3]
	s_mov_b64 s[0:1], -1
	s_and_b64 vcc, exec, s[2:3]
	s_cbranch_vccnz .LBB67_35
; %bb.7:
	v_mov_b32_e32 v1, s36
	v_mov_b32_e32 v2, s37
	v_cmp_le_i64_e32 vcc, s[38:39], v[1:2]
	s_cbranch_vccnz .LBB67_34
; %bb.8:
	v_subrev_co_u32_e32 v10, vcc, s48, v0
	v_cmp_neq_f32_e64 s[20:21], s34, 0
	v_subb_co_u32_e64 v11, s[0:1], 0, 0, vcc
	v_cndmask_b32_e64 v1, 0, 1, s[20:21]
	s_movk_i32 s0, 0x80
	v_cmp_ne_u32_e64 s[20:21], 1, v1
	v_mov_b32_e32 v1, s38
	v_mov_b32_e32 v9, 0
	v_lshlrev_b32_e32 v12, 2, v0
	v_cmp_gt_u32_e64 s[0:1], s0, v0
	v_cmp_gt_u32_e64 s[2:3], 64, v0
	;; [unrolled: 1-line block ×7, first 2 shown]
	v_cmp_eq_u32_e64 s[18:19], 0, v0
	v_mov_b32_e32 v2, s39
	s_movk_i32 s7, 0x100
	s_mov_b64 s[52:53], s[36:37]
	s_branch .LBB67_11
.LBB67_9:                               ;   in Loop: Header=BB67_11 Depth=1
	s_lshl_b64 s[54:55], s[52:53], 2
	s_add_u32 s54, s40, s54
	s_addc_u32 s55, s41, s55
	s_waitcnt lgkmcnt(0)
	global_store_dword v9, v3, s[54:55]
.LBB67_10:                              ;   in Loop: Header=BB67_11 Depth=1
	s_or_b64 exec, exec, s[22:23]
	s_add_u32 s52, s52, 1
	s_addc_u32 s53, s53, 0
	v_cmp_ge_i64_e32 vcc, s[52:53], v[1:2]
	s_cbranch_vccnz .LBB67_34
.LBB67_11:                              ; =>This Loop Header: Depth=1
                                        ;     Child Loop BB67_13 Depth 2
	s_lshl_b64 s[22:23], s[52:53], 3
	s_add_u32 s22, s24, s22
	s_addc_u32 s23, s25, s23
	s_load_dwordx4 s[56:59], s[22:23], 0x0
	v_mov_b32_e32 v13, 0
	s_waitcnt lgkmcnt(0)
	s_sub_u32 s54, s58, s48
	v_mov_b32_e32 v4, s57
	v_add_co_u32_e32 v3, vcc, s56, v10
	s_subb_u32 s55, s59, 0
	v_addc_co_u32_e32 v4, vcc, v4, v11, vcc
	v_cmp_gt_i64_e32 vcc, s[54:55], v[3:4]
	s_and_saveexec_b64 s[56:57], vcc
	s_cbranch_execz .LBB67_15
; %bb.12:                               ;   in Loop: Header=BB67_11 Depth=1
	v_lshlrev_b64 v[5:6], 1, v[3:4]
	v_mov_b32_e32 v7, s29
	v_add_co_u32_e32 v5, vcc, s28, v5
	v_addc_co_u32_e32 v6, vcc, v7, v6, vcc
	v_lshlrev_b64 v[7:8], 2, v[3:4]
	v_mov_b32_e32 v13, s27
	v_add_co_u32_e32 v7, vcc, s26, v7
	v_addc_co_u32_e32 v8, vcc, v13, v8, vcc
	v_mov_b32_e32 v13, 0
	s_mov_b64 s[58:59], 0
.LBB67_13:                              ;   Parent Loop BB67_11 Depth=1
                                        ; =>  This Inner Loop Header: Depth=2
	global_load_dword v14, v[7:8], off
	global_load_ushort v16, v[5:6], off
	v_mov_b32_e32 v17, s31
	s_waitcnt vmcnt(1)
	v_subrev_u32_e32 v14, s48, v14
	v_ashrrev_i32_e32 v15, 31, v14
	v_lshlrev_b64 v[14:15], 1, v[14:15]
	v_add_co_u32_e32 v14, vcc, s30, v14
	v_addc_co_u32_e32 v15, vcc, v17, v15, vcc
	global_load_ushort v14, v[14:15], off
	v_add_co_u32_e32 v3, vcc, s7, v3
	s_waitcnt vmcnt(1)
	v_cvt_f32_f16_e32 v15, v16
	v_addc_co_u32_e32 v4, vcc, 0, v4, vcc
	v_add_co_u32_e32 v5, vcc, 0x200, v5
	v_addc_co_u32_e32 v6, vcc, 0, v6, vcc
	v_cmp_le_i64_e64 s[22:23], s[54:55], v[3:4]
	v_add_co_u32_e32 v7, vcc, 0x400, v7
	v_mul_f32_e32 v15, s46, v15
	v_addc_co_u32_e32 v8, vcc, 0, v8, vcc
	s_or_b64 s[58:59], s[22:23], s[58:59]
	s_waitcnt vmcnt(0)
	v_fma_mix_f32 v13, v15, v14, v13 op_sel_hi:[0,1,0]
	s_andn2_b64 exec, exec, s[58:59]
	s_cbranch_execnz .LBB67_13
; %bb.14:                               ;   in Loop: Header=BB67_11 Depth=1
	s_or_b64 exec, exec, s[58:59]
.LBB67_15:                              ;   in Loop: Header=BB67_11 Depth=1
	s_or_b64 exec, exec, s[56:57]
	ds_write_b32 v12, v13
	s_waitcnt vmcnt(0) lgkmcnt(0)
	s_barrier
	s_and_saveexec_b64 s[22:23], s[0:1]
	s_cbranch_execz .LBB67_17
; %bb.16:                               ;   in Loop: Header=BB67_11 Depth=1
	ds_read2st64_b32 v[3:4], v12 offset1:2
	s_waitcnt lgkmcnt(0)
	v_add_f32_e32 v3, v3, v4
	ds_write_b32 v12, v3
.LBB67_17:                              ;   in Loop: Header=BB67_11 Depth=1
	s_or_b64 exec, exec, s[22:23]
	s_waitcnt lgkmcnt(0)
	s_barrier
	s_and_saveexec_b64 s[22:23], s[2:3]
	s_cbranch_execz .LBB67_19
; %bb.18:                               ;   in Loop: Header=BB67_11 Depth=1
	ds_read2st64_b32 v[3:4], v12 offset1:1
	s_waitcnt lgkmcnt(0)
	v_add_f32_e32 v3, v3, v4
	ds_write_b32 v12, v3
.LBB67_19:                              ;   in Loop: Header=BB67_11 Depth=1
	s_or_b64 exec, exec, s[22:23]
	s_waitcnt lgkmcnt(0)
	s_barrier
	s_and_saveexec_b64 s[22:23], s[8:9]
	s_cbranch_execz .LBB67_21
; %bb.20:                               ;   in Loop: Header=BB67_11 Depth=1
	ds_read2_b32 v[3:4], v12 offset1:32
	s_waitcnt lgkmcnt(0)
	v_add_f32_e32 v3, v3, v4
	ds_write_b32 v12, v3
.LBB67_21:                              ;   in Loop: Header=BB67_11 Depth=1
	s_or_b64 exec, exec, s[22:23]
	s_waitcnt lgkmcnt(0)
	s_barrier
	s_and_saveexec_b64 s[22:23], s[10:11]
	s_cbranch_execz .LBB67_23
; %bb.22:                               ;   in Loop: Header=BB67_11 Depth=1
	ds_read2_b32 v[3:4], v12 offset1:16
	s_waitcnt lgkmcnt(0)
	v_add_f32_e32 v3, v3, v4
	ds_write_b32 v12, v3
.LBB67_23:                              ;   in Loop: Header=BB67_11 Depth=1
	;; [unrolled: 11-line block ×5, first 2 shown]
	s_or_b64 exec, exec, s[22:23]
	s_waitcnt lgkmcnt(0)
	s_barrier
	s_and_saveexec_b64 s[22:23], s[18:19]
	s_cbranch_execz .LBB67_31
; %bb.30:                               ;   in Loop: Header=BB67_11 Depth=1
	ds_read_b64 v[3:4], v9
	s_waitcnt lgkmcnt(0)
	v_add_f32_e32 v3, v3, v4
	ds_write_b32 v9, v3
.LBB67_31:                              ;   in Loop: Header=BB67_11 Depth=1
	s_or_b64 exec, exec, s[22:23]
	s_waitcnt lgkmcnt(0)
	s_barrier
	s_and_saveexec_b64 s[22:23], s[18:19]
	s_cbranch_execz .LBB67_10
; %bb.32:                               ;   in Loop: Header=BB67_11 Depth=1
	ds_read_b32 v3, v9
	s_and_b64 vcc, exec, s[20:21]
	s_cbranch_vccnz .LBB67_9
; %bb.33:                               ;   in Loop: Header=BB67_11 Depth=1
	s_lshl_b64 s[54:55], s[52:53], 2
	s_add_u32 s54, s40, s54
	s_addc_u32 s55, s41, s55
	global_load_dword v4, v9, s[54:55]
	s_waitcnt vmcnt(0) lgkmcnt(0)
	v_fmac_f32_e32 v3, s34, v4
	s_branch .LBB67_9
.LBB67_34:
	s_mov_b64 s[0:1], 0
.LBB67_35:
	s_andn2_b64 vcc, exec, s[0:1]
	s_cbranch_vccnz .LBB67_71
; %bb.36:
	s_load_dwordx2 s[8:9], s[4:5], 0x18
	s_sub_i32 s6, s6, s33
	v_mov_b32_e32 v8, 0
	v_or_b32_e32 v1, s33, v0
	v_cmp_eq_u32_e32 vcc, 0, v1
	s_waitcnt lgkmcnt(0)
	s_add_u32 s2, s8, s50
	s_addc_u32 s3, s9, s51
	global_load_dword v7, v8, s[2:3]
	s_and_saveexec_b64 s[0:1], vcc
	s_cbranch_execz .LBB67_40
; %bb.37:
	s_lshl_b64 s[12:13], s[36:37], 2
	s_add_u32 s12, s40, s12
	s_addc_u32 s13, s41, s13
	v_mov_b32_e32 v3, 0
	global_load_dword v1, v3, s[12:13]
	s_mov_b64 s[10:11], exec
	v_mbcnt_lo_u32_b32 v4, s10, 0
	v_mbcnt_hi_u32_b32 v4, s11, v4
	v_add_f32_e64 v2, s34, -1.0
	v_cmp_eq_u32_e32 vcc, 0, v4
	s_waitcnt vmcnt(0) expcnt(0) lgkmcnt(0)
	s_and_saveexec_b64 s[12:13], vcc
	s_cbranch_execz .LBB67_39
; %bb.38:
	s_ashr_i32 s7, s6, 31
	s_lshl_b64 s[14:15], s[6:7], 2
	s_add_u32 s14, s8, s14
	s_addc_u32 s15, s9, s15
	s_bcnt1_i32_b64 s7, s[10:11]
	s_and_b32 s7, s7, 1
	v_mov_b32_e32 v4, s7
	global_atomic_xor v3, v4, s[14:15]
.LBB67_39:
	s_or_b64 exec, exec, s[12:13]
	v_mul_f32_e32 v8, v2, v1
.LBB67_40:
	s_or_b64 exec, exec, s[0:1]
	s_load_dwordx2 s[0:1], s[42:43], 0x8
	s_sub_u32 s11, s44, s48
	s_mul_i32 s7, s33, 0xc00
	s_subb_u32 s12, s45, 0
	s_mul_hi_i32 s10, s33, 0xc00
	s_add_u32 s7, s11, s7
	s_addc_u32 s12, s12, s10
	s_waitcnt lgkmcnt(0)
	s_sub_u32 s0, s0, s48
	v_mov_b32_e32 v2, s12
	v_add_co_u32_e32 v1, vcc, s7, v0
	s_subb_u32 s1, s1, 0
	v_addc_co_u32_e32 v2, vcc, 0, v2, vcc
	v_cmp_gt_i64_e32 vcc, s[0:1], v[1:2]
	s_and_saveexec_b64 s[10:11], vcc
	s_cbranch_execz .LBB67_44
; %bb.41:
	s_add_u32 s14, s7, 0xc00
	v_mov_b32_e32 v4, s1
	s_addc_u32 s15, s12, 0
	v_mov_b32_e32 v3, s0
	v_cmp_lt_i64_e32 vcc, s[14:15], v[3:4]
	v_lshlrev_b64 v[3:4], 1, v[1:2]
	s_and_b64 s[12:13], vcc, exec
	v_mov_b32_e32 v5, s29
	v_add_co_u32_e32 v3, vcc, s28, v3
	v_addc_co_u32_e32 v4, vcc, v5, v4, vcc
	v_lshlrev_b64 v[5:6], 2, v[1:2]
	v_mov_b32_e32 v9, s27
	v_add_co_u32_e32 v5, vcc, s26, v5
	s_cselect_b32 s13, s15, s1
	s_cselect_b32 s12, s14, s0
	v_addc_co_u32_e32 v6, vcc, v9, v6, vcc
	s_mov_b64 s[14:15], 0
	v_mov_b32_e32 v9, s31
	s_movk_i32 s7, 0x100
.LBB67_42:                              ; =>This Inner Loop Header: Depth=1
	global_load_dword v10, v[5:6], off
	global_load_ushort v12, v[3:4], off
	s_waitcnt vmcnt(1)
	v_subrev_u32_e32 v10, s48, v10
	v_ashrrev_i32_e32 v11, 31, v10
	v_lshlrev_b64 v[10:11], 1, v[10:11]
	v_add_co_u32_e32 v10, vcc, s30, v10
	v_addc_co_u32_e32 v11, vcc, v9, v11, vcc
	global_load_ushort v10, v[10:11], off
	v_add_co_u32_e32 v1, vcc, s7, v1
	s_waitcnt vmcnt(1)
	v_cvt_f32_f16_e32 v11, v12
	v_addc_co_u32_e32 v2, vcc, 0, v2, vcc
	v_add_co_u32_e32 v3, vcc, 0x200, v3
	v_addc_co_u32_e32 v4, vcc, 0, v4, vcc
	v_cmp_le_i64_e64 s[0:1], s[12:13], v[1:2]
	v_add_co_u32_e32 v5, vcc, 0x400, v5
	v_mul_f32_e32 v11, s46, v11
	v_addc_co_u32_e32 v6, vcc, 0, v6, vcc
	s_or_b64 s[14:15], s[0:1], s[14:15]
	s_waitcnt vmcnt(0)
	v_fma_mix_f32 v8, v11, v10, v8 op_sel_hi:[0,1,0]
	s_andn2_b64 exec, exec, s[14:15]
	s_cbranch_execnz .LBB67_42
; %bb.43:
	s_or_b64 exec, exec, s[14:15]
.LBB67_44:
	s_or_b64 exec, exec, s[10:11]
	s_movk_i32 s0, 0x80
	v_lshlrev_b32_e32 v1, 2, v0
	v_cmp_gt_u32_e32 vcc, s0, v0
	ds_write_b32 v1, v8
	s_waitcnt vmcnt(0) lgkmcnt(0)
	s_barrier
	s_and_saveexec_b64 s[0:1], vcc
	s_cbranch_execz .LBB67_46
; %bb.45:
	ds_read2st64_b32 v[2:3], v1 offset1:2
	s_waitcnt lgkmcnt(0)
	v_add_f32_e32 v2, v2, v3
	ds_write_b32 v1, v2
.LBB67_46:
	s_or_b64 exec, exec, s[0:1]
	v_cmp_gt_u32_e32 vcc, 64, v0
	s_waitcnt lgkmcnt(0)
	s_barrier
	s_and_saveexec_b64 s[0:1], vcc
	s_cbranch_execz .LBB67_48
; %bb.47:
	ds_read2st64_b32 v[2:3], v1 offset1:1
	s_waitcnt lgkmcnt(0)
	v_add_f32_e32 v2, v2, v3
	ds_write_b32 v1, v2
.LBB67_48:
	s_or_b64 exec, exec, s[0:1]
	v_cmp_gt_u32_e32 vcc, 32, v0
	s_waitcnt lgkmcnt(0)
	s_barrier
	s_and_saveexec_b64 s[0:1], vcc
	s_cbranch_execz .LBB67_50
; %bb.49:
	ds_read2_b32 v[2:3], v1 offset1:32
	s_waitcnt lgkmcnt(0)
	v_add_f32_e32 v2, v2, v3
	ds_write_b32 v1, v2
.LBB67_50:
	s_or_b64 exec, exec, s[0:1]
	v_cmp_gt_u32_e32 vcc, 16, v0
	s_waitcnt lgkmcnt(0)
	s_barrier
	s_and_saveexec_b64 s[0:1], vcc
	s_cbranch_execz .LBB67_52
; %bb.51:
	ds_read2_b32 v[2:3], v1 offset1:16
	s_waitcnt lgkmcnt(0)
	v_add_f32_e32 v2, v2, v3
	ds_write_b32 v1, v2
.LBB67_52:
	;; [unrolled: 12-line block ×5, first 2 shown]
	s_or_b64 exec, exec, s[0:1]
	v_cmp_eq_u32_e32 vcc, 0, v0
	s_waitcnt lgkmcnt(0)
	s_barrier
	s_and_saveexec_b64 s[0:1], vcc
	s_cbranch_execz .LBB67_60
; %bb.59:
	v_mov_b32_e32 v3, 0
	ds_read_b64 v[1:2], v3
	s_waitcnt lgkmcnt(0)
	v_add_f32_e32 v1, v1, v2
	ds_write_b32 v3, v1
.LBB67_60:
	s_or_b64 exec, exec, s[0:1]
	s_waitcnt lgkmcnt(0)
	s_barrier
	s_and_saveexec_b64 s[0:1], vcc
	s_cbranch_execz .LBB67_70
; %bb.61:
	s_cmp_eq_u32 s33, 0
	s_cbranch_scc1 .LBB67_67
; %bb.62:
	s_ashr_i32 s7, s6, 31
	s_lshl_b64 s[6:7], s[6:7], 2
	s_add_u32 s6, s8, s6
	s_addc_u32 s7, s9, s7
	v_mov_b32_e32 v1, 0
	s_branch .LBB67_64
.LBB67_63:                              ;   in Loop: Header=BB67_64 Depth=1
	s_or_b64 exec, exec, s[8:9]
	s_waitcnt vmcnt(0)
	v_readfirstlane_b32 s8, v2
	v_cmp_eq_u32_e32 vcc, s8, v7
	s_cbranch_vccz .LBB67_66
.LBB67_64:                              ; =>This Inner Loop Header: Depth=1
	v_mbcnt_lo_u32_b32 v2, exec_lo, 0
	v_mbcnt_hi_u32_b32 v2, exec_hi, v2
	v_cmp_eq_u32_e32 vcc, 0, v2
                                        ; implicit-def: $vgpr2
	s_and_saveexec_b64 s[8:9], vcc
	s_cbranch_execz .LBB67_63
; %bb.65:                               ;   in Loop: Header=BB67_64 Depth=1
	global_load_dword v2, v1, s[6:7] glc
	s_branch .LBB67_63
.LBB67_66:
	v_mov_b32_e32 v1, 0
	global_load_ushort v2, v1, s[2:3]
	s_waitcnt vmcnt(0)
	v_xor_b32_e32 v2, 1, v2
	global_store_short v1, v2, s[2:3]
.LBB67_67:
	s_mov_b64 s[6:7], exec
	v_mbcnt_lo_u32_b32 v1, s6, 0
	v_mbcnt_hi_u32_b32 v1, s7, v1
	v_cmp_eq_u32_e32 vcc, 0, v1
	s_and_b64 s[2:3], exec, vcc
	s_mov_b64 exec, s[2:3]
	s_cbranch_execz .LBB67_70
; %bb.68:
	s_lshl_b64 s[2:3], s[36:37], 2
	s_add_u32 s2, s40, s2
	s_addc_u32 s3, s41, s3
	v_mov_b32_e32 v3, 0
	global_load_dword v2, v3, s[2:3]
	ds_read_b32 v1, v3
	s_bcnt1_i32_b64 s6, s[6:7]
	v_cvt_f32_ubyte0_e32 v4, s6
	s_mov_b64 s[6:7], 0
	s_waitcnt lgkmcnt(0)
	v_mul_f32_e32 v4, v1, v4
.LBB67_69:                              ; =>This Inner Loop Header: Depth=1
	s_waitcnt vmcnt(0)
	v_add_f32_e32 v1, v2, v4
	global_atomic_cmpswap v1, v3, v[1:2], s[2:3] glc
	s_waitcnt vmcnt(0)
	v_cmp_eq_u32_e32 vcc, v1, v2
	s_or_b64 s[6:7], vcc, s[6:7]
	v_mov_b32_e32 v2, v1
	s_andn2_b64 exec, exec, s[6:7]
	s_cbranch_execnz .LBB67_69
.LBB67_70:
	s_or_b64 exec, exec, s[0:1]
.LBB67_71:
	s_mov_b64 s[0:1], 0
.LBB67_72:
	s_andn2_b64 vcc, exec, s[0:1]
	s_cbranch_vccnz .LBB67_116
; %bb.73:
	s_load_dwordx2 s[0:1], s[4:5], 0x8
	v_subrev_co_u32_e32 v1, vcc, s48, v0
	v_subb_co_u32_e64 v2, s[2:3], 0, 0, vcc
	s_waitcnt lgkmcnt(0)
	v_mov_b32_e32 v3, s45
	v_add_co_u32_e32 v1, vcc, s44, v1
	v_addc_co_u32_e32 v2, vcc, v3, v2, vcc
	v_add_co_u32_e32 v3, vcc, 0x300, v1
	v_addc_co_u32_e32 v4, vcc, 0, v2, vcc
	v_cmp_le_i64_e32 vcc, s[0:1], v[3:4]
	s_and_saveexec_b64 s[0:1], vcc
	s_xor_b64 s[2:3], exec, s[0:1]
	s_cbranch_execz .LBB67_78
; %bb.74:
	s_lshl_b64 s[0:1], s[38:39], 3
	s_add_u32 s0, s24, s0
	s_addc_u32 s1, s25, s1
	s_load_dwordx2 s[0:1], s[0:1], 0x0
	s_waitcnt lgkmcnt(0)
	s_sub_u32 s4, s0, s48
	s_subb_u32 s5, s1, 0
	v_cmp_gt_i64_e32 vcc, s[4:5], v[1:2]
	s_and_saveexec_b64 s[6:7], vcc
	s_cbranch_execz .LBB67_77
; %bb.75:
	v_lshlrev_b64 v[3:4], 1, v[1:2]
	v_mov_b32_e32 v5, s29
	v_add_co_u32_e32 v3, vcc, s28, v3
	v_addc_co_u32_e32 v4, vcc, v5, v4, vcc
	v_lshlrev_b64 v[5:6], 2, v[1:2]
	v_mov_b32_e32 v8, s27
	v_add_co_u32_e32 v5, vcc, s26, v5
	v_lshlrev_b32_e32 v7, 2, v0
	v_addc_co_u32_e32 v6, vcc, v8, v6, vcc
	s_mov_b64 s[8:9], 0
	v_mov_b32_e32 v8, s31
	s_movk_i32 s10, 0x100
.LBB67_76:                              ; =>This Inner Loop Header: Depth=1
	global_load_dword v9, v[5:6], off
	global_load_ushort v11, v[3:4], off
	s_waitcnt vmcnt(1)
	v_subrev_u32_e32 v9, s48, v9
	v_ashrrev_i32_e32 v10, 31, v9
	v_lshlrev_b64 v[9:10], 1, v[9:10]
	v_add_co_u32_e32 v9, vcc, s30, v9
	v_addc_co_u32_e32 v10, vcc, v8, v10, vcc
	global_load_ushort v9, v[9:10], off
	s_waitcnt vmcnt(1)
	v_cvt_f32_f16_e32 v10, v11
	v_add_co_u32_e32 v1, vcc, s10, v1
	v_addc_co_u32_e32 v2, vcc, 0, v2, vcc
	v_add_co_u32_e32 v3, vcc, 0x200, v3
	v_addc_co_u32_e32 v4, vcc, 0, v4, vcc
	v_cmp_le_i64_e64 s[0:1], s[4:5], v[1:2]
	v_mul_f32_e32 v10, s46, v10
	v_add_co_u32_e32 v5, vcc, 0x400, v5
	v_addc_co_u32_e32 v6, vcc, 0, v6, vcc
	s_or_b64 s[8:9], s[0:1], s[8:9]
	s_waitcnt vmcnt(0)
	v_cvt_f32_f16_e32 v9, v9
	v_mul_f32_e32 v9, v10, v9
	ds_write_b32 v7, v9
	v_add_u32_e32 v7, 0x400, v7
	s_andn2_b64 exec, exec, s[8:9]
	s_cbranch_execnz .LBB67_76
.LBB67_77:
	s_or_b64 exec, exec, s[6:7]
                                        ; implicit-def: $vgpr1_vgpr2
.LBB67_78:
	s_or_saveexec_b64 s[0:1], s[2:3]
	v_lshlrev_b32_e32 v7, 2, v0
	s_xor_b64 exec, exec, s[0:1]
	s_cbranch_execz .LBB67_80
; %bb.79:
	v_lshlrev_b64 v[3:4], 2, v[1:2]
	v_mov_b32_e32 v5, s27
	v_add_co_u32_e32 v3, vcc, s26, v3
	v_addc_co_u32_e32 v4, vcc, v5, v4, vcc
	global_load_dword v5, v[3:4], off
	global_load_dword v6, v[3:4], off offset:1024
	global_load_dword v8, v[3:4], off offset:2048
	;; [unrolled: 1-line block ×3, first 2 shown]
	v_lshlrev_b64 v[1:2], 1, v[1:2]
	v_mov_b32_e32 v3, s29
	v_add_co_u32_e32 v1, vcc, s28, v1
	v_addc_co_u32_e32 v2, vcc, v3, v2, vcc
	global_load_ushort v14, v[1:2], off
	global_load_ushort v15, v[1:2], off offset:512
	global_load_ushort v16, v[1:2], off offset:1024
	;; [unrolled: 1-line block ×3, first 2 shown]
	v_mov_b32_e32 v10, s31
	v_mov_b32_e32 v11, s31
	;; [unrolled: 1-line block ×4, first 2 shown]
	s_waitcnt vmcnt(7)
	v_subrev_u32_e32 v1, s48, v5
	v_ashrrev_i32_e32 v2, 31, v1
	s_waitcnt vmcnt(6)
	v_subrev_u32_e32 v3, s48, v6
	v_lshlrev_b64 v[1:2], 1, v[1:2]
	v_ashrrev_i32_e32 v4, 31, v3
	s_waitcnt vmcnt(5)
	v_subrev_u32_e32 v5, s48, v8
	v_lshlrev_b64 v[3:4], 1, v[3:4]
	v_add_co_u32_e32 v1, vcc, s30, v1
	v_ashrrev_i32_e32 v6, 31, v5
	v_addc_co_u32_e32 v2, vcc, v10, v2, vcc
	s_waitcnt vmcnt(4)
	v_subrev_u32_e32 v8, s48, v9
	v_lshlrev_b64 v[5:6], 1, v[5:6]
	v_add_co_u32_e32 v3, vcc, s30, v3
	v_ashrrev_i32_e32 v9, 31, v8
	v_addc_co_u32_e32 v4, vcc, v11, v4, vcc
	v_lshlrev_b64 v[8:9], 1, v[8:9]
	v_add_co_u32_e32 v5, vcc, s30, v5
	v_addc_co_u32_e32 v6, vcc, v12, v6, vcc
	v_add_co_u32_e32 v8, vcc, s30, v8
	v_addc_co_u32_e32 v9, vcc, v13, v9, vcc
	global_load_ushort v10, v[1:2], off
	global_load_ushort v11, v[3:4], off
	;; [unrolled: 1-line block ×4, first 2 shown]
	s_waitcnt vmcnt(7)
	v_cvt_f32_f16_e32 v1, v14
	s_waitcnt vmcnt(6)
	v_cvt_f32_f16_e32 v2, v15
	;; [unrolled: 2-line block ×4, first 2 shown]
	v_mul_f32_e32 v1, s46, v1
	v_mul_f32_e32 v2, s46, v2
	;; [unrolled: 1-line block ×4, first 2 shown]
	s_waitcnt vmcnt(3)
	v_cvt_f32_f16_e32 v5, v10
	s_waitcnt vmcnt(2)
	v_cvt_f32_f16_e32 v6, v11
	s_waitcnt vmcnt(1)
	v_cvt_f32_f16_e32 v8, v12
	s_waitcnt vmcnt(0)
	v_cvt_f32_f16_e32 v9, v13
	v_mul_f32_e32 v1, v1, v5
	v_mul_f32_e32 v2, v2, v6
	;; [unrolled: 1-line block ×4, first 2 shown]
	ds_write2st64_b32 v7, v1, v2 offset1:4
	ds_write2st64_b32 v7, v3, v4 offset0:8 offset1:12
.LBB67_80:
	s_or_b64 exec, exec, s[0:1]
	s_cmp_lt_i32 s33, 2
	s_mov_b64 s[0:1], -1
	s_waitcnt vmcnt(0) lgkmcnt(0)
	s_barrier
	s_cbranch_scc0 .LBB67_91
; %bb.81:
	v_mov_b32_e32 v1, s37
	v_add_co_u32_e32 v5, vcc, s36, v0
	v_addc_co_u32_e32 v6, vcc, 0, v1, vcc
	v_cmp_gt_i64_e32 vcc, s[38:39], v[5:6]
	s_and_saveexec_b64 s[2:3], vcc
	s_cbranch_execz .LBB67_90
; %bb.82:
	s_lshl_b32 s0, s44, 2
	v_cmp_neq_f32_e64 s[4:5], s34, 0
	s_sub_i32 s10, 0, s0
	s_mov_b64 s[6:7], 0
	v_mov_b32_e32 v8, s25
	v_mov_b32_e32 v9, s41
	s_branch .LBB67_84
.LBB67_83:                              ;   in Loop: Header=BB67_84 Depth=1
	v_add_co_u32_e32 v5, vcc, 0x100, v5
	v_addc_co_u32_e32 v6, vcc, 0, v6, vcc
	v_cmp_le_i64_e32 vcc, s[38:39], v[5:6]
	v_add_co_u32_e64 v1, s[0:1], s40, v1
	v_addc_co_u32_e64 v2, s[0:1], v9, v2, s[0:1]
	s_or_b64 s[6:7], vcc, s[6:7]
	global_store_dword v[1:2], v3, off
	s_andn2_b64 exec, exec, s[6:7]
	s_cbranch_execz .LBB67_90
.LBB67_84:                              ; =>This Loop Header: Depth=1
                                        ;     Child Loop BB67_86 Depth 2
	v_lshlrev_b64 v[1:2], 3, v[5:6]
	v_add_co_u32_e32 v1, vcc, s24, v1
	v_addc_co_u32_e32 v2, vcc, v8, v2, vcc
	global_load_dwordx4 v[1:4], v[1:2], off
	s_waitcnt vmcnt(0)
	v_subrev_u32_e32 v2, s44, v1
	v_subrev_u32_e32 v4, s44, v3
	v_cmp_lt_i32_e32 vcc, v2, v4
	v_mov_b32_e32 v3, 0
	s_and_saveexec_b64 s[0:1], vcc
	s_cbranch_execz .LBB67_88
; %bb.85:                               ;   in Loop: Header=BB67_84 Depth=1
	v_lshl_add_u32 v1, v1, 2, s10
	v_mov_b32_e32 v3, 0
	s_mov_b64 s[8:9], 0
.LBB67_86:                              ;   Parent Loop BB67_84 Depth=1
                                        ; =>  This Inner Loop Header: Depth=2
	ds_read_b32 v10, v1
	v_add_u32_e32 v2, 1, v2
	v_cmp_ge_i32_e32 vcc, v2, v4
	v_add_u32_e32 v1, 4, v1
	s_or_b64 s[8:9], vcc, s[8:9]
	s_waitcnt lgkmcnt(0)
	v_add_f32_e32 v3, v3, v10
	s_andn2_b64 exec, exec, s[8:9]
	s_cbranch_execnz .LBB67_86
; %bb.87:                               ;   in Loop: Header=BB67_84 Depth=1
	s_or_b64 exec, exec, s[8:9]
.LBB67_88:                              ;   in Loop: Header=BB67_84 Depth=1
	s_or_b64 exec, exec, s[0:1]
	v_lshlrev_b64 v[1:2], 2, v[5:6]
	s_and_b64 vcc, exec, s[4:5]
	s_cbranch_vccz .LBB67_83
; %bb.89:                               ;   in Loop: Header=BB67_84 Depth=1
	v_mov_b32_e32 v4, s41
	v_add_co_u32_e32 v10, vcc, s40, v1
	v_addc_co_u32_e32 v11, vcc, v4, v2, vcc
	global_load_dword v4, v[10:11], off
	s_waitcnt vmcnt(0)
	v_fmac_f32_e32 v3, s34, v4
	s_branch .LBB67_83
.LBB67_90:
	s_or_b64 exec, exec, s[2:3]
	s_mov_b64 s[0:1], 0
.LBB67_91:
	s_andn2_b64 vcc, exec, s[0:1]
	s_cbranch_vccnz .LBB67_116
; %bb.92:
	s_flbit_i32_b32 s0, s33
	s_xor_b32 s0, s0, 31
	v_lshrrev_b32_e32 v4, s0, v0
	v_mov_b32_e32 v2, s37
	v_add_co_u32_e32 v1, vcc, s36, v4
	v_addc_co_u32_e32 v2, vcc, 0, v2, vcc
	s_add_i32 s2, s33, -1
	v_cmp_le_i64_e32 vcc, s[38:39], v[1:2]
	v_cmp_gt_i64_e64 s[0:1], s[38:39], v[1:2]
	v_mov_b32_e32 v3, 0
	v_and_b32_e32 v0, s2, v0
	s_and_saveexec_b64 s[2:3], s[0:1]
	s_cbranch_execz .LBB67_98
; %bb.93:
	v_lshlrev_b32_e32 v3, 3, v4
	global_load_dword v4, v3, s[42:43] offset:8
	global_load_dword v5, v3, s[42:43]
	s_waitcnt vmcnt(1)
	v_subrev_u32_e32 v4, s44, v4
	s_waitcnt vmcnt(0)
	v_subrev_u32_e32 v3, s44, v5
	v_add_u32_e32 v5, v0, v3
	v_cmp_lt_i32_e64 s[0:1], v5, v4
	v_mov_b32_e32 v3, 0
	s_and_saveexec_b64 s[4:5], s[0:1]
	s_cbranch_execz .LBB67_97
; %bb.94:
	v_lshlrev_b32_e32 v6, 2, v5
	s_lshl_b32 s8, s33, 2
	v_mov_b32_e32 v3, 0
	s_mov_b64 s[6:7], 0
.LBB67_95:                              ; =>This Inner Loop Header: Depth=1
	ds_read_b32 v8, v6
	v_add_u32_e32 v5, s33, v5
	v_cmp_ge_i32_e64 s[0:1], v5, v4
	v_add_u32_e32 v6, s8, v6
	s_or_b64 s[6:7], s[0:1], s[6:7]
	s_waitcnt lgkmcnt(0)
	v_add_f32_e32 v3, v3, v8
	s_andn2_b64 exec, exec, s[6:7]
	s_cbranch_execnz .LBB67_95
; %bb.96:
	s_or_b64 exec, exec, s[6:7]
.LBB67_97:
	s_or_b64 exec, exec, s[4:5]
.LBB67_98:
	s_or_b64 exec, exec, s[2:3]
	s_cmpk_lt_u32 s33, 0x81
	s_waitcnt vmcnt(0)
	s_barrier
	ds_write_b32 v7, v3
	s_waitcnt lgkmcnt(0)
	s_barrier
	s_cbranch_scc1 .LBB67_100
; %bb.99:
	ds_read_b32 v4, v7 offset:512
	s_waitcnt lgkmcnt(0)
	s_barrier
	v_add_f32_e32 v3, v3, v4
	ds_write_b32 v7, v3
.LBB67_100:
	s_cmpk_lt_u32 s33, 0x41
	s_waitcnt lgkmcnt(0)
	s_barrier
	s_cbranch_scc1 .LBB67_102
; %bb.101:
	ds_read_b32 v4, v7 offset:256
	s_waitcnt lgkmcnt(0)
	s_barrier
	v_add_f32_e32 v3, v3, v4
	ds_write_b32 v7, v3
.LBB67_102:
	s_cmp_lt_u32 s33, 33
	s_waitcnt lgkmcnt(0)
	s_barrier
	s_cbranch_scc1 .LBB67_104
; %bb.103:
	ds_read_b32 v4, v7 offset:128
	s_waitcnt lgkmcnt(0)
	s_barrier
	v_add_f32_e32 v3, v3, v4
	ds_write_b32 v7, v3
.LBB67_104:
	s_cmp_lt_u32 s33, 17
	;; [unrolled: 11-line block ×4, first 2 shown]
	s_waitcnt lgkmcnt(0)
	s_barrier
	s_cbranch_scc1 .LBB67_110
; %bb.109:
	ds_read_b32 v4, v7 offset:16
	s_waitcnt lgkmcnt(0)
	s_barrier
	v_add_f32_e32 v3, v3, v4
	ds_write_b32 v7, v3
.LBB67_110:
	s_cmp_eq_u32 s33, 2
	s_waitcnt lgkmcnt(0)
	s_barrier
	s_cbranch_scc1 .LBB67_112
; %bb.111:
	ds_read_b32 v4, v7 offset:8
	s_waitcnt lgkmcnt(0)
	s_barrier
	v_add_f32_e32 v3, v3, v4
	ds_write_b32 v7, v3
.LBB67_112:
	s_waitcnt lgkmcnt(0)
	s_barrier
	ds_read_b32 v4, v7 offset:4
	v_cmp_eq_u32_e64 s[0:1], 0, v0
	s_xor_b64 s[2:3], vcc, -1
	s_and_b64 s[0:1], s[0:1], s[2:3]
	s_waitcnt lgkmcnt(0)
	v_add_f32_e32 v3, v3, v4
	s_barrier
	ds_write_b32 v7, v3
	s_and_saveexec_b64 s[2:3], s[0:1]
	s_cbranch_execz .LBB67_116
; %bb.113:
	v_cmp_eq_f32_e64 s[0:1], s34, 0
	v_lshlrev_b64 v[0:1], 2, v[1:2]
	s_and_b64 vcc, exec, s[0:1]
	s_cbranch_vccnz .LBB67_115
; %bb.114:
	v_mov_b32_e32 v2, s41
	v_add_co_u32_e32 v4, vcc, s40, v0
	v_addc_co_u32_e32 v5, vcc, v2, v1, vcc
	global_load_dword v2, v[4:5], off
	s_waitcnt vmcnt(0)
	v_fmac_f32_e32 v3, s34, v2
.LBB67_115:
	v_mov_b32_e32 v2, s41
	v_add_co_u32_e32 v0, vcc, s40, v0
	v_addc_co_u32_e32 v1, vcc, v2, v1, vcc
	global_store_dword v[0:1], v3, off
.LBB67_116:
	s_endpgm
	.section	.rodata,"a",@progbits
	.p2align	6, 0x0
	.amdhsa_kernel _ZN9rocsparseL22csrmvn_adaptive_kernelIliDF16_DF16_ffEEvbT_PKS1_PjPKT0_NS_24const_host_device_scalarIT4_EES3_S7_PKT1_PKT2_SA_PT3_21rocsparse_index_base_b
		.amdhsa_group_segment_fixed_size 4096
		.amdhsa_private_segment_fixed_size 0
		.amdhsa_kernarg_size 104
		.amdhsa_user_sgpr_count 6
		.amdhsa_user_sgpr_private_segment_buffer 1
		.amdhsa_user_sgpr_dispatch_ptr 0
		.amdhsa_user_sgpr_queue_ptr 0
		.amdhsa_user_sgpr_kernarg_segment_ptr 1
		.amdhsa_user_sgpr_dispatch_id 0
		.amdhsa_user_sgpr_flat_scratch_init 0
		.amdhsa_user_sgpr_private_segment_size 0
		.amdhsa_uses_dynamic_stack 0
		.amdhsa_system_sgpr_private_segment_wavefront_offset 0
		.amdhsa_system_sgpr_workgroup_id_x 1
		.amdhsa_system_sgpr_workgroup_id_y 0
		.amdhsa_system_sgpr_workgroup_id_z 0
		.amdhsa_system_sgpr_workgroup_info 0
		.amdhsa_system_vgpr_workitem_id 0
		.amdhsa_next_free_vgpr 18
		.amdhsa_next_free_sgpr 60
		.amdhsa_reserve_vcc 1
		.amdhsa_reserve_flat_scratch 0
		.amdhsa_float_round_mode_32 0
		.amdhsa_float_round_mode_16_64 0
		.amdhsa_float_denorm_mode_32 3
		.amdhsa_float_denorm_mode_16_64 3
		.amdhsa_dx10_clamp 1
		.amdhsa_ieee_mode 1
		.amdhsa_fp16_overflow 0
		.amdhsa_exception_fp_ieee_invalid_op 0
		.amdhsa_exception_fp_denorm_src 0
		.amdhsa_exception_fp_ieee_div_zero 0
		.amdhsa_exception_fp_ieee_overflow 0
		.amdhsa_exception_fp_ieee_underflow 0
		.amdhsa_exception_fp_ieee_inexact 0
		.amdhsa_exception_int_div_zero 0
	.end_amdhsa_kernel
	.section	.text._ZN9rocsparseL22csrmvn_adaptive_kernelIliDF16_DF16_ffEEvbT_PKS1_PjPKT0_NS_24const_host_device_scalarIT4_EES3_S7_PKT1_PKT2_SA_PT3_21rocsparse_index_base_b,"axG",@progbits,_ZN9rocsparseL22csrmvn_adaptive_kernelIliDF16_DF16_ffEEvbT_PKS1_PjPKT0_NS_24const_host_device_scalarIT4_EES3_S7_PKT1_PKT2_SA_PT3_21rocsparse_index_base_b,comdat
.Lfunc_end67:
	.size	_ZN9rocsparseL22csrmvn_adaptive_kernelIliDF16_DF16_ffEEvbT_PKS1_PjPKT0_NS_24const_host_device_scalarIT4_EES3_S7_PKT1_PKT2_SA_PT3_21rocsparse_index_base_b, .Lfunc_end67-_ZN9rocsparseL22csrmvn_adaptive_kernelIliDF16_DF16_ffEEvbT_PKS1_PjPKT0_NS_24const_host_device_scalarIT4_EES3_S7_PKT1_PKT2_SA_PT3_21rocsparse_index_base_b
                                        ; -- End function
	.set _ZN9rocsparseL22csrmvn_adaptive_kernelIliDF16_DF16_ffEEvbT_PKS1_PjPKT0_NS_24const_host_device_scalarIT4_EES3_S7_PKT1_PKT2_SA_PT3_21rocsparse_index_base_b.num_vgpr, 18
	.set _ZN9rocsparseL22csrmvn_adaptive_kernelIliDF16_DF16_ffEEvbT_PKS1_PjPKT0_NS_24const_host_device_scalarIT4_EES3_S7_PKT1_PKT2_SA_PT3_21rocsparse_index_base_b.num_agpr, 0
	.set _ZN9rocsparseL22csrmvn_adaptive_kernelIliDF16_DF16_ffEEvbT_PKS1_PjPKT0_NS_24const_host_device_scalarIT4_EES3_S7_PKT1_PKT2_SA_PT3_21rocsparse_index_base_b.numbered_sgpr, 60
	.set _ZN9rocsparseL22csrmvn_adaptive_kernelIliDF16_DF16_ffEEvbT_PKS1_PjPKT0_NS_24const_host_device_scalarIT4_EES3_S7_PKT1_PKT2_SA_PT3_21rocsparse_index_base_b.num_named_barrier, 0
	.set _ZN9rocsparseL22csrmvn_adaptive_kernelIliDF16_DF16_ffEEvbT_PKS1_PjPKT0_NS_24const_host_device_scalarIT4_EES3_S7_PKT1_PKT2_SA_PT3_21rocsparse_index_base_b.private_seg_size, 0
	.set _ZN9rocsparseL22csrmvn_adaptive_kernelIliDF16_DF16_ffEEvbT_PKS1_PjPKT0_NS_24const_host_device_scalarIT4_EES3_S7_PKT1_PKT2_SA_PT3_21rocsparse_index_base_b.uses_vcc, 1
	.set _ZN9rocsparseL22csrmvn_adaptive_kernelIliDF16_DF16_ffEEvbT_PKS1_PjPKT0_NS_24const_host_device_scalarIT4_EES3_S7_PKT1_PKT2_SA_PT3_21rocsparse_index_base_b.uses_flat_scratch, 0
	.set _ZN9rocsparseL22csrmvn_adaptive_kernelIliDF16_DF16_ffEEvbT_PKS1_PjPKT0_NS_24const_host_device_scalarIT4_EES3_S7_PKT1_PKT2_SA_PT3_21rocsparse_index_base_b.has_dyn_sized_stack, 0
	.set _ZN9rocsparseL22csrmvn_adaptive_kernelIliDF16_DF16_ffEEvbT_PKS1_PjPKT0_NS_24const_host_device_scalarIT4_EES3_S7_PKT1_PKT2_SA_PT3_21rocsparse_index_base_b.has_recursion, 0
	.set _ZN9rocsparseL22csrmvn_adaptive_kernelIliDF16_DF16_ffEEvbT_PKS1_PjPKT0_NS_24const_host_device_scalarIT4_EES3_S7_PKT1_PKT2_SA_PT3_21rocsparse_index_base_b.has_indirect_call, 0
	.section	.AMDGPU.csdata,"",@progbits
; Kernel info:
; codeLenInByte = 3952
; TotalNumSgprs: 64
; NumVgprs: 18
; ScratchSize: 0
; MemoryBound: 0
; FloatMode: 240
; IeeeMode: 1
; LDSByteSize: 4096 bytes/workgroup (compile time only)
; SGPRBlocks: 7
; VGPRBlocks: 4
; NumSGPRsForWavesPerEU: 64
; NumVGPRsForWavesPerEU: 18
; Occupancy: 10
; WaveLimiterHint : 1
; COMPUTE_PGM_RSRC2:SCRATCH_EN: 0
; COMPUTE_PGM_RSRC2:USER_SGPR: 6
; COMPUTE_PGM_RSRC2:TRAP_HANDLER: 0
; COMPUTE_PGM_RSRC2:TGID_X_EN: 1
; COMPUTE_PGM_RSRC2:TGID_Y_EN: 0
; COMPUTE_PGM_RSRC2:TGID_Z_EN: 0
; COMPUTE_PGM_RSRC2:TIDIG_COMP_CNT: 0
	.section	.text._ZN9rocsparseL27csrmvn_symm_adaptive_kernelIliDF16_DF16_ffEEvbT_S1_PKS1_NS_24const_host_device_scalarIT4_EES3_PKT0_PKT1_PKT2_S6_PT3_21rocsparse_index_base_b,"axG",@progbits,_ZN9rocsparseL27csrmvn_symm_adaptive_kernelIliDF16_DF16_ffEEvbT_S1_PKS1_NS_24const_host_device_scalarIT4_EES3_PKT0_PKT1_PKT2_S6_PT3_21rocsparse_index_base_b,comdat
	.globl	_ZN9rocsparseL27csrmvn_symm_adaptive_kernelIliDF16_DF16_ffEEvbT_S1_PKS1_NS_24const_host_device_scalarIT4_EES3_PKT0_PKT1_PKT2_S6_PT3_21rocsparse_index_base_b ; -- Begin function _ZN9rocsparseL27csrmvn_symm_adaptive_kernelIliDF16_DF16_ffEEvbT_S1_PKS1_NS_24const_host_device_scalarIT4_EES3_PKT0_PKT1_PKT2_S6_PT3_21rocsparse_index_base_b
	.p2align	8
	.type	_ZN9rocsparseL27csrmvn_symm_adaptive_kernelIliDF16_DF16_ffEEvbT_S1_PKS1_NS_24const_host_device_scalarIT4_EES3_PKT0_PKT1_PKT2_S6_PT3_21rocsparse_index_base_b,@function
_ZN9rocsparseL27csrmvn_symm_adaptive_kernelIliDF16_DF16_ffEEvbT_S1_PKS1_NS_24const_host_device_scalarIT4_EES3_PKT0_PKT1_PKT2_S6_PT3_21rocsparse_index_base_b: ; @_ZN9rocsparseL27csrmvn_symm_adaptive_kernelIliDF16_DF16_ffEEvbT_S1_PKS1_NS_24const_host_device_scalarIT4_EES3_PKT0_PKT1_PKT2_S6_PT3_21rocsparse_index_base_b
; %bb.0:
	s_load_dwordx2 s[30:31], s[4:5], 0x58
	s_load_dwordx2 s[38:39], s[4:5], 0x20
	;; [unrolled: 1-line block ×3, first 2 shown]
	s_waitcnt lgkmcnt(0)
	s_bitcmp1_b32 s31, 0
	s_cselect_b64 s[8:9], -1, 0
	s_xor_b64 s[2:3], s[8:9], -1
	s_and_b64 vcc, exec, s[8:9]
	s_cbranch_vccnz .LBB68_2
; %bb.1:
	s_load_dword s38, s[38:39], 0x0
.LBB68_2:
	s_andn2_b64 vcc, exec, s[2:3]
	s_cbranch_vccnz .LBB68_4
; %bb.3:
	s_load_dword s0, s[0:1], 0x0
.LBB68_4:
	s_waitcnt lgkmcnt(0)
	v_cmp_neq_f32_e64 s[2:3], s38, 0
	v_cmp_neq_f32_e64 s[0:1], s0, 1.0
	s_or_b64 s[0:1], s[2:3], s[0:1]
	s_andn2_b64 vcc, exec, s[0:1]
	s_cbranch_vccnz .LBB68_154
; %bb.5:
	s_load_dwordx2 s[0:1], s[4:5], 0x18
	s_ashr_i32 s7, s6, 31
	s_lshl_b64 s[2:3], s[6:7], 3
	v_lshlrev_b32_e32 v15, 2, v0
	v_mov_b32_e32 v1, 0
	s_waitcnt lgkmcnt(0)
	s_add_u32 s0, s0, s2
	s_addc_u32 s1, s1, s3
	ds_write2st64_b32 v15, v1, v1 offset1:4
	ds_write2st64_b32 v15, v1, v1 offset0:8 offset1:12
	s_waitcnt lgkmcnt(0)
	s_barrier
	s_load_dwordx4 s[24:27], s[0:1], 0x0
	s_load_dwordx8 s[16:23], s[4:5], 0x28
	s_load_dwordx2 s[14:15], s[4:5], 0x50
	s_mov_b64 s[0:1], -1
	s_waitcnt lgkmcnt(0)
	s_sub_u32 s28, s26, s24
	s_subb_u32 s29, s27, s25
	v_cmp_gt_i64_e64 s[2:3], s[28:29], 2
	s_and_b64 vcc, exec, s[2:3]
	s_cbranch_vccnz .LBB68_38
; %bb.6:
	v_mov_b32_e32 v1, s24
	v_mov_b32_e32 v2, s25
	v_cmp_le_i64_e32 vcc, s[26:27], v[1:2]
	v_subrev_co_u32_e64 v9, s[0:1], s30, v0
	v_subb_co_u32_e64 v10, s[0:1], 0, 0, s[0:1]
	s_cbranch_vccnz .LBB68_27
; %bb.7:
	s_movk_i32 s31, 0x100
	v_mov_b32_e32 v1, s26
	v_cmp_gt_u32_e64 s[0:1], s31, v0
	v_cmp_gt_u32_e64 s[2:3], 64, v0
	;; [unrolled: 1-line block ×4, first 2 shown]
	v_cmp_eq_u32_e64 s[10:11], 0, v0
	v_mov_b32_e32 v11, 0
	v_mov_b32_e32 v2, s27
	s_mov_b64 s[34:35], s[24:25]
	s_branch .LBB68_9
.LBB68_8:                               ;   in Loop: Header=BB68_9 Depth=1
	s_or_b64 exec, exec, s[12:13]
	s_add_u32 s34, s34, 1
	s_addc_u32 s35, s35, 0
	v_cmp_ge_i64_e32 vcc, s[34:35], v[1:2]
	s_cbranch_vccnz .LBB68_27
.LBB68_9:                               ; =>This Loop Header: Depth=1
                                        ;     Child Loop BB68_11 Depth 2
                                        ;     Child Loop BB68_26 Depth 2
	s_lshl_b64 s[12:13], s[34:35], 3
	s_add_u32 s12, s16, s12
	s_addc_u32 s13, s17, s13
	s_load_dwordx4 s[40:43], s[12:13], 0x0
	v_mov_b32_e32 v12, 0
	s_waitcnt lgkmcnt(0)
	s_sub_u32 s36, s42, s30
	v_mov_b32_e32 v4, s41
	v_add_co_u32_e32 v3, vcc, s40, v9
	s_subb_u32 s37, s43, 0
	v_addc_co_u32_e32 v4, vcc, v4, v10, vcc
	v_cmp_gt_i64_e32 vcc, s[36:37], v[3:4]
	s_and_saveexec_b64 s[40:41], vcc
	s_cbranch_execz .LBB68_13
; %bb.10:                               ;   in Loop: Header=BB68_9 Depth=1
	v_lshlrev_b64 v[5:6], 2, v[3:4]
	v_mov_b32_e32 v7, s19
	v_add_co_u32_e32 v5, vcc, s18, v5
	v_addc_co_u32_e32 v6, vcc, v7, v6, vcc
	v_lshlrev_b64 v[7:8], 1, v[3:4]
	v_mov_b32_e32 v12, s21
	v_add_co_u32_e32 v7, vcc, s20, v7
	v_addc_co_u32_e32 v8, vcc, v12, v8, vcc
	v_mov_b32_e32 v12, 0
	s_mov_b64 s[42:43], 0
.LBB68_11:                              ;   Parent Loop BB68_9 Depth=1
                                        ; =>  This Inner Loop Header: Depth=2
	global_load_dword v13, v[5:6], off
	global_load_ushort v16, v[7:8], off
	v_mov_b32_e32 v17, s23
	s_waitcnt vmcnt(1)
	v_subrev_u32_e32 v13, s30, v13
	v_ashrrev_i32_e32 v14, 31, v13
	v_lshlrev_b64 v[13:14], 1, v[13:14]
	v_add_co_u32_e32 v13, vcc, s22, v13
	v_addc_co_u32_e32 v14, vcc, v17, v14, vcc
	global_load_ushort v13, v[13:14], off
	v_add_co_u32_e32 v3, vcc, s31, v3
	v_addc_co_u32_e32 v4, vcc, 0, v4, vcc
	v_add_co_u32_e32 v5, vcc, 0x400, v5
	v_addc_co_u32_e32 v6, vcc, 0, v6, vcc
	v_cmp_le_i64_e64 s[12:13], s[36:37], v[3:4]
	v_add_co_u32_e32 v7, vcc, 0x200, v7
	v_addc_co_u32_e32 v8, vcc, 0, v8, vcc
	s_or_b64 s[42:43], s[12:13], s[42:43]
	s_waitcnt vmcnt(0)
	v_fma_mix_f32 v12, v16, v13, v12 op_sel_hi:[1,1,0]
	s_andn2_b64 exec, exec, s[42:43]
	s_cbranch_execnz .LBB68_11
; %bb.12:                               ;   in Loop: Header=BB68_9 Depth=1
	s_or_b64 exec, exec, s[42:43]
.LBB68_13:                              ;   in Loop: Header=BB68_9 Depth=1
	s_or_b64 exec, exec, s[40:41]
	ds_write_b32 v15, v12
	s_waitcnt lgkmcnt(0)
	s_barrier
	s_and_saveexec_b64 s[12:13], s[0:1]
	s_cbranch_execz .LBB68_15
; %bb.14:                               ;   in Loop: Header=BB68_9 Depth=1
	ds_read2st64_b32 v[3:4], v15 offset1:4
	ds_read2st64_b32 v[5:6], v15 offset0:8 offset1:12
	s_waitcnt lgkmcnt(0)
	v_add_f32_e32 v4, v4, v5
	v_add_f32_e32 v4, v4, v6
	;; [unrolled: 1-line block ×3, first 2 shown]
	ds_write_b32 v15, v3
.LBB68_15:                              ;   in Loop: Header=BB68_9 Depth=1
	s_or_b64 exec, exec, s[12:13]
	s_waitcnt lgkmcnt(0)
	s_barrier
	s_and_saveexec_b64 s[12:13], s[2:3]
	s_cbranch_execz .LBB68_17
; %bb.16:                               ;   in Loop: Header=BB68_9 Depth=1
	ds_read2st64_b32 v[3:4], v15 offset1:1
	ds_read2st64_b32 v[5:6], v15 offset0:2 offset1:3
	s_waitcnt lgkmcnt(0)
	v_add_f32_e32 v4, v4, v5
	v_add_f32_e32 v4, v4, v6
	;; [unrolled: 1-line block ×3, first 2 shown]
	ds_write_b32 v15, v3
.LBB68_17:                              ;   in Loop: Header=BB68_9 Depth=1
	s_or_b64 exec, exec, s[12:13]
	s_waitcnt lgkmcnt(0)
	s_barrier
	s_and_saveexec_b64 s[12:13], s[6:7]
	s_cbranch_execz .LBB68_19
; %bb.18:                               ;   in Loop: Header=BB68_9 Depth=1
	ds_read2_b32 v[3:4], v15 offset1:16
	ds_read2_b32 v[5:6], v15 offset0:32 offset1:48
	s_waitcnt lgkmcnt(0)
	v_add_f32_e32 v4, v4, v5
	v_add_f32_e32 v4, v4, v6
	;; [unrolled: 1-line block ×3, first 2 shown]
	ds_write_b32 v15, v3
.LBB68_19:                              ;   in Loop: Header=BB68_9 Depth=1
	s_or_b64 exec, exec, s[12:13]
	s_waitcnt lgkmcnt(0)
	s_barrier
	s_and_saveexec_b64 s[12:13], s[8:9]
	s_cbranch_execz .LBB68_21
; %bb.20:                               ;   in Loop: Header=BB68_9 Depth=1
	ds_read2_b32 v[3:4], v15 offset1:4
	ds_read2_b32 v[5:6], v15 offset0:8 offset1:12
	s_waitcnt lgkmcnt(0)
	v_add_f32_e32 v4, v4, v5
	v_add_f32_e32 v4, v4, v6
	;; [unrolled: 1-line block ×3, first 2 shown]
	ds_write_b32 v15, v3
.LBB68_21:                              ;   in Loop: Header=BB68_9 Depth=1
	s_or_b64 exec, exec, s[12:13]
	s_waitcnt lgkmcnt(0)
	s_barrier
	s_and_saveexec_b64 s[12:13], s[10:11]
	s_cbranch_execz .LBB68_23
; %bb.22:                               ;   in Loop: Header=BB68_9 Depth=1
	ds_read2_b32 v[3:4], v11 offset0:1 offset1:2
	ds_read_b32 v5, v11 offset:12
	ds_read_b32 v6, v15
	s_waitcnt lgkmcnt(2)
	v_add_f32_e32 v3, v3, v4
	s_waitcnt lgkmcnt(1)
	v_add_f32_e32 v3, v3, v5
	;; [unrolled: 2-line block ×3, first 2 shown]
	ds_write_b32 v15, v3
.LBB68_23:                              ;   in Loop: Header=BB68_9 Depth=1
	s_or_b64 exec, exec, s[12:13]
	s_waitcnt lgkmcnt(0)
	s_barrier
	s_and_saveexec_b64 s[12:13], s[10:11]
	s_cbranch_execz .LBB68_8
; %bb.24:                               ;   in Loop: Header=BB68_9 Depth=1
	s_mov_b64 s[40:41], exec
	v_mbcnt_lo_u32_b32 v3, s40, 0
	v_mbcnt_hi_u32_b32 v3, s41, v3
	v_cmp_eq_u32_e32 vcc, 0, v3
	s_and_b64 s[36:37], exec, vcc
	s_mov_b64 exec, s[36:37]
	s_cbranch_execz .LBB68_8
; %bb.25:                               ;   in Loop: Header=BB68_9 Depth=1
	s_lshl_b64 s[36:37], s[34:35], 2
	s_add_u32 s36, s14, s36
	s_addc_u32 s37, s15, s37
	global_load_dword v4, v11, s[36:37]
	ds_read_b32 v3, v11
	s_bcnt1_i32_b64 s33, s[40:41]
	v_cvt_f32_ubyte0_e32 v5, s33
	s_mov_b64 s[40:41], 0
	s_waitcnt lgkmcnt(0)
	v_mul_f32_e32 v3, s38, v3
	v_mul_f32_e32 v5, v3, v5
.LBB68_26:                              ;   Parent Loop BB68_9 Depth=1
                                        ; =>  This Inner Loop Header: Depth=2
	s_waitcnt vmcnt(0)
	v_add_f32_e32 v3, v4, v5
	global_atomic_cmpswap v3, v11, v[3:4], s[36:37] glc
	s_waitcnt vmcnt(0)
	v_cmp_eq_u32_e32 vcc, v3, v4
	s_or_b64 s[40:41], vcc, s[40:41]
	v_mov_b32_e32 v4, v3
	s_andn2_b64 exec, exec, s[40:41]
	s_cbranch_execnz .LBB68_26
	s_branch .LBB68_8
.LBB68_27:
	s_lshl_b64 s[0:1], s[24:25], 3
	s_add_u32 s0, s16, s0
	s_addc_u32 s1, s17, s1
	s_lshl_b64 s[2:3], s[26:27], 3
	s_add_u32 s2, s16, s2
	s_addc_u32 s3, s17, s3
	s_load_dwordx2 s[8:9], s[0:1], 0x0
	s_load_dwordx2 s[6:7], s[2:3], 0x0
	s_waitcnt lgkmcnt(0)
	v_mov_b32_e32 v2, s9
	s_sub_u32 s6, s6, s30
	v_add_co_u32_e32 v1, vcc, s8, v9
	s_subb_u32 s7, s7, 0
	v_addc_co_u32_e32 v2, vcc, v2, v10, vcc
	v_cmp_gt_i64_e32 vcc, s[6:7], v[1:2]
	s_and_saveexec_b64 s[8:9], vcc
	s_cbranch_execz .LBB68_37
; %bb.28:
	s_add_u32 s10, s26, -1
	s_addc_u32 s11, s27, -1
	v_mov_b32_e32 v3, s10
	s_add_u32 s0, s26, -2
	v_mov_b32_e32 v4, s11
	s_addc_u32 s1, s27, -1
	v_cmp_lt_i64_e32 vcc, s[24:25], v[3:4]
	s_cmp_lg_u64 s[24:25], s[0:1]
	s_cselect_b64 s[0:1], -1, 0
	s_and_b64 s[0:1], vcc, s[0:1]
	v_cndmask_b32_e64 v3, 0, 1, s[0:1]
	s_mov_b64 s[12:13], 0
	v_cmp_ne_u32_e64 s[0:1], 1, v3
	v_mov_b32_e32 v9, s17
	v_mov_b32_e32 v10, s19
	s_branch .LBB68_30
.LBB68_29:                              ;   in Loop: Header=BB68_30 Depth=1
	s_or_b64 exec, exec, s[2:3]
	v_add_co_u32_e32 v1, vcc, 0x100, v1
	v_addc_co_u32_e32 v2, vcc, 0, v2, vcc
	v_cmp_le_i64_e32 vcc, s[6:7], v[1:2]
	s_or_b64 s[12:13], vcc, s[12:13]
	s_andn2_b64 exec, exec, s[12:13]
	s_cbranch_execz .LBB68_37
.LBB68_30:                              ; =>This Loop Header: Depth=1
                                        ;     Child Loop BB68_32 Depth 2
                                        ;     Child Loop BB68_36 Depth 2
	v_mov_b32_e32 v3, s24
	v_mov_b32_e32 v5, s10
	s_and_b64 vcc, exec, s[0:1]
	v_mov_b32_e32 v4, s25
	v_mov_b32_e32 v6, s11
	s_cbranch_vccnz .LBB68_34
; %bb.31:                               ;   in Loop: Header=BB68_30 Depth=1
	v_mov_b32_e32 v3, s24
	v_mov_b32_e32 v5, s10
	s_mov_b64 s[34:35], 0
	v_mov_b32_e32 v4, s25
	v_mov_b32_e32 v6, s11
.LBB68_32:                              ;   Parent Loop BB68_30 Depth=1
                                        ; =>  This Inner Loop Header: Depth=2
	v_add_co_u32_e32 v7, vcc, v5, v3
	v_addc_co_u32_e32 v8, vcc, v6, v4, vcc
	v_lshrrev_b32_e32 v11, 31, v8
	v_add_co_u32_e32 v7, vcc, v7, v11
	v_addc_co_u32_e32 v8, vcc, 0, v8, vcc
	v_ashrrev_i64 v[7:8], 1, v[7:8]
	v_mov_b32_e32 v13, s17
	v_lshlrev_b64 v[11:12], 3, v[7:8]
	v_add_co_u32_e32 v11, vcc, s16, v11
	v_addc_co_u32_e32 v12, vcc, v13, v12, vcc
	global_load_dwordx2 v[11:12], v[11:12], off
	s_waitcnt vmcnt(0)
	v_subrev_co_u32_e32 v11, vcc, s30, v11
	v_subbrev_co_u32_e32 v12, vcc, 0, v12, vcc
	v_cmp_lt_i64_e32 vcc, v[1:2], v[11:12]
	v_cndmask_b32_e32 v5, v5, v7, vcc
	v_cndmask_b32_e32 v6, v6, v8, vcc
	;; [unrolled: 1-line block ×3, first 2 shown]
	v_add_co_u32_e64 v7, s[2:3], -1, v5
	v_cndmask_b32_e32 v4, v8, v4, vcc
	v_addc_co_u32_e64 v8, s[2:3], -1, v6, s[2:3]
	v_cmp_ge_i64_e32 vcc, v[3:4], v[5:6]
	v_cmp_eq_u64_e64 s[2:3], v[3:4], v[7:8]
	s_or_b64 s[2:3], vcc, s[2:3]
	s_and_b64 s[2:3], exec, s[2:3]
	s_or_b64 s[34:35], s[2:3], s[34:35]
	s_andn2_b64 exec, exec, s[34:35]
	s_cbranch_execnz .LBB68_32
; %bb.33:                               ;   in Loop: Header=BB68_30 Depth=1
	s_or_b64 exec, exec, s[34:35]
.LBB68_34:                              ;   in Loop: Header=BB68_30 Depth=1
	v_lshlrev_b64 v[7:8], 3, v[5:6]
	v_lshlrev_b64 v[11:12], 2, v[1:2]
	v_add_co_u32_e32 v7, vcc, s16, v7
	v_addc_co_u32_e32 v8, vcc, v9, v8, vcc
	global_load_dwordx2 v[7:8], v[7:8], off
	v_add_co_u32_e32 v11, vcc, s18, v11
	v_addc_co_u32_e32 v12, vcc, v10, v12, vcc
	global_load_dword v13, v[11:12], off
	s_waitcnt vmcnt(1)
	v_subrev_co_u32_e32 v11, vcc, s30, v7
	v_subbrev_co_u32_e32 v12, vcc, 0, v8, vcc
	v_cmp_lt_i64_e32 vcc, v[1:2], v[11:12]
	s_waitcnt vmcnt(0)
	v_subrev_u32_e32 v7, s30, v13
	v_cndmask_b32_e32 v4, v6, v4, vcc
	v_cndmask_b32_e32 v3, v5, v3, vcc
	v_ashrrev_i32_e32 v8, 31, v7
	v_cmp_ne_u64_e32 vcc, v[3:4], v[7:8]
	s_and_saveexec_b64 s[2:3], vcc
	s_cbranch_execz .LBB68_29
; %bb.35:                               ;   in Loop: Header=BB68_30 Depth=1
	v_lshlrev_b64 v[5:6], 2, v[7:8]
	v_lshlrev_b64 v[7:8], 1, v[1:2]
	v_mov_b32_e32 v11, s21
	v_add_co_u32_e32 v7, vcc, s20, v7
	v_lshlrev_b64 v[3:4], 1, v[3:4]
	v_addc_co_u32_e32 v8, vcc, v11, v8, vcc
	global_load_ushort v7, v[7:8], off
	v_mov_b32_e32 v8, s23
	v_add_co_u32_e32 v3, vcc, s22, v3
	v_addc_co_u32_e32 v4, vcc, v8, v4, vcc
	global_load_ushort v8, v[3:4], off
	v_mov_b32_e32 v4, s15
	v_add_co_u32_e32 v3, vcc, s14, v5
	v_addc_co_u32_e32 v4, vcc, v4, v6, vcc
	global_load_dword v6, v[3:4], off
	s_mov_b64 s[34:35], 0
	s_waitcnt vmcnt(2)
	v_cvt_f32_f16_e32 v5, v7
	v_mul_f32_e32 v5, s38, v5
	s_waitcnt vmcnt(1)
	v_cvt_f32_f16_e32 v7, v8
	v_mul_f32_e32 v7, v5, v7
.LBB68_36:                              ;   Parent Loop BB68_30 Depth=1
                                        ; =>  This Inner Loop Header: Depth=2
	s_waitcnt vmcnt(0)
	v_add_f32_e32 v5, v6, v7
	global_atomic_cmpswap v5, v[3:4], v[5:6], off glc
	s_waitcnt vmcnt(0)
	v_cmp_eq_u32_e32 vcc, v5, v6
	s_or_b64 s[34:35], vcc, s[34:35]
	v_mov_b32_e32 v6, v5
	s_andn2_b64 exec, exec, s[34:35]
	s_cbranch_execnz .LBB68_36
	s_branch .LBB68_29
.LBB68_37:
	s_or_b64 exec, exec, s[8:9]
	s_mov_b64 s[0:1], 0
.LBB68_38:
	s_and_b64 vcc, exec, s[0:1]
	s_cbranch_vccz .LBB68_154
; %bb.39:
	s_load_dword s0, s[4:5], 0x6c
	v_mov_b32_e32 v1, s28
	s_mov_b32 s13, 0
	v_mov_b32_e32 v2, s29
	s_mov_b64 s[36:37], 0
	s_waitcnt lgkmcnt(0)
	s_and_b32 s12, s0, 0xffff
	v_cmp_lt_u64_e32 vcc, s[12:13], v[1:2]
	s_cbranch_vccnz .LBB68_41
; %bb.40:
	v_cvt_f32_u32_e32 v1, s28
	s_sub_i32 s0, 0, s28
	v_rcp_iflag_f32_e32 v1, v1
	v_mul_f32_e32 v1, 0x4f7ffffe, v1
	v_cvt_u32_f32_e32 v1, v1
	v_readfirstlane_b32 s1, v1
	s_mul_i32 s0, s0, s1
	s_mul_hi_u32 s0, s1, s0
	s_add_i32 s1, s1, s0
	s_mul_hi_u32 s0, s12, s1
	s_mul_i32 s2, s0, s28
	s_sub_i32 s2, s12, s2
	s_add_i32 s1, s0, 1
	s_sub_i32 s3, s2, s28
	s_cmp_ge_u32 s2, s28
	s_cselect_b32 s0, s1, s0
	s_cselect_b32 s2, s3, s2
	s_add_i32 s1, s0, 1
	s_cmp_ge_u32 s2, s28
	s_cselect_b32 s36, s1, s0
.LBB68_41:
	s_lshl_b64 s[0:1], s[24:25], 3
	s_add_u32 s34, s16, s0
	s_addc_u32 s35, s17, s1
	s_load_dwordx2 s[6:7], s[34:35], 0x0
	s_load_dwordx4 s[8:11], s[4:5], 0x8
	v_subrev_co_u32_e32 v1, vcc, s30, v0
	v_subb_co_u32_e64 v3, s[0:1], 0, 0, vcc
	s_waitcnt lgkmcnt(0)
	v_mov_b32_e32 v4, s7
	v_add_co_u32_e32 v2, vcc, s6, v1
	v_addc_co_u32_e32 v3, vcc, v4, v3, vcc
	v_add_co_u32_e32 v4, vcc, 0x300, v2
	v_addc_co_u32_e32 v5, vcc, 0, v3, vcc
	v_cmp_le_i64_e64 s[0:1], s[8:9], v[4:5]
	v_mov_b32_e32 v1, 0
	s_and_saveexec_b64 s[2:3], s[0:1]
	s_xor_b64 s[2:3], exec, s[2:3]
	s_cbranch_execnz .LBB68_44
; %bb.42:
	s_andn2_saveexec_b64 s[2:3], s[2:3]
	s_cbranch_execnz .LBB68_48
.LBB68_43:
	s_or_b64 exec, exec, s[2:3]
	v_cmp_gt_i64_e32 vcc, s[10:11], v[0:1]
	s_and_saveexec_b64 s[2:3], vcc
	s_cbranch_execnz .LBB68_49
	s_branch .LBB68_51
.LBB68_44:
	s_lshl_b64 s[4:5], s[26:27], 3
	s_add_u32 s4, s16, s4
	s_addc_u32 s5, s17, s5
	s_load_dwordx2 s[4:5], s[4:5], 0x0
	s_waitcnt lgkmcnt(0)
	s_sub_u32 s4, s4, s6
	s_subb_u32 s5, s5, s7
	v_cmp_gt_i64_e32 vcc, s[4:5], v[0:1]
	s_and_saveexec_b64 s[8:9], vcc
	s_cbranch_execz .LBB68_47
; %bb.45:
	v_lshlrev_b64 v[6:7], 1, v[2:3]
	v_mov_b32_e32 v8, s21
	v_add_co_u32_e32 v6, vcc, s20, v6
	v_addc_co_u32_e32 v7, vcc, v8, v7, vcc
	v_mov_b32_e32 v9, v1
	s_mov_b64 s[40:41], 0
	v_mov_b32_e32 v10, v15
	v_mov_b32_e32 v8, v0
.LBB68_46:                              ; =>This Inner Loop Header: Depth=1
	global_load_ushort v11, v[6:7], off
	v_add_co_u32_e32 v6, vcc, 0x200, v6
	v_addc_co_u32_e32 v7, vcc, 0, v7, vcc
	v_add_co_u32_e32 v8, vcc, 0x100, v8
	v_addc_co_u32_e32 v9, vcc, 0, v9, vcc
	v_cmp_le_i64_e32 vcc, s[4:5], v[8:9]
	s_or_b64 s[40:41], vcc, s[40:41]
	s_waitcnt vmcnt(0)
	v_cvt_f32_f16_e32 v11, v11
	v_mul_f32_e32 v11, s38, v11
	ds_write_b32 v10, v11
	v_add_u32_e32 v10, 0x400, v10
	s_andn2_b64 exec, exec, s[40:41]
	s_cbranch_execnz .LBB68_46
.LBB68_47:
	s_or_b64 exec, exec, s[8:9]
	s_andn2_saveexec_b64 s[2:3], s[2:3]
	s_cbranch_execz .LBB68_43
.LBB68_48:
	v_lshlrev_b64 v[6:7], 1, v[2:3]
	v_mov_b32_e32 v8, s21
	v_add_co_u32_e32 v6, vcc, s20, v6
	v_addc_co_u32_e32 v7, vcc, v8, v7, vcc
	global_load_ushort v8, v[6:7], off
	global_load_ushort v9, v[6:7], off offset:512
	global_load_ushort v10, v[6:7], off offset:1024
	;; [unrolled: 1-line block ×3, first 2 shown]
	s_waitcnt vmcnt(3)
	v_cvt_f32_f16_e32 v6, v8
	s_waitcnt vmcnt(2)
	v_cvt_f32_f16_e32 v7, v9
	;; [unrolled: 2-line block ×4, first 2 shown]
	v_mul_f32_e32 v6, s38, v6
	v_mul_f32_e32 v7, s38, v7
	;; [unrolled: 1-line block ×4, first 2 shown]
	ds_write2st64_b32 v15, v6, v7 offset1:4
	ds_write2st64_b32 v15, v8, v9 offset0:8 offset1:12
	s_or_b64 exec, exec, s[2:3]
	v_cmp_gt_i64_e32 vcc, s[10:11], v[0:1]
	s_and_saveexec_b64 s[2:3], vcc
	s_cbranch_execz .LBB68_51
.LBB68_49:
	v_mov_b32_e32 v6, 0x1000
	v_lshl_add_u32 v8, v0, 2, v6
	v_mov_b32_e32 v7, v1
	s_mov_b64 s[4:5], 0
	v_mov_b32_e32 v9, 0
	v_mov_b32_e32 v6, v0
.LBB68_50:                              ; =>This Inner Loop Header: Depth=1
	v_add_co_u32_e32 v6, vcc, 0x100, v6
	v_addc_co_u32_e32 v7, vcc, 0, v7, vcc
	v_cmp_le_i64_e32 vcc, s[10:11], v[6:7]
	ds_write_b32 v8, v9
	s_or_b64 s[4:5], vcc, s[4:5]
	v_add_u32_e32 v8, 0x400, v8
	s_andn2_b64 exec, exec, s[4:5]
	s_cbranch_execnz .LBB68_50
.LBB68_51:
	s_or_b64 exec, exec, s[2:3]
	v_mov_b32_e32 v6, s10
	v_mov_b32_e32 v7, s11
	s_sub_u32 s4, s26, s10
	v_cmp_ge_i64_e32 vcc, s[26:27], v[6:7]
	s_subb_u32 s5, s27, s11
	s_and_b64 s[2:3], vcc, exec
	s_cselect_b32 s9, s5, 0
	s_cselect_b32 s8, s4, 0
	s_waitcnt lgkmcnt(0)
	s_barrier
	s_and_saveexec_b64 s[2:3], s[0:1]
	s_xor_b64 s[20:21], exec, s[2:3]
	s_cbranch_execz .LBB68_70
; %bb.52:
	s_lshl_b64 s[0:1], s[26:27], 3
	s_add_u32 s0, s16, s0
	s_addc_u32 s1, s17, s1
	s_load_dwordx2 s[0:1], s[0:1], 0x0
	s_waitcnt lgkmcnt(0)
	s_sub_u32 s38, s0, s6
	s_subb_u32 s39, s1, s7
	v_cmp_gt_i64_e32 vcc, s[38:39], v[0:1]
	s_and_saveexec_b64 s[40:41], vcc
	s_cbranch_execz .LBB68_69
; %bb.53:
	s_add_u32 s42, s26, -1
	s_addc_u32 s43, s27, -1
	s_add_u32 s2, s26, -2
	s_addc_u32 s3, s27, -1
	s_cmp_lg_u64 s[24:25], s[2:3]
	s_cselect_b64 s[2:3], -1, 0
	s_sub_u32 s44, s0, s30
	v_cndmask_b32_e64 v4, 0, 1, s[2:3]
	s_subb_u32 s45, s1, 0
	s_mov_b64 s[46:47], 0
	v_cmp_ne_u32_e64 s[0:1], 1, v4
	v_mov_b32_e32 v11, s17
	v_mov_b32_e32 v12, s19
	;; [unrolled: 1-line block ×3, first 2 shown]
	s_mov_b64 s[48:49], 0
	s_branch .LBB68_56
.LBB68_54:                              ;   in Loop: Header=BB68_56 Depth=1
	s_or_b64 exec, exec, s[2:3]
.LBB68_55:                              ;   in Loop: Header=BB68_56 Depth=1
	s_or_b64 exec, exec, s[4:5]
	v_lshlrev_b64 v[4:5], 1, v[4:5]
	v_mov_b32_e32 v6, s23
	v_add_co_u32_e32 v4, vcc, s22, v4
	v_addc_co_u32_e32 v5, vcc, v6, v5, vcc
	global_load_ushort v4, v[4:5], off
	s_add_u32 s48, s48, 0x100
	s_addc_u32 s49, s49, 0
	v_mov_b32_e32 v5, s49
	v_lshlrev_b32_e32 v6, 2, v10
	s_waitcnt vmcnt(0)
	v_cvt_f32_f16_e32 v7, v4
	v_add_co_u32_e32 v4, vcc, s48, v0
	v_addc_co_u32_e32 v5, vcc, 0, v5, vcc
	v_cmp_le_i64_e32 vcc, s[38:39], v[4:5]
	s_waitcnt lgkmcnt(0)
	v_mul_f32_e32 v4, v14, v7
	s_or_b64 s[46:47], vcc, s[46:47]
	ds_write_b32 v6, v4
	s_andn2_b64 exec, exec, s[46:47]
	s_cbranch_execz .LBB68_69
.LBB68_56:                              ; =>This Loop Header: Depth=1
                                        ;     Child Loop BB68_58 Depth 2
                                        ;     Child Loop BB68_65 Depth 2
	v_mov_b32_e32 v4, s49
	v_add_co_u32_e32 v5, vcc, s48, v2
	v_addc_co_u32_e32 v6, vcc, v4, v3, vcc
	v_mov_b32_e32 v7, s24
	v_mov_b32_e32 v9, s42
	s_and_b64 vcc, exec, s[0:1]
	v_mov_b32_e32 v8, s25
	v_mov_b32_e32 v10, s43
	s_cbranch_vccnz .LBB68_60
; %bb.57:                               ;   in Loop: Header=BB68_56 Depth=1
	v_mov_b32_e32 v7, s24
	v_mov_b32_e32 v9, s42
	s_mov_b64 s[4:5], 0
	v_mov_b32_e32 v8, s25
	v_mov_b32_e32 v10, s43
.LBB68_58:                              ;   Parent Loop BB68_56 Depth=1
                                        ; =>  This Inner Loop Header: Depth=2
	v_add_co_u32_e32 v4, vcc, v9, v7
	v_addc_co_u32_e32 v14, vcc, v10, v8, vcc
	v_lshrrev_b32_e32 v16, 31, v14
	v_add_co_u32_e32 v16, vcc, v4, v16
	v_addc_co_u32_e32 v17, vcc, 0, v14, vcc
	v_ashrrev_i64 v[16:17], 1, v[16:17]
	v_mov_b32_e32 v20, s17
	v_lshlrev_b64 v[18:19], 3, v[16:17]
	v_add_co_u32_e32 v18, vcc, s16, v18
	v_addc_co_u32_e32 v19, vcc, v20, v19, vcc
	global_load_dwordx2 v[18:19], v[18:19], off
	s_waitcnt vmcnt(0)
	v_subrev_co_u32_e32 v18, vcc, s30, v18
	v_subbrev_co_u32_e32 v19, vcc, 0, v19, vcc
	v_cmp_lt_i64_e32 vcc, v[5:6], v[18:19]
	v_cndmask_b32_e32 v9, v9, v16, vcc
	v_cndmask_b32_e32 v10, v10, v17, vcc
	;; [unrolled: 1-line block ×3, first 2 shown]
	v_add_co_u32_e64 v16, s[2:3], -1, v9
	v_cndmask_b32_e32 v8, v17, v8, vcc
	v_addc_co_u32_e64 v17, s[2:3], -1, v10, s[2:3]
	v_cmp_ge_i64_e32 vcc, v[7:8], v[9:10]
	v_cmp_eq_u64_e64 s[2:3], v[7:8], v[16:17]
	s_or_b64 s[2:3], vcc, s[2:3]
	s_and_b64 s[2:3], exec, s[2:3]
	s_or_b64 s[4:5], s[2:3], s[4:5]
	s_andn2_b64 exec, exec, s[4:5]
	s_cbranch_execnz .LBB68_58
; %bb.59:                               ;   in Loop: Header=BB68_56 Depth=1
	s_or_b64 exec, exec, s[4:5]
.LBB68_60:                              ;   in Loop: Header=BB68_56 Depth=1
	v_lshlrev_b64 v[16:17], 3, v[9:10]
	v_lshlrev_b64 v[18:19], 2, v[5:6]
	v_add_co_u32_e32 v16, vcc, s16, v16
	v_addc_co_u32_e32 v17, vcc, v11, v17, vcc
	global_load_dwordx2 v[16:17], v[16:17], off
	v_add_co_u32_e32 v18, vcc, s18, v18
	v_addc_co_u32_e32 v19, vcc, v12, v19, vcc
	global_load_dword v4, v[18:19], off
	v_cmp_le_i64_e32 vcc, s[44:45], v[5:6]
                                        ; implicit-def: $vgpr14
	s_waitcnt vmcnt(1)
	v_subrev_co_u32_e64 v16, s[2:3], s30, v16
	v_subbrev_co_u32_e64 v17, s[2:3], 0, v17, s[2:3]
	v_cmp_lt_i64_e64 s[2:3], v[5:6], v[16:17]
	s_waitcnt vmcnt(0)
	v_subrev_u32_e32 v4, s30, v4
	v_cndmask_b32_e64 v8, v10, v8, s[2:3]
	v_ashrrev_i32_e32 v5, 31, v4
	v_cndmask_b32_e64 v7, v9, v7, s[2:3]
	v_cmp_eq_u64_e64 s[2:3], v[7:8], v[4:5]
	v_add_co_u32_e64 v10, s[4:5], s48, v0
	s_or_b64 s[2:3], s[2:3], vcc
	v_lshlrev_b32_e32 v16, 2, v10
	s_and_saveexec_b64 s[4:5], s[2:3]
	s_xor_b64 s[2:3], exec, s[4:5]
; %bb.61:                               ;   in Loop: Header=BB68_56 Depth=1
	ds_read_b32 v14, v16
                                        ; implicit-def: $vgpr16
                                        ; implicit-def: $vgpr7_vgpr8
; %bb.62:                               ;   in Loop: Header=BB68_56 Depth=1
	s_andn2_saveexec_b64 s[4:5], s[2:3]
	s_cbranch_execz .LBB68_55
; %bb.63:                               ;   in Loop: Header=BB68_56 Depth=1
	v_cmp_gt_i64_e32 vcc, s[8:9], v[4:5]
	v_cmp_le_i64_e64 s[2:3], s[26:27], v[4:5]
	v_lshlrev_b64 v[6:7], 1, v[7:8]
	s_or_b64 s[2:3], vcc, s[2:3]
                                        ; implicit-def: $vgpr14
	s_and_saveexec_b64 s[50:51], s[2:3]
	s_xor_b64 s[2:3], exec, s[50:51]
	s_cbranch_execz .LBB68_67
; %bb.64:                               ;   in Loop: Header=BB68_56 Depth=1
	s_waitcnt lgkmcnt(0)
	v_mov_b32_e32 v14, s23
	v_add_co_u32_e32 v6, vcc, s22, v6
	v_addc_co_u32_e32 v7, vcc, v14, v7, vcc
	global_load_ushort v17, v[6:7], off
	v_lshlrev_b64 v[8:9], 2, v[4:5]
	v_mov_b32_e32 v7, s15
	v_add_co_u32_e32 v6, vcc, s14, v8
	v_addc_co_u32_e32 v7, vcc, v7, v9, vcc
	global_load_dword v9, v[6:7], off
	ds_read_b32 v14, v16
	s_mov_b64 s[50:51], 0
	s_waitcnt vmcnt(1)
	v_cvt_f32_f16_e32 v8, v17
	s_waitcnt lgkmcnt(0)
	v_mul_f32_e32 v16, v14, v8
.LBB68_65:                              ;   Parent Loop BB68_56 Depth=1
                                        ; =>  This Inner Loop Header: Depth=2
	s_waitcnt vmcnt(0)
	v_add_f32_e32 v8, v9, v16
	global_atomic_cmpswap v8, v[6:7], v[8:9], off glc
	s_waitcnt vmcnt(0)
	v_cmp_eq_u32_e32 vcc, v8, v9
	s_or_b64 s[50:51], vcc, s[50:51]
	v_mov_b32_e32 v9, v8
	s_andn2_b64 exec, exec, s[50:51]
	s_cbranch_execnz .LBB68_65
; %bb.66:                               ;   in Loop: Header=BB68_56 Depth=1
	s_or_b64 exec, exec, s[50:51]
                                        ; implicit-def: $vgpr16
                                        ; implicit-def: $vgpr6_vgpr7
.LBB68_67:                              ;   in Loop: Header=BB68_56 Depth=1
	s_andn2_saveexec_b64 s[2:3], s[2:3]
	s_cbranch_execz .LBB68_54
; %bb.68:                               ;   in Loop: Header=BB68_56 Depth=1
	v_mov_b32_e32 v8, s23
	v_add_co_u32_e32 v6, vcc, s22, v6
	v_addc_co_u32_e32 v7, vcc, v8, v7, vcc
	global_load_ushort v6, v[6:7], off
	s_waitcnt lgkmcnt(0)
	ds_read_b32 v14, v16
	v_subrev_u32_e32 v7, s8, v4
	v_lshl_add_u32 v7, v7, 2, v13
	s_waitcnt vmcnt(0)
	v_cvt_f32_f16_e32 v6, v6
	s_waitcnt lgkmcnt(0)
	v_mul_f32_e32 v6, v14, v6
	ds_add_f32 v7, v6
	s_branch .LBB68_54
.LBB68_69:
	s_or_b64 exec, exec, s[40:41]
                                        ; implicit-def: $vgpr4_vgpr5
                                        ; implicit-def: $vgpr2
.LBB68_70:
	s_andn2_saveexec_b64 s[4:5], s[20:21]
	s_cbranch_execz .LBB68_120
; %bb.71:
	s_add_u32 s20, s26, -1
	s_addc_u32 s21, s27, -1
	s_add_u32 s0, s26, -2
	s_addc_u32 s1, s27, -1
	s_cmp_lg_u64 s[24:25], s[0:1]
	v_mov_b32_e32 v9, s24
	v_mov_b32_e32 v11, s20
	s_cselect_b64 s[2:3], -1, 0
	s_cmp_eq_u64 s[24:25], s[0:1]
	v_mov_b32_e32 v10, s25
	v_mov_b32_e32 v12, s21
	s_cbranch_scc1 .LBB68_75
; %bb.72:
	v_mov_b32_e32 v9, s24
	v_mov_b32_e32 v11, s20
	s_mov_b64 s[38:39], 0
	v_mov_b32_e32 v10, s25
	v_mov_b32_e32 v12, s21
	v_mov_b32_e32 v6, s17
.LBB68_73:                              ; =>This Inner Loop Header: Depth=1
	v_add_co_u32_e32 v7, vcc, v11, v9
	v_addc_co_u32_e32 v8, vcc, v12, v10, vcc
	v_lshrrev_b32_e32 v13, 31, v8
	v_add_co_u32_e32 v7, vcc, v7, v13
	v_addc_co_u32_e32 v8, vcc, 0, v8, vcc
	v_ashrrev_i64 v[7:8], 1, v[7:8]
	v_lshlrev_b64 v[13:14], 3, v[7:8]
	v_add_co_u32_e32 v13, vcc, s16, v13
	v_addc_co_u32_e32 v14, vcc, v6, v14, vcc
	global_load_dwordx2 v[13:14], v[13:14], off
	s_waitcnt vmcnt(0)
	v_subrev_co_u32_e32 v13, vcc, s30, v13
	v_subbrev_co_u32_e32 v14, vcc, 0, v14, vcc
	v_cmp_lt_i64_e32 vcc, v[2:3], v[13:14]
	v_cndmask_b32_e32 v11, v11, v7, vcc
	v_cndmask_b32_e32 v12, v12, v8, vcc
	;; [unrolled: 1-line block ×3, first 2 shown]
	v_add_co_u32_e64 v7, s[0:1], -1, v11
	v_cndmask_b32_e32 v10, v8, v10, vcc
	v_addc_co_u32_e64 v8, s[0:1], -1, v12, s[0:1]
	v_cmp_ge_i64_e32 vcc, v[9:10], v[11:12]
	v_cmp_eq_u64_e64 s[0:1], v[9:10], v[7:8]
	s_or_b64 s[0:1], vcc, s[0:1]
	s_and_b64 s[0:1], exec, s[0:1]
	s_or_b64 s[38:39], s[0:1], s[38:39]
	s_andn2_b64 exec, exec, s[38:39]
	s_cbranch_execnz .LBB68_73
; %bb.74:
	s_or_b64 exec, exec, s[38:39]
.LBB68_75:
	v_lshlrev_b64 v[6:7], 3, v[11:12]
	v_mov_b32_e32 v8, s17
	v_add_co_u32_e32 v6, vcc, s16, v6
	v_addc_co_u32_e32 v7, vcc, v8, v7, vcc
	global_load_dwordx2 v[13:14], v[6:7], off
	v_lshlrev_b64 v[6:7], 2, v[2:3]
	v_mov_b32_e32 v8, s19
	v_add_co_u32_e32 v6, vcc, s18, v6
	v_addc_co_u32_e32 v7, vcc, v8, v7, vcc
	global_load_dword v8, v[6:7], off
	s_lshl_b64 s[0:1], s[26:27], 3
	s_add_u32 s18, s16, s0
	s_addc_u32 s19, s17, s1
	s_waitcnt vmcnt(1)
	v_subrev_co_u32_e32 v13, vcc, s30, v13
	v_subbrev_co_u32_e32 v14, vcc, 0, v14, vcc
	v_cmp_lt_i64_e32 vcc, v[2:3], v[13:14]
	v_cndmask_b32_e32 v12, v12, v10, vcc
	s_waitcnt vmcnt(0)
	v_subrev_u32_e32 v8, s30, v8
	v_cndmask_b32_e32 v11, v11, v9, vcc
	v_ashrrev_i32_e32 v9, 31, v8
	v_cmp_ne_u64_e32 vcc, v[11:12], v[8:9]
	s_and_saveexec_b64 s[38:39], vcc
	s_cbranch_execz .LBB68_83
; %bb.76:
	s_load_dwordx2 s[0:1], s[18:19], 0x0
	s_waitcnt lgkmcnt(0)
	s_sub_u32 s0, s0, s30
	s_subb_u32 s1, s1, 0
	v_cmp_gt_i64_e32 vcc, s[0:1], v[2:3]
	s_and_b64 exec, exec, vcc
	s_cbranch_execz .LBB68_83
; %bb.77:
	v_cmp_gt_i64_e32 vcc, s[8:9], v[8:9]
	v_cmp_le_i64_e64 s[0:1], s[26:27], v[8:9]
	v_lshlrev_b64 v[10:11], 1, v[11:12]
	s_or_b64 s[0:1], vcc, s[0:1]
	s_and_saveexec_b64 s[40:41], s[0:1]
	s_xor_b64 s[0:1], exec, s[40:41]
	s_cbranch_execz .LBB68_81
; %bb.78:
	v_mov_b32_e32 v14, s23
	v_add_co_u32_e32 v10, vcc, s22, v10
	v_addc_co_u32_e32 v11, vcc, v14, v11, vcc
	global_load_ushort v14, v[10:11], off
	v_lshlrev_b64 v[12:13], 2, v[8:9]
	v_mov_b32_e32 v11, s15
	v_add_co_u32_e32 v10, vcc, s14, v12
	v_addc_co_u32_e32 v11, vcc, v11, v13, vcc
	global_load_dword v13, v[10:11], off
	ds_read_b32 v12, v15
	s_mov_b64 s[40:41], 0
	s_waitcnt vmcnt(1)
	v_cvt_f32_f16_e32 v14, v14
	s_waitcnt lgkmcnt(0)
	v_mul_f32_e32 v14, v12, v14
.LBB68_79:                              ; =>This Inner Loop Header: Depth=1
	s_waitcnt vmcnt(0)
	v_add_f32_e32 v12, v13, v14
	global_atomic_cmpswap v12, v[10:11], v[12:13], off glc
	s_waitcnt vmcnt(0)
	v_cmp_eq_u32_e32 vcc, v12, v13
	s_or_b64 s[40:41], vcc, s[40:41]
	v_mov_b32_e32 v13, v12
	s_andn2_b64 exec, exec, s[40:41]
	s_cbranch_execnz .LBB68_79
; %bb.80:
	s_or_b64 exec, exec, s[40:41]
                                        ; implicit-def: $vgpr10_vgpr11
.LBB68_81:
	s_andn2_saveexec_b64 s[0:1], s[0:1]
	s_cbranch_execz .LBB68_83
; %bb.82:
	v_mov_b32_e32 v12, s23
	v_add_co_u32_e32 v10, vcc, s22, v10
	v_addc_co_u32_e32 v11, vcc, v12, v11, vcc
	global_load_ushort v10, v[10:11], off
	ds_read_b32 v11, v15
	v_subrev_u32_e32 v12, s8, v8
	v_mov_b32_e32 v13, 0x1000
	v_lshl_add_u32 v12, v12, 2, v13
	s_waitcnt vmcnt(0)
	v_cvt_f32_f16_e32 v10, v10
	s_waitcnt lgkmcnt(0)
	v_mul_f32_e32 v10, v11, v10
	ds_add_f32 v12, v10
.LBB68_83:
	s_or_b64 exec, exec, s[38:39]
	v_lshlrev_b64 v[8:9], 1, v[8:9]
	v_mov_b32_e32 v10, s23
	v_add_co_u32_e32 v8, vcc, s22, v8
	v_addc_co_u32_e32 v9, vcc, v10, v9, vcc
	global_load_ushort v9, v[8:9], off
	ds_read_b32 v10, v15
	v_add_co_u32_e32 v8, vcc, 0x100, v2
	v_cndmask_b32_e64 v13, 0, 1, s[2:3]
	v_mov_b32_e32 v11, s24
	v_cmp_ne_u32_e64 s[0:1], 1, v13
	v_mov_b32_e32 v12, s25
	s_waitcnt vmcnt(0)
	v_cvt_f32_f16_e32 v14, v9
	v_addc_co_u32_e32 v9, vcc, 0, v3, vcc
	s_andn2_b64 vcc, exec, s[2:3]
	s_waitcnt lgkmcnt(0)
	v_mul_f32_e32 v10, v10, v14
	v_mov_b32_e32 v13, s20
	v_mov_b32_e32 v14, s21
	ds_write_b32 v15, v10
	s_cbranch_vccnz .LBB68_87
; %bb.84:
	v_mov_b32_e32 v11, s24
	v_mov_b32_e32 v13, s20
	s_mov_b64 s[38:39], 0
	v_mov_b32_e32 v12, s25
	v_mov_b32_e32 v14, s21
	;; [unrolled: 1-line block ×3, first 2 shown]
.LBB68_85:                              ; =>This Inner Loop Header: Depth=1
	v_add_co_u32_e32 v16, vcc, v13, v11
	v_addc_co_u32_e32 v17, vcc, v14, v12, vcc
	v_lshrrev_b32_e32 v18, 31, v17
	v_add_co_u32_e32 v16, vcc, v16, v18
	v_addc_co_u32_e32 v17, vcc, 0, v17, vcc
	v_ashrrev_i64 v[16:17], 1, v[16:17]
	v_lshlrev_b64 v[18:19], 3, v[16:17]
	v_add_co_u32_e32 v18, vcc, s16, v18
	v_addc_co_u32_e32 v19, vcc, v10, v19, vcc
	global_load_dwordx2 v[18:19], v[18:19], off
	s_waitcnt vmcnt(0)
	v_subrev_co_u32_e32 v18, vcc, s30, v18
	v_subbrev_co_u32_e32 v19, vcc, 0, v19, vcc
	v_cmp_lt_i64_e32 vcc, v[8:9], v[18:19]
	v_cndmask_b32_e32 v13, v13, v16, vcc
	v_cndmask_b32_e32 v14, v14, v17, vcc
	;; [unrolled: 1-line block ×3, first 2 shown]
	v_add_co_u32_e64 v16, s[2:3], -1, v13
	v_cndmask_b32_e32 v12, v17, v12, vcc
	v_addc_co_u32_e64 v17, s[2:3], -1, v14, s[2:3]
	v_cmp_ge_i64_e32 vcc, v[11:12], v[13:14]
	v_cmp_eq_u64_e64 s[2:3], v[11:12], v[16:17]
	s_or_b64 s[2:3], vcc, s[2:3]
	s_and_b64 s[2:3], exec, s[2:3]
	s_or_b64 s[38:39], s[2:3], s[38:39]
	s_andn2_b64 exec, exec, s[38:39]
	s_cbranch_execnz .LBB68_85
; %bb.86:
	s_or_b64 exec, exec, s[38:39]
.LBB68_87:
	v_lshlrev_b64 v[16:17], 3, v[13:14]
	v_mov_b32_e32 v10, s17
	v_add_co_u32_e32 v16, vcc, s16, v16
	v_addc_co_u32_e32 v17, vcc, v10, v17, vcc
	global_load_dwordx2 v[16:17], v[16:17], off
	s_waitcnt vmcnt(0)
	v_subrev_co_u32_e32 v16, vcc, s30, v16
	global_load_dword v18, v[6:7], off offset:1024
	v_subbrev_co_u32_e32 v17, vcc, 0, v17, vcc
	v_cmp_lt_i64_e32 vcc, v[8:9], v[16:17]
	v_cndmask_b32_e32 v14, v14, v12, vcc
	v_cndmask_b32_e32 v13, v13, v11, vcc
	s_waitcnt vmcnt(0)
	v_subrev_u32_e32 v10, s30, v18
	v_ashrrev_i32_e32 v11, 31, v10
	v_cmp_ne_u64_e32 vcc, v[13:14], v[10:11]
	s_and_saveexec_b64 s[38:39], vcc
	s_cbranch_execz .LBB68_95
; %bb.88:
	s_load_dwordx2 s[2:3], s[18:19], 0x0
	s_waitcnt lgkmcnt(0)
	s_sub_u32 s2, s2, s30
	s_subb_u32 s3, s3, 0
	v_cmp_gt_i64_e32 vcc, s[2:3], v[8:9]
	s_and_b64 exec, exec, vcc
	s_cbranch_execz .LBB68_95
; %bb.89:
	v_cmp_gt_i64_e32 vcc, s[8:9], v[10:11]
	v_cmp_le_i64_e64 s[2:3], s[26:27], v[10:11]
	v_lshlrev_b64 v[8:9], 1, v[13:14]
	s_or_b64 s[2:3], vcc, s[2:3]
	s_and_saveexec_b64 s[40:41], s[2:3]
	s_xor_b64 s[2:3], exec, s[40:41]
	s_cbranch_execz .LBB68_93
; %bb.90:
	v_mov_b32_e32 v14, s23
	v_add_co_u32_e32 v8, vcc, s22, v8
	v_addc_co_u32_e32 v9, vcc, v14, v9, vcc
	global_load_ushort v14, v[8:9], off
	v_lshlrev_b64 v[12:13], 2, v[10:11]
	v_mov_b32_e32 v9, s15
	v_add_co_u32_e32 v8, vcc, s14, v12
	v_addc_co_u32_e32 v9, vcc, v9, v13, vcc
	global_load_dword v13, v[8:9], off
	ds_read_b32 v12, v15 offset:1024
	s_mov_b64 s[40:41], 0
	s_waitcnt vmcnt(1)
	v_cvt_f32_f16_e32 v14, v14
	s_waitcnt lgkmcnt(0)
	v_mul_f32_e32 v14, v12, v14
.LBB68_91:                              ; =>This Inner Loop Header: Depth=1
	s_waitcnt vmcnt(0)
	v_add_f32_e32 v12, v13, v14
	global_atomic_cmpswap v12, v[8:9], v[12:13], off glc
	s_waitcnt vmcnt(0)
	v_cmp_eq_u32_e32 vcc, v12, v13
	s_or_b64 s[40:41], vcc, s[40:41]
	v_mov_b32_e32 v13, v12
	s_andn2_b64 exec, exec, s[40:41]
	s_cbranch_execnz .LBB68_91
; %bb.92:
	s_or_b64 exec, exec, s[40:41]
                                        ; implicit-def: $vgpr8_vgpr9
.LBB68_93:
	s_andn2_saveexec_b64 s[2:3], s[2:3]
	s_cbranch_execz .LBB68_95
; %bb.94:
	v_mov_b32_e32 v12, s23
	v_add_co_u32_e32 v8, vcc, s22, v8
	v_addc_co_u32_e32 v9, vcc, v12, v9, vcc
	global_load_ushort v8, v[8:9], off
	ds_read_b32 v9, v15 offset:1024
	v_subrev_u32_e32 v12, s8, v10
	v_mov_b32_e32 v13, 0x1000
	v_lshl_add_u32 v12, v12, 2, v13
	s_waitcnt vmcnt(0)
	v_cvt_f32_f16_e32 v8, v8
	s_waitcnt lgkmcnt(0)
	v_mul_f32_e32 v8, v9, v8
	ds_add_f32 v12, v8
.LBB68_95:
	s_or_b64 exec, exec, s[38:39]
	v_lshlrev_b64 v[8:9], 1, v[10:11]
	v_mov_b32_e32 v10, s23
	v_add_co_u32_e32 v8, vcc, s22, v8
	v_addc_co_u32_e32 v9, vcc, v10, v9, vcc
	global_load_ushort v8, v[8:9], off
	ds_read_b32 v11, v15 offset:1024
	v_add_co_u32_e32 v2, vcc, 0x200, v2
	v_mov_b32_e32 v9, s24
	v_addc_co_u32_e32 v3, vcc, 0, v3, vcc
	v_mov_b32_e32 v10, s25
	s_and_b64 vcc, exec, s[0:1]
	s_waitcnt vmcnt(0)
	v_cvt_f32_f16_e32 v8, v8
	s_waitcnt lgkmcnt(0)
	v_mul_f32_e32 v8, v11, v8
	v_mov_b32_e32 v11, s20
	v_mov_b32_e32 v12, s21
	ds_write_b32 v15, v8 offset:1024
	s_cbranch_vccnz .LBB68_99
; %bb.96:
	v_mov_b32_e32 v9, s24
	v_mov_b32_e32 v11, s20
	s_mov_b64 s[38:39], 0
	v_mov_b32_e32 v10, s25
	v_mov_b32_e32 v12, s21
	;; [unrolled: 1-line block ×3, first 2 shown]
.LBB68_97:                              ; =>This Inner Loop Header: Depth=1
	v_add_co_u32_e32 v13, vcc, v11, v9
	v_addc_co_u32_e32 v14, vcc, v12, v10, vcc
	v_lshrrev_b32_e32 v16, 31, v14
	v_add_co_u32_e32 v13, vcc, v13, v16
	v_addc_co_u32_e32 v14, vcc, 0, v14, vcc
	v_ashrrev_i64 v[13:14], 1, v[13:14]
	v_lshlrev_b64 v[16:17], 3, v[13:14]
	v_add_co_u32_e32 v16, vcc, s16, v16
	v_addc_co_u32_e32 v17, vcc, v8, v17, vcc
	global_load_dwordx2 v[16:17], v[16:17], off
	s_waitcnt vmcnt(0)
	v_subrev_co_u32_e32 v16, vcc, s30, v16
	v_subbrev_co_u32_e32 v17, vcc, 0, v17, vcc
	v_cmp_lt_i64_e32 vcc, v[2:3], v[16:17]
	v_cndmask_b32_e32 v11, v11, v13, vcc
	v_cndmask_b32_e32 v12, v12, v14, vcc
	;; [unrolled: 1-line block ×3, first 2 shown]
	v_add_co_u32_e64 v13, s[2:3], -1, v11
	v_cndmask_b32_e32 v10, v14, v10, vcc
	v_addc_co_u32_e64 v14, s[2:3], -1, v12, s[2:3]
	v_cmp_ge_i64_e32 vcc, v[9:10], v[11:12]
	v_cmp_eq_u64_e64 s[2:3], v[9:10], v[13:14]
	s_or_b64 s[2:3], vcc, s[2:3]
	s_and_b64 s[2:3], exec, s[2:3]
	s_or_b64 s[38:39], s[2:3], s[38:39]
	s_andn2_b64 exec, exec, s[38:39]
	s_cbranch_execnz .LBB68_97
; %bb.98:
	s_or_b64 exec, exec, s[38:39]
.LBB68_99:
	v_lshlrev_b64 v[13:14], 3, v[11:12]
	v_mov_b32_e32 v8, s17
	v_add_co_u32_e32 v13, vcc, s16, v13
	v_addc_co_u32_e32 v14, vcc, v8, v14, vcc
	global_load_dwordx2 v[13:14], v[13:14], off
	s_waitcnt vmcnt(0)
	v_subrev_co_u32_e32 v13, vcc, s30, v13
	global_load_dword v16, v[6:7], off offset:2048
	v_subbrev_co_u32_e32 v14, vcc, 0, v14, vcc
	v_cmp_lt_i64_e32 vcc, v[2:3], v[13:14]
	v_cndmask_b32_e32 v12, v12, v10, vcc
	v_cndmask_b32_e32 v11, v11, v9, vcc
	s_waitcnt vmcnt(0)
	v_subrev_u32_e32 v8, s30, v16
	v_ashrrev_i32_e32 v9, 31, v8
	v_cmp_ne_u64_e32 vcc, v[11:12], v[8:9]
	s_and_saveexec_b64 s[38:39], vcc
	s_cbranch_execz .LBB68_107
; %bb.100:
	s_load_dwordx2 s[2:3], s[18:19], 0x0
	s_waitcnt lgkmcnt(0)
	s_sub_u32 s2, s2, s30
	s_subb_u32 s3, s3, 0
	v_cmp_gt_i64_e32 vcc, s[2:3], v[2:3]
	s_and_b64 exec, exec, vcc
	s_cbranch_execz .LBB68_107
; %bb.101:
	v_cmp_gt_i64_e32 vcc, s[8:9], v[8:9]
	v_cmp_le_i64_e64 s[2:3], s[26:27], v[8:9]
	v_lshlrev_b64 v[2:3], 1, v[11:12]
	s_or_b64 s[2:3], vcc, s[2:3]
	s_and_saveexec_b64 s[40:41], s[2:3]
	s_xor_b64 s[2:3], exec, s[40:41]
	s_cbranch_execz .LBB68_105
; %bb.102:
	v_mov_b32_e32 v12, s23
	v_add_co_u32_e32 v2, vcc, s22, v2
	v_addc_co_u32_e32 v3, vcc, v12, v3, vcc
	global_load_ushort v12, v[2:3], off
	v_lshlrev_b64 v[10:11], 2, v[8:9]
	v_mov_b32_e32 v3, s15
	v_add_co_u32_e32 v2, vcc, s14, v10
	v_addc_co_u32_e32 v3, vcc, v3, v11, vcc
	global_load_dword v11, v[2:3], off
	ds_read_b32 v10, v15 offset:2048
	s_mov_b64 s[40:41], 0
	s_waitcnt vmcnt(1)
	v_cvt_f32_f16_e32 v12, v12
	s_waitcnt lgkmcnt(0)
	v_mul_f32_e32 v12, v10, v12
.LBB68_103:                             ; =>This Inner Loop Header: Depth=1
	s_waitcnt vmcnt(0)
	v_add_f32_e32 v10, v11, v12
	global_atomic_cmpswap v10, v[2:3], v[10:11], off glc
	s_waitcnt vmcnt(0)
	v_cmp_eq_u32_e32 vcc, v10, v11
	s_or_b64 s[40:41], vcc, s[40:41]
	v_mov_b32_e32 v11, v10
	s_andn2_b64 exec, exec, s[40:41]
	s_cbranch_execnz .LBB68_103
; %bb.104:
	s_or_b64 exec, exec, s[40:41]
                                        ; implicit-def: $vgpr2_vgpr3
.LBB68_105:
	s_andn2_saveexec_b64 s[2:3], s[2:3]
	s_cbranch_execz .LBB68_107
; %bb.106:
	v_mov_b32_e32 v10, s23
	v_add_co_u32_e32 v2, vcc, s22, v2
	v_addc_co_u32_e32 v3, vcc, v10, v3, vcc
	global_load_ushort v2, v[2:3], off
	ds_read_b32 v3, v15 offset:2048
	v_subrev_u32_e32 v10, s8, v8
	v_mov_b32_e32 v11, 0x1000
	v_lshl_add_u32 v10, v10, 2, v11
	s_waitcnt vmcnt(0)
	v_cvt_f32_f16_e32 v2, v2
	s_waitcnt lgkmcnt(0)
	v_mul_f32_e32 v2, v3, v2
	ds_add_f32 v10, v2
.LBB68_107:
	s_or_b64 exec, exec, s[38:39]
	v_lshlrev_b64 v[2:3], 1, v[8:9]
	v_mov_b32_e32 v8, s23
	v_add_co_u32_e32 v2, vcc, s22, v2
	v_addc_co_u32_e32 v3, vcc, v8, v3, vcc
	global_load_ushort v2, v[2:3], off
	ds_read_b32 v3, v15 offset:2048
	v_mov_b32_e32 v8, s24
	v_mov_b32_e32 v10, s20
	s_and_b64 vcc, exec, s[0:1]
	v_mov_b32_e32 v9, s25
	v_mov_b32_e32 v11, s21
	s_waitcnt vmcnt(0)
	v_cvt_f32_f16_e32 v2, v2
	s_waitcnt lgkmcnt(0)
	v_mul_f32_e32 v2, v3, v2
	ds_write_b32 v15, v2 offset:2048
	s_cbranch_vccnz .LBB68_111
; %bb.108:
	v_mov_b32_e32 v8, s24
	v_mov_b32_e32 v10, s20
	s_mov_b64 s[2:3], 0
	v_mov_b32_e32 v9, s25
	v_mov_b32_e32 v11, s21
	;; [unrolled: 1-line block ×3, first 2 shown]
.LBB68_109:                             ; =>This Inner Loop Header: Depth=1
	v_add_co_u32_e32 v3, vcc, v10, v8
	v_addc_co_u32_e32 v13, vcc, v11, v9, vcc
	v_lshrrev_b32_e32 v12, 31, v13
	v_add_co_u32_e32 v12, vcc, v3, v12
	v_addc_co_u32_e32 v13, vcc, 0, v13, vcc
	v_ashrrev_i64 v[12:13], 1, v[12:13]
	v_lshlrev_b64 v[16:17], 3, v[12:13]
	v_add_co_u32_e32 v16, vcc, s16, v16
	v_addc_co_u32_e32 v17, vcc, v2, v17, vcc
	global_load_dwordx2 v[16:17], v[16:17], off
	s_waitcnt vmcnt(0)
	v_subrev_co_u32_e32 v16, vcc, s30, v16
	v_subbrev_co_u32_e32 v17, vcc, 0, v17, vcc
	v_cmp_lt_i64_e32 vcc, v[4:5], v[16:17]
	v_cndmask_b32_e32 v10, v10, v12, vcc
	v_cndmask_b32_e32 v11, v11, v13, vcc
	;; [unrolled: 1-line block ×3, first 2 shown]
	v_add_co_u32_e64 v12, s[0:1], -1, v10
	v_cndmask_b32_e32 v9, v13, v9, vcc
	v_addc_co_u32_e64 v13, s[0:1], -1, v11, s[0:1]
	v_cmp_ge_i64_e32 vcc, v[8:9], v[10:11]
	v_cmp_eq_u64_e64 s[0:1], v[8:9], v[12:13]
	s_or_b64 s[0:1], vcc, s[0:1]
	s_and_b64 s[0:1], exec, s[0:1]
	s_or_b64 s[2:3], s[0:1], s[2:3]
	s_andn2_b64 exec, exec, s[2:3]
	s_cbranch_execnz .LBB68_109
; %bb.110:
	s_or_b64 exec, exec, s[2:3]
.LBB68_111:
	v_lshlrev_b64 v[2:3], 3, v[10:11]
	v_mov_b32_e32 v12, s17
	v_add_co_u32_e32 v2, vcc, s16, v2
	v_addc_co_u32_e32 v3, vcc, v12, v3, vcc
	global_load_dword v13, v[6:7], off offset:3072
	s_nop 0
	global_load_dwordx2 v[6:7], v[2:3], off
	s_waitcnt vmcnt(1)
	v_subrev_u32_e32 v2, s30, v13
	v_ashrrev_i32_e32 v3, 31, v2
	s_waitcnt vmcnt(0)
	v_subrev_co_u32_e32 v6, vcc, s30, v6
	v_subbrev_co_u32_e32 v7, vcc, 0, v7, vcc
	v_cmp_lt_i64_e32 vcc, v[4:5], v[6:7]
	v_cndmask_b32_e32 v7, v11, v9, vcc
	v_cndmask_b32_e32 v6, v10, v8, vcc
	v_cmp_ne_u64_e32 vcc, v[6:7], v[2:3]
	s_and_saveexec_b64 s[2:3], vcc
	s_cbranch_execz .LBB68_119
; %bb.112:
	s_load_dwordx2 s[0:1], s[18:19], 0x0
	s_waitcnt lgkmcnt(0)
	s_sub_u32 s0, s0, s30
	s_subb_u32 s1, s1, 0
	v_cmp_gt_i64_e32 vcc, s[0:1], v[4:5]
	s_and_b64 exec, exec, vcc
	s_cbranch_execz .LBB68_119
; %bb.113:
	v_cmp_gt_i64_e32 vcc, s[8:9], v[2:3]
	v_cmp_le_i64_e64 s[0:1], s[26:27], v[2:3]
	v_lshlrev_b64 v[4:5], 1, v[6:7]
	s_or_b64 s[0:1], vcc, s[0:1]
	s_and_saveexec_b64 s[18:19], s[0:1]
	s_xor_b64 s[0:1], exec, s[18:19]
	s_cbranch_execz .LBB68_117
; %bb.114:
	v_mov_b32_e32 v8, s23
	v_add_co_u32_e32 v4, vcc, s22, v4
	v_addc_co_u32_e32 v5, vcc, v8, v5, vcc
	global_load_ushort v8, v[4:5], off
	v_lshlrev_b64 v[6:7], 2, v[2:3]
	v_mov_b32_e32 v5, s15
	v_add_co_u32_e32 v4, vcc, s14, v6
	v_addc_co_u32_e32 v5, vcc, v5, v7, vcc
	global_load_dword v7, v[4:5], off
	ds_read_b32 v6, v15 offset:3072
	s_mov_b64 s[18:19], 0
	s_waitcnt vmcnt(1)
	v_cvt_f32_f16_e32 v8, v8
	s_waitcnt lgkmcnt(0)
	v_mul_f32_e32 v8, v6, v8
.LBB68_115:                             ; =>This Inner Loop Header: Depth=1
	s_waitcnt vmcnt(0)
	v_add_f32_e32 v6, v7, v8
	global_atomic_cmpswap v6, v[4:5], v[6:7], off glc
	s_waitcnt vmcnt(0)
	v_cmp_eq_u32_e32 vcc, v6, v7
	s_or_b64 s[18:19], vcc, s[18:19]
	v_mov_b32_e32 v7, v6
	s_andn2_b64 exec, exec, s[18:19]
	s_cbranch_execnz .LBB68_115
; %bb.116:
	s_or_b64 exec, exec, s[18:19]
                                        ; implicit-def: $vgpr4_vgpr5
.LBB68_117:
	s_andn2_saveexec_b64 s[0:1], s[0:1]
	s_cbranch_execz .LBB68_119
; %bb.118:
	v_mov_b32_e32 v6, s23
	v_add_co_u32_e32 v4, vcc, s22, v4
	v_addc_co_u32_e32 v5, vcc, v6, v5, vcc
	global_load_ushort v4, v[4:5], off
	ds_read_b32 v5, v15 offset:3072
	v_subrev_u32_e32 v6, s8, v2
	v_mov_b32_e32 v7, 0x1000
	v_lshl_add_u32 v6, v6, 2, v7
	s_waitcnt vmcnt(0)
	v_cvt_f32_f16_e32 v4, v4
	s_waitcnt lgkmcnt(0)
	v_mul_f32_e32 v4, v5, v4
	ds_add_f32 v6, v4
.LBB68_119:
	s_or_b64 exec, exec, s[2:3]
	v_lshlrev_b64 v[2:3], 1, v[2:3]
	v_mov_b32_e32 v4, s23
	v_add_co_u32_e32 v2, vcc, s22, v2
	v_addc_co_u32_e32 v3, vcc, v4, v3, vcc
	global_load_ushort v2, v[2:3], off
	ds_read_b32 v3, v15 offset:3072
	s_waitcnt vmcnt(0)
	v_cvt_f32_f16_e32 v2, v2
	s_waitcnt lgkmcnt(0)
	v_mul_f32_e32 v2, v3, v2
	ds_write_b32 v15, v2 offset:3072
.LBB68_120:
	s_or_b64 exec, exec, s[4:5]
	v_mov_b32_e32 v2, s10
	v_mov_b32_e32 v3, s11
	v_cmp_lt_i64_e32 vcc, s[26:27], v[2:3]
	s_waitcnt lgkmcnt(0)
	s_and_b64 s[0:1], vcc, exec
	s_cselect_b32 s10, s26, s10
	s_cselect_b32 s0, s27, s11
	s_sub_u32 s2, s10, s28
	s_subb_u32 s3, s0, s29
	v_cmp_gt_i64_e32 vcc, s[2:3], v[0:1]
	s_barrier
	s_and_saveexec_b64 s[0:1], vcc
	s_cbranch_execz .LBB68_125
; %bb.121:
	s_lshl_b64 s[4:5], s[8:9], 2
	s_add_u32 s11, s14, s4
	s_addc_u32 s8, s15, s5
	v_mov_b32_e32 v3, v1
	s_mov_b64 s[4:5], 0
	v_mov_b32_e32 v8, s8
	v_mov_b32_e32 v9, 0x1000
	v_mov_b32_e32 v2, v0
.LBB68_122:                             ; =>This Loop Header: Depth=1
                                        ;     Child Loop BB68_123 Depth 2
	v_lshlrev_b64 v[4:5], 2, v[2:3]
	v_lshl_add_u32 v6, v2, 2, v9
	v_add_co_u32_e32 v4, vcc, s11, v4
	v_addc_co_u32_e32 v5, vcc, v8, v5, vcc
	global_load_dword v7, v[4:5], off
	ds_read_b32 v10, v6
	s_mov_b64 s[8:9], 0
.LBB68_123:                             ;   Parent Loop BB68_122 Depth=1
                                        ; =>  This Inner Loop Header: Depth=2
	s_waitcnt vmcnt(0) lgkmcnt(0)
	v_add_f32_e32 v6, v7, v10
	global_atomic_cmpswap v6, v[4:5], v[6:7], off glc
	s_waitcnt vmcnt(0)
	v_cmp_eq_u32_e32 vcc, v6, v7
	s_or_b64 s[8:9], vcc, s[8:9]
	v_mov_b32_e32 v7, v6
	s_andn2_b64 exec, exec, s[8:9]
	s_cbranch_execnz .LBB68_123
; %bb.124:                              ;   in Loop: Header=BB68_122 Depth=1
	s_or_b64 exec, exec, s[8:9]
	v_add_co_u32_e32 v2, vcc, 0x100, v2
	v_addc_co_u32_e32 v3, vcc, 0, v3, vcc
	v_cmp_le_i64_e32 vcc, s[2:3], v[2:3]
	s_or_b64 s[4:5], vcc, s[4:5]
	s_andn2_b64 exec, exec, s[4:5]
	s_cbranch_execnz .LBB68_122
.LBB68_125:
	s_or_b64 exec, exec, s[0:1]
	s_add_i32 s0, s36, -1
	s_ashr_i32 s1, s0, 1
	s_or_b32 s0, s1, s0
	s_ashr_i32 s1, s0, 2
	s_or_b32 s0, s1, s0
	;; [unrolled: 2-line block ×5, first 2 shown]
	s_add_i32 s0, s0, 1
	s_ashr_i32 s3, s0, 1
	v_mov_b32_e32 v2, s25
	v_add_co_u32_e32 v6, vcc, s24, v0
	v_addc_co_u32_e32 v7, vcc, 0, v2, vcc
	s_cmp_gt_i32 s3, 1
	s_mov_b64 s[0:1], -1
	s_barrier
	s_cbranch_scc1 .LBB68_136
; %bb.126:
	v_cmp_gt_i64_e32 vcc, s[26:27], v[6:7]
	s_and_saveexec_b64 s[0:1], vcc
	s_cbranch_execz .LBB68_135
; %bb.127:
	s_sub_i32 s4, s10, s26
	s_lshl_b32 s4, s4, 2
	s_add_i32 s13, s4, 0x1000
	s_lshl_b32 s4, s6, 2
	v_mov_b32_e32 v9, v7
	s_sub_i32 s18, 0, s4
	s_mov_b64 s[4:5], 0
	v_mov_b32_e32 v12, s17
	v_mov_b32_e32 v13, s15
	;; [unrolled: 1-line block ×3, first 2 shown]
.LBB68_128:                             ; =>This Loop Header: Depth=1
                                        ;     Child Loop BB68_130 Depth 2
                                        ;     Child Loop BB68_133 Depth 2
	v_lshlrev_b64 v[2:3], 3, v[8:9]
	v_mov_b32_e32 v14, 0
	v_add_co_u32_e32 v2, vcc, s16, v2
	v_addc_co_u32_e32 v3, vcc, v12, v3, vcc
	global_load_dwordx4 v[2:5], v[2:3], off
	s_waitcnt vmcnt(0)
	v_cmp_lt_i64_e32 vcc, v[2:3], v[4:5]
	s_and_saveexec_b64 s[8:9], vcc
	s_cbranch_execz .LBB68_132
; %bb.129:                              ;   in Loop: Header=BB68_128 Depth=1
	v_mov_b32_e32 v10, s7
	v_subrev_co_u32_e32 v4, vcc, s6, v4
	v_subb_co_u32_e32 v5, vcc, v5, v10, vcc
	v_mov_b32_e32 v11, s7
	v_subrev_co_u32_e32 v10, vcc, s6, v2
	v_subb_co_u32_e32 v11, vcc, v3, v11, vcc
	v_lshl_add_u32 v2, v2, 2, s18
	v_mov_b32_e32 v14, 0
	s_mov_b64 s[10:11], 0
.LBB68_130:                             ;   Parent Loop BB68_128 Depth=1
                                        ; =>  This Inner Loop Header: Depth=2
	ds_read_b32 v3, v2
	v_add_co_u32_e32 v10, vcc, 1, v10
	v_addc_co_u32_e32 v11, vcc, 0, v11, vcc
	v_cmp_ge_i64_e32 vcc, v[10:11], v[4:5]
	v_add_u32_e32 v2, 4, v2
	s_or_b64 s[10:11], vcc, s[10:11]
	s_waitcnt lgkmcnt(0)
	v_add_f32_e32 v14, v14, v3
	s_andn2_b64 exec, exec, s[10:11]
	s_cbranch_execnz .LBB68_130
; %bb.131:                              ;   in Loop: Header=BB68_128 Depth=1
	s_or_b64 exec, exec, s[10:11]
.LBB68_132:                             ;   in Loop: Header=BB68_128 Depth=1
	s_or_b64 exec, exec, s[8:9]
	v_lshlrev_b64 v[2:3], 2, v[8:9]
	v_lshl_add_u32 v4, v8, 2, s13
	v_add_co_u32_e32 v2, vcc, s14, v2
	v_addc_co_u32_e32 v3, vcc, v13, v3, vcc
	global_load_dword v5, v[2:3], off
	ds_read_b32 v4, v4
	s_mov_b64 s[8:9], 0
	s_waitcnt lgkmcnt(0)
	v_add_f32_e32 v10, v14, v4
.LBB68_133:                             ;   Parent Loop BB68_128 Depth=1
                                        ; =>  This Inner Loop Header: Depth=2
	s_waitcnt vmcnt(0)
	v_add_f32_e32 v4, v5, v10
	global_atomic_cmpswap v4, v[2:3], v[4:5], off glc
	s_waitcnt vmcnt(0)
	v_cmp_eq_u32_e32 vcc, v4, v5
	s_or_b64 s[8:9], vcc, s[8:9]
	v_mov_b32_e32 v5, v4
	s_andn2_b64 exec, exec, s[8:9]
	s_cbranch_execnz .LBB68_133
; %bb.134:                              ;   in Loop: Header=BB68_128 Depth=1
	s_or_b64 exec, exec, s[8:9]
	v_add_co_u32_e32 v8, vcc, s12, v8
	v_addc_co_u32_e32 v9, vcc, 0, v9, vcc
	v_cmp_le_i64_e32 vcc, s[26:27], v[8:9]
	s_or_b64 s[4:5], vcc, s[4:5]
	s_andn2_b64 exec, exec, s[4:5]
	s_cbranch_execnz .LBB68_128
.LBB68_135:
	s_or_b64 exec, exec, s[0:1]
	s_mov_b64 s[0:1], 0
.LBB68_136:
	s_andn2_b64 vcc, exec, s[0:1]
	s_cbranch_vccnz .LBB68_154
; %bb.137:
	v_cvt_f32_u32_e32 v2, s3
	s_sub_i32 s8, 0, s3
	v_mov_b32_e32 v5, 0
	v_mov_b32_e32 v8, s35
	v_rcp_iflag_f32_e32 v2, v2
	v_mov_b32_e32 v13, s7
	v_mul_f32_e32 v2, 0x4f7ffffe, v2
	v_cvt_u32_f32_e32 v2, v2
	v_mul_lo_u32 v3, s8, v2
	v_mul_hi_u32 v3, v2, v3
	v_add_u32_e32 v2, v2, v3
	v_mul_hi_u32 v2, v0, v2
	v_mul_lo_u32 v3, v2, s3
	v_add_u32_e32 v4, 1, v2
	v_sub_u32_e32 v3, v0, v3
	v_cmp_le_u32_e32 vcc, s3, v3
	v_cndmask_b32_e32 v2, v2, v4, vcc
	v_subrev_u32_e32 v4, s3, v3
	v_cndmask_b32_e32 v3, v3, v4, vcc
	v_add_u32_e32 v4, 1, v2
	v_cmp_le_u32_e32 vcc, s3, v3
	v_cndmask_b32_e32 v4, v2, v4, vcc
	v_lshlrev_b64 v[2:3], 3, v[4:5]
	v_add_co_u32_e32 v2, vcc, s34, v2
	v_addc_co_u32_e32 v3, vcc, v8, v3, vcc
	global_load_dwordx4 v[8:11], v[2:3], off
	v_mov_b32_e32 v3, s7
	s_waitcnt vmcnt(0)
	v_subrev_co_u32_e32 v2, vcc, s6, v8
	v_subb_co_u32_e32 v3, vcc, v9, v3, vcc
	v_subrev_co_u32_e32 v12, vcc, s6, v10
	v_subb_co_u32_e32 v13, vcc, v11, v13, vcc
	v_sub_co_u32_e32 v11, vcc, v12, v2
	v_subb_co_u32_e32 v10, vcc, v13, v3, vcc
	v_mov_b32_e32 v9, v5
	v_cmp_ne_u64_e32 vcc, 0, v[9:10]
                                        ; implicit-def: $vgpr8_vgpr9
	s_and_saveexec_b64 s[0:1], vcc
	s_xor_b64 s[4:5], exec, s[0:1]
	s_cbranch_execz .LBB68_139
; %bb.138:
	s_add_u32 s0, s3, 0
	s_addc_u32 s1, 0, 0
	s_xor_b64 s[6:7], s[0:1], 0
	v_cvt_f32_u32_e32 v8, s6
	v_cvt_f32_u32_e32 v9, s7
	s_sub_u32 s9, 0, s6
	s_subb_u32 s10, 0, s7
	v_ashrrev_i32_e32 v14, 31, v10
	v_madmk_f32 v8, v9, 0x4f800000, v8
	v_rcp_f32_e32 v8, v8
	v_mul_f32_e32 v8, 0x5f7ffffc, v8
	v_mul_f32_e32 v9, 0x2f800000, v8
	v_trunc_f32_e32 v9, v9
	v_madmk_f32 v8, v9, 0xcf800000, v8
	v_cvt_u32_f32_e32 v9, v9
	v_cvt_u32_f32_e32 v8, v8
	v_readfirstlane_b32 s11, v9
	v_readfirstlane_b32 s0, v8
	s_mul_i32 s1, s9, s11
	s_mul_hi_u32 s13, s9, s0
	s_mul_i32 s12, s10, s0
	s_add_i32 s1, s13, s1
	s_mul_i32 s16, s9, s0
	s_add_i32 s1, s1, s12
	s_mul_i32 s13, s0, s1
	s_mul_hi_u32 s17, s0, s16
	s_mul_hi_u32 s12, s0, s1
	s_add_u32 s13, s17, s13
	s_addc_u32 s12, 0, s12
	s_mul_hi_u32 s18, s11, s16
	s_mul_i32 s16, s11, s16
	s_add_u32 s13, s13, s16
	s_mul_hi_u32 s17, s11, s1
	s_addc_u32 s12, s12, s18
	s_addc_u32 s13, s17, 0
	s_mul_i32 s1, s11, s1
	s_add_u32 s1, s12, s1
	s_addc_u32 s12, 0, s13
	s_add_u32 s13, s0, s1
	s_cselect_b64 s[0:1], -1, 0
	s_cmp_lg_u64 s[0:1], 0
	s_addc_u32 s11, s11, s12
	s_mul_i32 s0, s9, s11
	s_mul_hi_u32 s1, s9, s13
	s_add_i32 s0, s1, s0
	s_mul_i32 s10, s10, s13
	s_add_i32 s0, s0, s10
	s_mul_i32 s9, s9, s13
	s_mul_hi_u32 s10, s11, s9
	s_mul_i32 s12, s11, s9
	s_mul_i32 s17, s13, s0
	s_mul_hi_u32 s9, s13, s9
	s_mul_hi_u32 s16, s13, s0
	s_add_u32 s9, s9, s17
	s_addc_u32 s16, 0, s16
	s_add_u32 s9, s9, s12
	s_mul_hi_u32 s1, s11, s0
	s_addc_u32 s9, s16, s10
	s_addc_u32 s1, s1, 0
	s_mul_i32 s0, s11, s0
	s_add_u32 s0, s9, s0
	s_addc_u32 s9, 0, s1
	s_add_u32 s10, s13, s0
	s_cselect_b64 s[0:1], -1, 0
	s_cmp_lg_u64 s[0:1], 0
	v_add_co_u32_e32 v8, vcc, v11, v14
	s_addc_u32 s9, s11, s9
	v_xor_b32_e32 v16, v8, v14
	v_mad_u64_u32 v[8:9], s[0:1], v16, s9, 0
	v_mul_hi_u32 v11, v16, s10
	v_addc_co_u32_e32 v10, vcc, v10, v14, vcc
	v_xor_b32_e32 v17, v10, v14
	v_add_co_u32_e32 v18, vcc, v11, v8
	v_addc_co_u32_e32 v19, vcc, 0, v9, vcc
	v_mad_u64_u32 v[8:9], s[0:1], v17, s10, 0
	v_mad_u64_u32 v[10:11], s[0:1], v17, s9, 0
	v_add_co_u32_e32 v8, vcc, v18, v8
	v_addc_co_u32_e32 v8, vcc, v19, v9, vcc
	v_addc_co_u32_e32 v9, vcc, 0, v11, vcc
	v_add_co_u32_e32 v10, vcc, v8, v10
	v_addc_co_u32_e32 v11, vcc, 0, v9, vcc
	v_mul_lo_u32 v18, s7, v10
	v_mul_lo_u32 v19, s6, v11
	v_mad_u64_u32 v[8:9], s[0:1], s6, v10, 0
	v_add3_u32 v9, v9, v19, v18
	v_sub_u32_e32 v18, v17, v9
	v_mov_b32_e32 v19, s7
	v_sub_co_u32_e32 v8, vcc, v16, v8
	v_subb_co_u32_e64 v16, s[0:1], v18, v19, vcc
	v_subrev_co_u32_e64 v18, s[0:1], s6, v8
	v_subbrev_co_u32_e64 v16, s[0:1], 0, v16, s[0:1]
	v_cmp_le_u32_e64 s[0:1], s7, v16
	v_cndmask_b32_e64 v19, 0, -1, s[0:1]
	v_cmp_le_u32_e64 s[0:1], s6, v18
	v_cndmask_b32_e64 v18, 0, -1, s[0:1]
	v_cmp_eq_u32_e64 s[0:1], s7, v16
	v_cndmask_b32_e64 v16, v19, v18, s[0:1]
	v_add_co_u32_e64 v18, s[0:1], 2, v10
	v_subb_co_u32_e32 v9, vcc, v17, v9, vcc
	v_addc_co_u32_e64 v19, s[0:1], 0, v11, s[0:1]
	v_cmp_le_u32_e32 vcc, s7, v9
	v_add_co_u32_e64 v20, s[0:1], 1, v10
	v_cndmask_b32_e64 v17, 0, -1, vcc
	v_cmp_le_u32_e32 vcc, s6, v8
	v_addc_co_u32_e64 v21, s[0:1], 0, v11, s[0:1]
	v_cndmask_b32_e64 v8, 0, -1, vcc
	v_cmp_eq_u32_e32 vcc, s7, v9
	v_cmp_ne_u32_e64 s[0:1], 0, v16
	v_cndmask_b32_e32 v8, v17, v8, vcc
	v_cndmask_b32_e64 v16, v21, v19, s[0:1]
	v_cmp_ne_u32_e32 vcc, 0, v8
	v_cndmask_b32_e64 v9, v20, v18, s[0:1]
	v_cndmask_b32_e32 v8, v11, v16, vcc
	v_cndmask_b32_e32 v9, v10, v9, vcc
	v_xor_b32_e32 v10, v8, v14
	v_xor_b32_e32 v8, v9, v14
	v_sub_co_u32_e32 v8, vcc, v8, v14
	v_subb_co_u32_e32 v9, vcc, v10, v14, vcc
                                        ; implicit-def: $vgpr11
.LBB68_139:
	s_andn2_saveexec_b64 s[0:1], s[4:5]
	s_cbranch_execz .LBB68_141
; %bb.140:
	v_cvt_f32_u32_e32 v8, s3
	v_rcp_iflag_f32_e32 v8, v8
	v_mul_f32_e32 v8, 0x4f7ffffe, v8
	v_cvt_u32_f32_e32 v8, v8
	v_mul_lo_u32 v9, s8, v8
	v_mul_hi_u32 v9, v8, v9
	v_add_u32_e32 v8, v8, v9
	v_mul_hi_u32 v8, v11, v8
	v_mul_lo_u32 v9, v8, s3
	v_add_u32_e32 v10, 1, v8
	v_sub_u32_e32 v9, v11, v9
	v_subrev_u32_e32 v11, s3, v9
	v_cmp_le_u32_e32 vcc, s3, v9
	v_cndmask_b32_e32 v9, v9, v11, vcc
	v_cndmask_b32_e32 v8, v8, v10, vcc
	v_add_u32_e32 v10, 1, v8
	v_cmp_le_u32_e32 vcc, s3, v9
	v_cndmask_b32_e32 v8, v8, v10, vcc
	v_mov_b32_e32 v9, 0
.LBB68_141:
	s_or_b64 exec, exec, s[0:1]
	v_cmp_gt_i64_e32 vcc, s[28:29], v[4:5]
	v_mov_b32_e32 v14, 0
	s_and_saveexec_b64 s[0:1], vcc
	s_cbranch_execz .LBB68_149
; %bb.142:
	s_add_i32 s4, s3, -1
	v_and_b32_e32 v4, s4, v0
	v_cmp_lt_i64_e32 vcc, 0, v[8:9]
	s_mov_b64 s[4:5], 0
	v_mov_b32_e32 v14, 0
	v_lshlrev_b32_e32 v16, 2, v4
	s_and_saveexec_b64 s[6:7], vcc
	s_cbranch_execz .LBB68_146
; %bb.143:
	v_mov_b32_e32 v11, v9
	v_lshl_add_u32 v5, v2, 2, v16
	s_lshl_b32 s8, s3, 2
	v_mov_b32_e32 v14, 0
	v_mov_b32_e32 v10, v8
.LBB68_144:                             ; =>This Inner Loop Header: Depth=1
	ds_read_b32 v17, v5
	v_add_co_u32_e32 v10, vcc, -1, v10
	v_addc_co_u32_e32 v11, vcc, -1, v11, vcc
	v_cmp_eq_u64_e32 vcc, 0, v[10:11]
	v_add_u32_e32 v5, s8, v5
	s_or_b64 s[4:5], vcc, s[4:5]
	s_waitcnt lgkmcnt(0)
	v_add_f32_e32 v14, v14, v17
	s_andn2_b64 exec, exec, s[4:5]
	s_cbranch_execnz .LBB68_144
; %bb.145:
	s_or_b64 exec, exec, s[4:5]
.LBB68_146:
	s_or_b64 exec, exec, s[6:7]
	v_mad_u64_u32 v[2:3], s[4:5], v8, s3, v[2:3]
	v_mov_b32_e32 v5, 0
	v_mad_u64_u32 v[8:9], s[4:5], v9, s3, v[3:4]
	v_sub_co_u32_e32 v9, vcc, v12, v2
	v_subb_co_u32_e32 v10, vcc, v13, v8, vcc
	v_cmp_gt_i64_e32 vcc, v[9:10], v[4:5]
	s_and_saveexec_b64 s[4:5], vcc
	s_cbranch_execz .LBB68_148
; %bb.147:
	v_lshl_add_u32 v2, v2, 2, v16
	ds_read_b32 v2, v2
	s_waitcnt lgkmcnt(0)
	v_add_f32_e32 v14, v14, v2
.LBB68_148:
	s_or_b64 exec, exec, s[4:5]
.LBB68_149:
	s_or_b64 exec, exec, s[0:1]
	v_cmp_gt_i64_e32 vcc, s[28:29], v[0:1]
	s_barrier
	ds_write_b32 v15, v14
	s_waitcnt lgkmcnt(0)
	s_barrier
	s_and_saveexec_b64 s[0:1], vcc
	s_cbranch_execz .LBB68_154
; %bb.150:
	v_mul_lo_u32 v1, s3, v0
	v_mov_b32_e32 v3, 0
	v_lshlrev_b32_e32 v1, 2, v1
.LBB68_151:                             ; =>This Inner Loop Header: Depth=1
	ds_read_b32 v2, v1
	s_add_i32 s3, s3, -1
	v_add_u32_e32 v1, 4, v1
	s_cmp_eq_u32 s3, 0
	s_waitcnt lgkmcnt(0)
	v_add_f32_e32 v3, v3, v2
	s_cbranch_scc0 .LBB68_151
; %bb.152:
	v_lshlrev_b64 v[1:2], 2, v[6:7]
	v_mov_b32_e32 v4, s15
	v_add_co_u32_e32 v1, vcc, s14, v1
	v_addc_co_u32_e32 v2, vcc, v4, v2, vcc
	global_load_dword v4, v[1:2], off
	s_lshl_b32 s0, s2, 2
	s_addk_i32 s0, 0x1000
	v_lshl_add_u32 v0, v0, 2, s0
	ds_read_b32 v0, v0
	s_mov_b64 s[0:1], 0
	s_waitcnt lgkmcnt(0)
	v_add_f32_e32 v0, v3, v0
.LBB68_153:                             ; =>This Inner Loop Header: Depth=1
	s_waitcnt vmcnt(0)
	v_add_f32_e32 v3, v4, v0
	global_atomic_cmpswap v3, v[1:2], v[3:4], off glc
	s_waitcnt vmcnt(0)
	v_cmp_eq_u32_e32 vcc, v3, v4
	s_or_b64 s[0:1], vcc, s[0:1]
	v_mov_b32_e32 v4, v3
	s_andn2_b64 exec, exec, s[0:1]
	s_cbranch_execnz .LBB68_153
.LBB68_154:
	s_endpgm
	.section	.rodata,"a",@progbits
	.p2align	6, 0x0
	.amdhsa_kernel _ZN9rocsparseL27csrmvn_symm_adaptive_kernelIliDF16_DF16_ffEEvbT_S1_PKS1_NS_24const_host_device_scalarIT4_EES3_PKT0_PKT1_PKT2_S6_PT3_21rocsparse_index_base_b
		.amdhsa_group_segment_fixed_size 4096
		.amdhsa_private_segment_fixed_size 0
		.amdhsa_kernarg_size 352
		.amdhsa_user_sgpr_count 6
		.amdhsa_user_sgpr_private_segment_buffer 1
		.amdhsa_user_sgpr_dispatch_ptr 0
		.amdhsa_user_sgpr_queue_ptr 0
		.amdhsa_user_sgpr_kernarg_segment_ptr 1
		.amdhsa_user_sgpr_dispatch_id 0
		.amdhsa_user_sgpr_flat_scratch_init 0
		.amdhsa_user_sgpr_private_segment_size 0
		.amdhsa_uses_dynamic_stack 0
		.amdhsa_system_sgpr_private_segment_wavefront_offset 0
		.amdhsa_system_sgpr_workgroup_id_x 1
		.amdhsa_system_sgpr_workgroup_id_y 0
		.amdhsa_system_sgpr_workgroup_id_z 0
		.amdhsa_system_sgpr_workgroup_info 0
		.amdhsa_system_vgpr_workitem_id 0
		.amdhsa_next_free_vgpr 22
		.amdhsa_next_free_sgpr 52
		.amdhsa_reserve_vcc 1
		.amdhsa_reserve_flat_scratch 0
		.amdhsa_float_round_mode_32 0
		.amdhsa_float_round_mode_16_64 0
		.amdhsa_float_denorm_mode_32 3
		.amdhsa_float_denorm_mode_16_64 3
		.amdhsa_dx10_clamp 1
		.amdhsa_ieee_mode 1
		.amdhsa_fp16_overflow 0
		.amdhsa_exception_fp_ieee_invalid_op 0
		.amdhsa_exception_fp_denorm_src 0
		.amdhsa_exception_fp_ieee_div_zero 0
		.amdhsa_exception_fp_ieee_overflow 0
		.amdhsa_exception_fp_ieee_underflow 0
		.amdhsa_exception_fp_ieee_inexact 0
		.amdhsa_exception_int_div_zero 0
	.end_amdhsa_kernel
	.section	.text._ZN9rocsparseL27csrmvn_symm_adaptive_kernelIliDF16_DF16_ffEEvbT_S1_PKS1_NS_24const_host_device_scalarIT4_EES3_PKT0_PKT1_PKT2_S6_PT3_21rocsparse_index_base_b,"axG",@progbits,_ZN9rocsparseL27csrmvn_symm_adaptive_kernelIliDF16_DF16_ffEEvbT_S1_PKS1_NS_24const_host_device_scalarIT4_EES3_PKT0_PKT1_PKT2_S6_PT3_21rocsparse_index_base_b,comdat
.Lfunc_end68:
	.size	_ZN9rocsparseL27csrmvn_symm_adaptive_kernelIliDF16_DF16_ffEEvbT_S1_PKS1_NS_24const_host_device_scalarIT4_EES3_PKT0_PKT1_PKT2_S6_PT3_21rocsparse_index_base_b, .Lfunc_end68-_ZN9rocsparseL27csrmvn_symm_adaptive_kernelIliDF16_DF16_ffEEvbT_S1_PKS1_NS_24const_host_device_scalarIT4_EES3_PKT0_PKT1_PKT2_S6_PT3_21rocsparse_index_base_b
                                        ; -- End function
	.set _ZN9rocsparseL27csrmvn_symm_adaptive_kernelIliDF16_DF16_ffEEvbT_S1_PKS1_NS_24const_host_device_scalarIT4_EES3_PKT0_PKT1_PKT2_S6_PT3_21rocsparse_index_base_b.num_vgpr, 22
	.set _ZN9rocsparseL27csrmvn_symm_adaptive_kernelIliDF16_DF16_ffEEvbT_S1_PKS1_NS_24const_host_device_scalarIT4_EES3_PKT0_PKT1_PKT2_S6_PT3_21rocsparse_index_base_b.num_agpr, 0
	.set _ZN9rocsparseL27csrmvn_symm_adaptive_kernelIliDF16_DF16_ffEEvbT_S1_PKS1_NS_24const_host_device_scalarIT4_EES3_PKT0_PKT1_PKT2_S6_PT3_21rocsparse_index_base_b.numbered_sgpr, 52
	.set _ZN9rocsparseL27csrmvn_symm_adaptive_kernelIliDF16_DF16_ffEEvbT_S1_PKS1_NS_24const_host_device_scalarIT4_EES3_PKT0_PKT1_PKT2_S6_PT3_21rocsparse_index_base_b.num_named_barrier, 0
	.set _ZN9rocsparseL27csrmvn_symm_adaptive_kernelIliDF16_DF16_ffEEvbT_S1_PKS1_NS_24const_host_device_scalarIT4_EES3_PKT0_PKT1_PKT2_S6_PT3_21rocsparse_index_base_b.private_seg_size, 0
	.set _ZN9rocsparseL27csrmvn_symm_adaptive_kernelIliDF16_DF16_ffEEvbT_S1_PKS1_NS_24const_host_device_scalarIT4_EES3_PKT0_PKT1_PKT2_S6_PT3_21rocsparse_index_base_b.uses_vcc, 1
	.set _ZN9rocsparseL27csrmvn_symm_adaptive_kernelIliDF16_DF16_ffEEvbT_S1_PKS1_NS_24const_host_device_scalarIT4_EES3_PKT0_PKT1_PKT2_S6_PT3_21rocsparse_index_base_b.uses_flat_scratch, 0
	.set _ZN9rocsparseL27csrmvn_symm_adaptive_kernelIliDF16_DF16_ffEEvbT_S1_PKS1_NS_24const_host_device_scalarIT4_EES3_PKT0_PKT1_PKT2_S6_PT3_21rocsparse_index_base_b.has_dyn_sized_stack, 0
	.set _ZN9rocsparseL27csrmvn_symm_adaptive_kernelIliDF16_DF16_ffEEvbT_S1_PKS1_NS_24const_host_device_scalarIT4_EES3_PKT0_PKT1_PKT2_S6_PT3_21rocsparse_index_base_b.has_recursion, 0
	.set _ZN9rocsparseL27csrmvn_symm_adaptive_kernelIliDF16_DF16_ffEEvbT_S1_PKS1_NS_24const_host_device_scalarIT4_EES3_PKT0_PKT1_PKT2_S6_PT3_21rocsparse_index_base_b.has_indirect_call, 0
	.section	.AMDGPU.csdata,"",@progbits
; Kernel info:
; codeLenInByte = 7580
; TotalNumSgprs: 56
; NumVgprs: 22
; ScratchSize: 0
; MemoryBound: 0
; FloatMode: 240
; IeeeMode: 1
; LDSByteSize: 4096 bytes/workgroup (compile time only)
; SGPRBlocks: 6
; VGPRBlocks: 5
; NumSGPRsForWavesPerEU: 56
; NumVGPRsForWavesPerEU: 22
; Occupancy: 10
; WaveLimiterHint : 1
; COMPUTE_PGM_RSRC2:SCRATCH_EN: 0
; COMPUTE_PGM_RSRC2:USER_SGPR: 6
; COMPUTE_PGM_RSRC2:TRAP_HANDLER: 0
; COMPUTE_PGM_RSRC2:TGID_X_EN: 1
; COMPUTE_PGM_RSRC2:TGID_Y_EN: 0
; COMPUTE_PGM_RSRC2:TGID_Z_EN: 0
; COMPUTE_PGM_RSRC2:TIDIG_COMP_CNT: 0
	.section	.text._ZL33csrmvn_symm_large_adaptive_kernelIliDF16_DF16_ffEvbT_PKS0_N9rocsparse24const_host_device_scalarIT4_EES2_PKT0_PKT1_PKT2_S6_PT3_21rocsparse_index_base_b,"axG",@progbits,_ZL33csrmvn_symm_large_adaptive_kernelIliDF16_DF16_ffEvbT_PKS0_N9rocsparse24const_host_device_scalarIT4_EES2_PKT0_PKT1_PKT2_S6_PT3_21rocsparse_index_base_b,comdat
	.globl	_ZL33csrmvn_symm_large_adaptive_kernelIliDF16_DF16_ffEvbT_PKS0_N9rocsparse24const_host_device_scalarIT4_EES2_PKT0_PKT1_PKT2_S6_PT3_21rocsparse_index_base_b ; -- Begin function _ZL33csrmvn_symm_large_adaptive_kernelIliDF16_DF16_ffEvbT_PKS0_N9rocsparse24const_host_device_scalarIT4_EES2_PKT0_PKT1_PKT2_S6_PT3_21rocsparse_index_base_b
	.p2align	8
	.type	_ZL33csrmvn_symm_large_adaptive_kernelIliDF16_DF16_ffEvbT_PKS0_N9rocsparse24const_host_device_scalarIT4_EES2_PKT0_PKT1_PKT2_S6_PT3_21rocsparse_index_base_b,@function
_ZL33csrmvn_symm_large_adaptive_kernelIliDF16_DF16_ffEvbT_PKS0_N9rocsparse24const_host_device_scalarIT4_EES2_PKT0_PKT1_PKT2_S6_PT3_21rocsparse_index_base_b: ; @_ZL33csrmvn_symm_large_adaptive_kernelIliDF16_DF16_ffEvbT_PKS0_N9rocsparse24const_host_device_scalarIT4_EES2_PKT0_PKT1_PKT2_S6_PT3_21rocsparse_index_base_b
; %bb.0:
	s_load_dwordx2 s[10:11], s[4:5], 0x50
	s_load_dwordx2 s[24:25], s[4:5], 0x18
	;; [unrolled: 1-line block ×3, first 2 shown]
	s_waitcnt lgkmcnt(0)
	s_bitcmp1_b32 s11, 0
	s_cselect_b64 s[8:9], -1, 0
	s_xor_b64 s[2:3], s[8:9], -1
	s_and_b64 vcc, exec, s[8:9]
	s_cbranch_vccnz .LBB69_2
; %bb.1:
	s_load_dword s24, s[24:25], 0x0
.LBB69_2:
	s_andn2_b64 vcc, exec, s[2:3]
	s_cbranch_vccnz .LBB69_4
; %bb.3:
	s_load_dword s0, s[0:1], 0x0
.LBB69_4:
	s_waitcnt lgkmcnt(0)
	v_cmp_neq_f32_e64 s[2:3], s24, 0
	v_cmp_neq_f32_e64 s[0:1], s0, 1.0
	s_or_b64 s[0:1], s[2:3], s[0:1]
	s_andn2_b64 vcc, exec, s[0:1]
	s_cbranch_vccnz .LBB69_34
; %bb.5:
	s_load_dwordx2 s[0:1], s[4:5], 0x10
	s_ashr_i32 s7, s6, 31
	s_lshl_b64 s[2:3], s[6:7], 3
	v_lshlrev_b32_e32 v8, 2, v0
	v_mov_b32_e32 v9, 0
	s_waitcnt lgkmcnt(0)
	s_add_u32 s0, s0, s2
	s_addc_u32 s1, s1, s3
	ds_write2st64_b32 v8, v9, v9 offset1:4
	ds_write2st64_b32 v8, v9, v9 offset0:8 offset1:12
	s_waitcnt lgkmcnt(0)
	s_barrier
	s_load_dwordx4 s[20:23], s[0:1], 0x0
	s_load_dwordx8 s[12:19], s[4:5], 0x20
	s_load_dwordx2 s[26:27], s[4:5], 0x48
	v_subrev_co_u32_e64 v10, s[0:1], s10, v0
	s_waitcnt lgkmcnt(0)
	v_mov_b32_e32 v1, s22
	v_mov_b32_e32 v2, s23
	v_cmp_ge_i64_e32 vcc, s[20:21], v[1:2]
	v_subb_co_u32_e64 v11, s[0:1], 0, 0, s[0:1]
	s_cbranch_vccnz .LBB69_24
; %bb.6:
	v_cmp_gt_u32_e64 s[0:1], 64, v0
	v_cmp_gt_u32_e64 s[2:3], 16, v0
	;; [unrolled: 1-line block ×3, first 2 shown]
	v_cmp_eq_u32_e64 s[6:7], 0, v0
	v_mov_b32_e32 v0, s22
	v_mov_b32_e32 v1, s23
	s_movk_i32 s11, 0x100
	s_mov_b64 s[28:29], s[20:21]
	s_branch .LBB69_8
.LBB69_7:                               ;   in Loop: Header=BB69_8 Depth=1
	s_or_b64 exec, exec, s[8:9]
	s_add_u32 s28, s28, 1
	s_addc_u32 s29, s29, 0
	v_cmp_ge_i64_e32 vcc, s[28:29], v[0:1]
	s_cbranch_vccnz .LBB69_24
.LBB69_8:                               ; =>This Loop Header: Depth=1
                                        ;     Child Loop BB69_10 Depth 2
                                        ;     Child Loop BB69_23 Depth 2
	s_lshl_b64 s[8:9], s[28:29], 3
	s_add_u32 s8, s12, s8
	s_addc_u32 s9, s13, s9
	s_load_dwordx4 s[36:39], s[8:9], 0x0
	v_mov_b32_e32 v12, 0
	s_waitcnt lgkmcnt(0)
	s_sub_u32 s30, s38, s10
	v_mov_b32_e32 v3, s37
	v_add_co_u32_e32 v2, vcc, s36, v10
	s_subb_u32 s31, s39, 0
	v_addc_co_u32_e32 v3, vcc, v3, v11, vcc
	v_cmp_gt_i64_e32 vcc, s[30:31], v[2:3]
	s_and_saveexec_b64 s[34:35], vcc
	s_cbranch_execz .LBB69_12
; %bb.9:                                ;   in Loop: Header=BB69_8 Depth=1
	v_lshlrev_b64 v[4:5], 2, v[2:3]
	v_mov_b32_e32 v6, s15
	v_add_co_u32_e32 v4, vcc, s14, v4
	v_addc_co_u32_e32 v5, vcc, v6, v5, vcc
	v_lshlrev_b64 v[6:7], 1, v[2:3]
	v_mov_b32_e32 v12, s17
	v_add_co_u32_e32 v6, vcc, s16, v6
	v_addc_co_u32_e32 v7, vcc, v12, v7, vcc
	v_mov_b32_e32 v12, 0
	s_mov_b64 s[36:37], 0
.LBB69_10:                              ;   Parent Loop BB69_8 Depth=1
                                        ; =>  This Inner Loop Header: Depth=2
	global_load_dword v13, v[4:5], off
	global_load_ushort v15, v[6:7], off
	v_mov_b32_e32 v16, s19
	s_waitcnt vmcnt(1)
	v_subrev_u32_e32 v13, s10, v13
	v_ashrrev_i32_e32 v14, 31, v13
	v_lshlrev_b64 v[13:14], 1, v[13:14]
	v_add_co_u32_e32 v13, vcc, s18, v13
	v_addc_co_u32_e32 v14, vcc, v16, v14, vcc
	global_load_ushort v13, v[13:14], off
	v_add_co_u32_e32 v2, vcc, s11, v2
	v_addc_co_u32_e32 v3, vcc, 0, v3, vcc
	v_add_co_u32_e32 v4, vcc, 0x400, v4
	v_addc_co_u32_e32 v5, vcc, 0, v5, vcc
	v_cmp_le_i64_e64 s[8:9], s[30:31], v[2:3]
	v_add_co_u32_e32 v6, vcc, 0x200, v6
	v_addc_co_u32_e32 v7, vcc, 0, v7, vcc
	s_or_b64 s[36:37], s[8:9], s[36:37]
	s_waitcnt vmcnt(0)
	v_fma_mix_f32 v12, v15, v13, v12 op_sel_hi:[1,1,0]
	s_andn2_b64 exec, exec, s[36:37]
	s_cbranch_execnz .LBB69_10
; %bb.11:                               ;   in Loop: Header=BB69_8 Depth=1
	s_or_b64 exec, exec, s[36:37]
.LBB69_12:                              ;   in Loop: Header=BB69_8 Depth=1
	s_or_b64 exec, exec, s[34:35]
	ds_write_b32 v8, v12
	s_waitcnt lgkmcnt(0)
	s_barrier
	ds_read2st64_b32 v[2:3], v8 offset1:4
	ds_read2st64_b32 v[4:5], v8 offset0:8 offset1:12
	s_waitcnt lgkmcnt(0)
	v_add_f32_e32 v3, v3, v4
	v_add_f32_e32 v3, v3, v5
	;; [unrolled: 1-line block ×3, first 2 shown]
	ds_write_b32 v8, v2
	s_waitcnt lgkmcnt(0)
	s_barrier
	s_and_saveexec_b64 s[8:9], s[0:1]
	s_cbranch_execz .LBB69_14
; %bb.13:                               ;   in Loop: Header=BB69_8 Depth=1
	ds_read2st64_b32 v[2:3], v8 offset1:1
	ds_read2st64_b32 v[4:5], v8 offset0:2 offset1:3
	s_waitcnt lgkmcnt(0)
	v_add_f32_e32 v3, v3, v4
	v_add_f32_e32 v3, v3, v5
	;; [unrolled: 1-line block ×3, first 2 shown]
	ds_write_b32 v8, v2
.LBB69_14:                              ;   in Loop: Header=BB69_8 Depth=1
	s_or_b64 exec, exec, s[8:9]
	s_waitcnt lgkmcnt(0)
	s_barrier
	s_and_saveexec_b64 s[8:9], s[2:3]
	s_cbranch_execz .LBB69_16
; %bb.15:                               ;   in Loop: Header=BB69_8 Depth=1
	ds_read2_b32 v[2:3], v8 offset1:16
	ds_read2_b32 v[4:5], v8 offset0:32 offset1:48
	s_waitcnt lgkmcnt(0)
	v_add_f32_e32 v3, v3, v4
	v_add_f32_e32 v3, v3, v5
	;; [unrolled: 1-line block ×3, first 2 shown]
	ds_write_b32 v8, v2
.LBB69_16:                              ;   in Loop: Header=BB69_8 Depth=1
	s_or_b64 exec, exec, s[8:9]
	s_waitcnt lgkmcnt(0)
	s_barrier
	s_and_saveexec_b64 s[8:9], s[4:5]
	s_cbranch_execz .LBB69_18
; %bb.17:                               ;   in Loop: Header=BB69_8 Depth=1
	ds_read2_b32 v[2:3], v8 offset1:4
	ds_read2_b32 v[4:5], v8 offset0:8 offset1:12
	s_waitcnt lgkmcnt(0)
	v_add_f32_e32 v3, v3, v4
	v_add_f32_e32 v3, v3, v5
	;; [unrolled: 1-line block ×3, first 2 shown]
	ds_write_b32 v8, v2
.LBB69_18:                              ;   in Loop: Header=BB69_8 Depth=1
	s_or_b64 exec, exec, s[8:9]
	s_waitcnt lgkmcnt(0)
	s_barrier
	s_and_saveexec_b64 s[8:9], s[6:7]
	s_cbranch_execz .LBB69_20
; %bb.19:                               ;   in Loop: Header=BB69_8 Depth=1
	ds_read2_b32 v[2:3], v9 offset0:1 offset1:2
	ds_read_b32 v4, v9 offset:12
	ds_read_b32 v5, v8
	s_waitcnt lgkmcnt(2)
	v_add_f32_e32 v2, v2, v3
	s_waitcnt lgkmcnt(1)
	v_add_f32_e32 v2, v2, v4
	;; [unrolled: 2-line block ×3, first 2 shown]
	ds_write_b32 v8, v2
.LBB69_20:                              ;   in Loop: Header=BB69_8 Depth=1
	s_or_b64 exec, exec, s[8:9]
	s_waitcnt lgkmcnt(0)
	s_barrier
	s_and_saveexec_b64 s[8:9], s[6:7]
	s_cbranch_execz .LBB69_7
; %bb.21:                               ;   in Loop: Header=BB69_8 Depth=1
	s_mov_b64 s[34:35], exec
	v_mbcnt_lo_u32_b32 v2, s34, 0
	v_mbcnt_hi_u32_b32 v2, s35, v2
	v_cmp_eq_u32_e32 vcc, 0, v2
	s_and_b64 s[30:31], exec, vcc
	s_mov_b64 exec, s[30:31]
	s_cbranch_execz .LBB69_7
; %bb.22:                               ;   in Loop: Header=BB69_8 Depth=1
	s_lshl_b64 s[30:31], s[28:29], 2
	s_add_u32 s30, s26, s30
	s_addc_u32 s31, s27, s31
	global_load_dword v3, v9, s[30:31]
	ds_read_b32 v2, v9
	s_bcnt1_i32_b64 s25, s[34:35]
	v_cvt_f32_ubyte0_e32 v4, s25
	s_mov_b64 s[34:35], 0
	s_waitcnt lgkmcnt(0)
	v_mul_f32_e32 v2, s24, v2
	v_mul_f32_e32 v4, v2, v4
.LBB69_23:                              ;   Parent Loop BB69_8 Depth=1
                                        ; =>  This Inner Loop Header: Depth=2
	s_waitcnt vmcnt(0)
	v_add_f32_e32 v2, v3, v4
	global_atomic_cmpswap v2, v9, v[2:3], s[30:31] glc
	s_waitcnt vmcnt(0)
	v_cmp_eq_u32_e32 vcc, v2, v3
	s_or_b64 s[34:35], vcc, s[34:35]
	v_mov_b32_e32 v3, v2
	s_andn2_b64 exec, exec, s[34:35]
	s_cbranch_execnz .LBB69_23
	s_branch .LBB69_7
.LBB69_24:
	s_lshl_b64 s[0:1], s[20:21], 3
	s_add_u32 s0, s12, s0
	s_addc_u32 s1, s13, s1
	s_lshl_b64 s[2:3], s[22:23], 3
	s_add_u32 s2, s12, s2
	s_addc_u32 s3, s13, s3
	s_load_dwordx2 s[6:7], s[0:1], 0x0
	s_load_dwordx2 s[4:5], s[2:3], 0x0
	s_waitcnt lgkmcnt(0)
	v_mov_b32_e32 v1, s7
	s_sub_u32 s4, s4, s10
	v_add_co_u32_e32 v0, vcc, s6, v10
	s_subb_u32 s5, s5, 0
	v_addc_co_u32_e32 v1, vcc, v1, v11, vcc
	v_cmp_gt_i64_e32 vcc, s[4:5], v[0:1]
	s_and_saveexec_b64 s[0:1], vcc
	s_cbranch_execz .LBB69_34
; %bb.25:
	s_add_u32 s6, s22, -1
	s_addc_u32 s7, s23, -1
	v_mov_b32_e32 v2, s6
	s_add_u32 s0, s22, -2
	v_mov_b32_e32 v3, s7
	s_addc_u32 s1, s23, -1
	v_cmp_lt_i64_e32 vcc, s[20:21], v[2:3]
	s_cmp_lg_u64 s[20:21], s[0:1]
	s_cselect_b64 s[0:1], -1, 0
	s_and_b64 s[0:1], vcc, s[0:1]
	v_cndmask_b32_e64 v2, 0, 1, s[0:1]
	s_mov_b64 s[8:9], 0
	v_cmp_ne_u32_e64 s[0:1], 1, v2
	v_mov_b32_e32 v8, s13
	v_mov_b32_e32 v9, s15
	s_branch .LBB69_27
.LBB69_26:                              ;   in Loop: Header=BB69_27 Depth=1
	s_or_b64 exec, exec, s[2:3]
	v_add_co_u32_e32 v0, vcc, 0x100, v0
	v_addc_co_u32_e32 v1, vcc, 0, v1, vcc
	v_cmp_le_i64_e32 vcc, s[4:5], v[0:1]
	s_or_b64 s[8:9], vcc, s[8:9]
	s_andn2_b64 exec, exec, s[8:9]
	s_cbranch_execz .LBB69_34
.LBB69_27:                              ; =>This Loop Header: Depth=1
                                        ;     Child Loop BB69_29 Depth 2
                                        ;     Child Loop BB69_33 Depth 2
	v_mov_b32_e32 v2, s20
	v_mov_b32_e32 v4, s6
	s_and_b64 vcc, exec, s[0:1]
	v_mov_b32_e32 v3, s21
	v_mov_b32_e32 v5, s7
	s_cbranch_vccnz .LBB69_31
; %bb.28:                               ;   in Loop: Header=BB69_27 Depth=1
	v_mov_b32_e32 v2, s20
	v_mov_b32_e32 v4, s6
	s_mov_b64 s[22:23], 0
	v_mov_b32_e32 v3, s21
	v_mov_b32_e32 v5, s7
.LBB69_29:                              ;   Parent Loop BB69_27 Depth=1
                                        ; =>  This Inner Loop Header: Depth=2
	v_add_co_u32_e32 v6, vcc, v4, v2
	v_addc_co_u32_e32 v7, vcc, v5, v3, vcc
	v_lshrrev_b32_e32 v10, 31, v7
	v_add_co_u32_e32 v6, vcc, v6, v10
	v_addc_co_u32_e32 v7, vcc, 0, v7, vcc
	v_ashrrev_i64 v[6:7], 1, v[6:7]
	v_mov_b32_e32 v12, s13
	v_lshlrev_b64 v[10:11], 3, v[6:7]
	v_add_co_u32_e32 v10, vcc, s12, v10
	v_addc_co_u32_e32 v11, vcc, v12, v11, vcc
	global_load_dwordx2 v[10:11], v[10:11], off
	s_waitcnt vmcnt(0)
	v_subrev_co_u32_e32 v10, vcc, s10, v10
	v_subbrev_co_u32_e32 v11, vcc, 0, v11, vcc
	v_cmp_lt_i64_e32 vcc, v[0:1], v[10:11]
	v_cndmask_b32_e32 v4, v4, v6, vcc
	v_cndmask_b32_e32 v5, v5, v7, vcc
	;; [unrolled: 1-line block ×3, first 2 shown]
	v_add_co_u32_e64 v6, s[2:3], -1, v4
	v_cndmask_b32_e32 v3, v7, v3, vcc
	v_addc_co_u32_e64 v7, s[2:3], -1, v5, s[2:3]
	v_cmp_ge_i64_e32 vcc, v[2:3], v[4:5]
	v_cmp_eq_u64_e64 s[2:3], v[2:3], v[6:7]
	s_or_b64 s[2:3], vcc, s[2:3]
	s_and_b64 s[2:3], exec, s[2:3]
	s_or_b64 s[22:23], s[2:3], s[22:23]
	s_andn2_b64 exec, exec, s[22:23]
	s_cbranch_execnz .LBB69_29
; %bb.30:                               ;   in Loop: Header=BB69_27 Depth=1
	s_or_b64 exec, exec, s[22:23]
.LBB69_31:                              ;   in Loop: Header=BB69_27 Depth=1
	v_lshlrev_b64 v[6:7], 3, v[4:5]
	v_lshlrev_b64 v[10:11], 2, v[0:1]
	v_add_co_u32_e32 v6, vcc, s12, v6
	v_addc_co_u32_e32 v7, vcc, v8, v7, vcc
	global_load_dwordx2 v[6:7], v[6:7], off
	v_add_co_u32_e32 v10, vcc, s14, v10
	v_addc_co_u32_e32 v11, vcc, v9, v11, vcc
	global_load_dword v12, v[10:11], off
	s_waitcnt vmcnt(1)
	v_subrev_co_u32_e32 v10, vcc, s10, v6
	v_subbrev_co_u32_e32 v11, vcc, 0, v7, vcc
	v_cmp_lt_i64_e32 vcc, v[0:1], v[10:11]
	s_waitcnt vmcnt(0)
	v_subrev_u32_e32 v6, s10, v12
	v_cndmask_b32_e32 v3, v5, v3, vcc
	v_cndmask_b32_e32 v2, v4, v2, vcc
	v_ashrrev_i32_e32 v7, 31, v6
	v_cmp_ne_u64_e32 vcc, v[2:3], v[6:7]
	s_and_saveexec_b64 s[2:3], vcc
	s_cbranch_execz .LBB69_26
; %bb.32:                               ;   in Loop: Header=BB69_27 Depth=1
	v_lshlrev_b64 v[4:5], 2, v[6:7]
	v_lshlrev_b64 v[6:7], 1, v[0:1]
	v_mov_b32_e32 v10, s17
	v_add_co_u32_e32 v6, vcc, s16, v6
	v_lshlrev_b64 v[2:3], 1, v[2:3]
	v_addc_co_u32_e32 v7, vcc, v10, v7, vcc
	global_load_ushort v6, v[6:7], off
	v_mov_b32_e32 v7, s19
	v_add_co_u32_e32 v2, vcc, s18, v2
	v_addc_co_u32_e32 v3, vcc, v7, v3, vcc
	global_load_ushort v7, v[2:3], off
	v_mov_b32_e32 v3, s27
	v_add_co_u32_e32 v2, vcc, s26, v4
	v_addc_co_u32_e32 v3, vcc, v3, v5, vcc
	global_load_dword v5, v[2:3], off
	s_mov_b64 s[22:23], 0
	s_waitcnt vmcnt(2)
	v_cvt_f32_f16_e32 v4, v6
	v_mul_f32_e32 v4, s24, v4
	s_waitcnt vmcnt(1)
	v_cvt_f32_f16_e32 v6, v7
	v_mul_f32_e32 v6, v4, v6
.LBB69_33:                              ;   Parent Loop BB69_27 Depth=1
                                        ; =>  This Inner Loop Header: Depth=2
	s_waitcnt vmcnt(0)
	v_add_f32_e32 v4, v5, v6
	global_atomic_cmpswap v4, v[2:3], v[4:5], off glc
	s_waitcnt vmcnt(0)
	v_cmp_eq_u32_e32 vcc, v4, v5
	s_or_b64 s[22:23], vcc, s[22:23]
	v_mov_b32_e32 v5, v4
	s_andn2_b64 exec, exec, s[22:23]
	s_cbranch_execnz .LBB69_33
	s_branch .LBB69_26
.LBB69_34:
	s_endpgm
	.section	.rodata,"a",@progbits
	.p2align	6, 0x0
	.amdhsa_kernel _ZL33csrmvn_symm_large_adaptive_kernelIliDF16_DF16_ffEvbT_PKS0_N9rocsparse24const_host_device_scalarIT4_EES2_PKT0_PKT1_PKT2_S6_PT3_21rocsparse_index_base_b
		.amdhsa_group_segment_fixed_size 4096
		.amdhsa_private_segment_fixed_size 0
		.amdhsa_kernarg_size 88
		.amdhsa_user_sgpr_count 6
		.amdhsa_user_sgpr_private_segment_buffer 1
		.amdhsa_user_sgpr_dispatch_ptr 0
		.amdhsa_user_sgpr_queue_ptr 0
		.amdhsa_user_sgpr_kernarg_segment_ptr 1
		.amdhsa_user_sgpr_dispatch_id 0
		.amdhsa_user_sgpr_flat_scratch_init 0
		.amdhsa_user_sgpr_private_segment_size 0
		.amdhsa_uses_dynamic_stack 0
		.amdhsa_system_sgpr_private_segment_wavefront_offset 0
		.amdhsa_system_sgpr_workgroup_id_x 1
		.amdhsa_system_sgpr_workgroup_id_y 0
		.amdhsa_system_sgpr_workgroup_id_z 0
		.amdhsa_system_sgpr_workgroup_info 0
		.amdhsa_system_vgpr_workitem_id 0
		.amdhsa_next_free_vgpr 17
		.amdhsa_next_free_sgpr 40
		.amdhsa_reserve_vcc 1
		.amdhsa_reserve_flat_scratch 0
		.amdhsa_float_round_mode_32 0
		.amdhsa_float_round_mode_16_64 0
		.amdhsa_float_denorm_mode_32 3
		.amdhsa_float_denorm_mode_16_64 3
		.amdhsa_dx10_clamp 1
		.amdhsa_ieee_mode 1
		.amdhsa_fp16_overflow 0
		.amdhsa_exception_fp_ieee_invalid_op 0
		.amdhsa_exception_fp_denorm_src 0
		.amdhsa_exception_fp_ieee_div_zero 0
		.amdhsa_exception_fp_ieee_overflow 0
		.amdhsa_exception_fp_ieee_underflow 0
		.amdhsa_exception_fp_ieee_inexact 0
		.amdhsa_exception_int_div_zero 0
	.end_amdhsa_kernel
	.section	.text._ZL33csrmvn_symm_large_adaptive_kernelIliDF16_DF16_ffEvbT_PKS0_N9rocsparse24const_host_device_scalarIT4_EES2_PKT0_PKT1_PKT2_S6_PT3_21rocsparse_index_base_b,"axG",@progbits,_ZL33csrmvn_symm_large_adaptive_kernelIliDF16_DF16_ffEvbT_PKS0_N9rocsparse24const_host_device_scalarIT4_EES2_PKT0_PKT1_PKT2_S6_PT3_21rocsparse_index_base_b,comdat
.Lfunc_end69:
	.size	_ZL33csrmvn_symm_large_adaptive_kernelIliDF16_DF16_ffEvbT_PKS0_N9rocsparse24const_host_device_scalarIT4_EES2_PKT0_PKT1_PKT2_S6_PT3_21rocsparse_index_base_b, .Lfunc_end69-_ZL33csrmvn_symm_large_adaptive_kernelIliDF16_DF16_ffEvbT_PKS0_N9rocsparse24const_host_device_scalarIT4_EES2_PKT0_PKT1_PKT2_S6_PT3_21rocsparse_index_base_b
                                        ; -- End function
	.set _ZL33csrmvn_symm_large_adaptive_kernelIliDF16_DF16_ffEvbT_PKS0_N9rocsparse24const_host_device_scalarIT4_EES2_PKT0_PKT1_PKT2_S6_PT3_21rocsparse_index_base_b.num_vgpr, 17
	.set _ZL33csrmvn_symm_large_adaptive_kernelIliDF16_DF16_ffEvbT_PKS0_N9rocsparse24const_host_device_scalarIT4_EES2_PKT0_PKT1_PKT2_S6_PT3_21rocsparse_index_base_b.num_agpr, 0
	.set _ZL33csrmvn_symm_large_adaptive_kernelIliDF16_DF16_ffEvbT_PKS0_N9rocsparse24const_host_device_scalarIT4_EES2_PKT0_PKT1_PKT2_S6_PT3_21rocsparse_index_base_b.numbered_sgpr, 40
	.set _ZL33csrmvn_symm_large_adaptive_kernelIliDF16_DF16_ffEvbT_PKS0_N9rocsparse24const_host_device_scalarIT4_EES2_PKT0_PKT1_PKT2_S6_PT3_21rocsparse_index_base_b.num_named_barrier, 0
	.set _ZL33csrmvn_symm_large_adaptive_kernelIliDF16_DF16_ffEvbT_PKS0_N9rocsparse24const_host_device_scalarIT4_EES2_PKT0_PKT1_PKT2_S6_PT3_21rocsparse_index_base_b.private_seg_size, 0
	.set _ZL33csrmvn_symm_large_adaptive_kernelIliDF16_DF16_ffEvbT_PKS0_N9rocsparse24const_host_device_scalarIT4_EES2_PKT0_PKT1_PKT2_S6_PT3_21rocsparse_index_base_b.uses_vcc, 1
	.set _ZL33csrmvn_symm_large_adaptive_kernelIliDF16_DF16_ffEvbT_PKS0_N9rocsparse24const_host_device_scalarIT4_EES2_PKT0_PKT1_PKT2_S6_PT3_21rocsparse_index_base_b.uses_flat_scratch, 0
	.set _ZL33csrmvn_symm_large_adaptive_kernelIliDF16_DF16_ffEvbT_PKS0_N9rocsparse24const_host_device_scalarIT4_EES2_PKT0_PKT1_PKT2_S6_PT3_21rocsparse_index_base_b.has_dyn_sized_stack, 0
	.set _ZL33csrmvn_symm_large_adaptive_kernelIliDF16_DF16_ffEvbT_PKS0_N9rocsparse24const_host_device_scalarIT4_EES2_PKT0_PKT1_PKT2_S6_PT3_21rocsparse_index_base_b.has_recursion, 0
	.set _ZL33csrmvn_symm_large_adaptive_kernelIliDF16_DF16_ffEvbT_PKS0_N9rocsparse24const_host_device_scalarIT4_EES2_PKT0_PKT1_PKT2_S6_PT3_21rocsparse_index_base_b.has_indirect_call, 0
	.section	.AMDGPU.csdata,"",@progbits
; Kernel info:
; codeLenInByte = 1612
; TotalNumSgprs: 44
; NumVgprs: 17
; ScratchSize: 0
; MemoryBound: 0
; FloatMode: 240
; IeeeMode: 1
; LDSByteSize: 4096 bytes/workgroup (compile time only)
; SGPRBlocks: 5
; VGPRBlocks: 4
; NumSGPRsForWavesPerEU: 44
; NumVGPRsForWavesPerEU: 17
; Occupancy: 10
; WaveLimiterHint : 1
; COMPUTE_PGM_RSRC2:SCRATCH_EN: 0
; COMPUTE_PGM_RSRC2:USER_SGPR: 6
; COMPUTE_PGM_RSRC2:TRAP_HANDLER: 0
; COMPUTE_PGM_RSRC2:TGID_X_EN: 1
; COMPUTE_PGM_RSRC2:TGID_Y_EN: 0
; COMPUTE_PGM_RSRC2:TGID_Z_EN: 0
; COMPUTE_PGM_RSRC2:TIDIG_COMP_CNT: 0
	.section	.text._ZN9rocsparseL22csrmvn_adaptive_kernelIllDF16_DF16_ffEEvbT_PKS1_PjPKT0_NS_24const_host_device_scalarIT4_EES3_S7_PKT1_PKT2_SA_PT3_21rocsparse_index_base_b,"axG",@progbits,_ZN9rocsparseL22csrmvn_adaptive_kernelIllDF16_DF16_ffEEvbT_PKS1_PjPKT0_NS_24const_host_device_scalarIT4_EES3_S7_PKT1_PKT2_SA_PT3_21rocsparse_index_base_b,comdat
	.globl	_ZN9rocsparseL22csrmvn_adaptive_kernelIllDF16_DF16_ffEEvbT_PKS1_PjPKT0_NS_24const_host_device_scalarIT4_EES3_S7_PKT1_PKT2_SA_PT3_21rocsparse_index_base_b ; -- Begin function _ZN9rocsparseL22csrmvn_adaptive_kernelIllDF16_DF16_ffEEvbT_PKS1_PjPKT0_NS_24const_host_device_scalarIT4_EES3_S7_PKT1_PKT2_SA_PT3_21rocsparse_index_base_b
	.p2align	8
	.type	_ZN9rocsparseL22csrmvn_adaptive_kernelIllDF16_DF16_ffEEvbT_PKS1_PjPKT0_NS_24const_host_device_scalarIT4_EES3_S7_PKT1_PKT2_SA_PT3_21rocsparse_index_base_b,@function
_ZN9rocsparseL22csrmvn_adaptive_kernelIllDF16_DF16_ffEEvbT_PKS1_PjPKT0_NS_24const_host_device_scalarIT4_EES3_S7_PKT1_PKT2_SA_PT3_21rocsparse_index_base_b: ; @_ZN9rocsparseL22csrmvn_adaptive_kernelIllDF16_DF16_ffEEvbT_PKS1_PjPKT0_NS_24const_host_device_scalarIT4_EES3_S7_PKT1_PKT2_SA_PT3_21rocsparse_index_base_b
; %bb.0:
	s_load_dwordx2 s[50:51], s[4:5], 0x60
	s_load_dwordx2 s[48:49], s[4:5], 0x28
	;; [unrolled: 1-line block ×3, first 2 shown]
	s_waitcnt lgkmcnt(0)
	s_bitcmp1_b32 s51, 0
	s_cselect_b64 s[2:3], -1, 0
	s_xor_b64 s[0:1], s[2:3], -1
	s_and_b64 vcc, exec, s[2:3]
	s_cbranch_vccnz .LBB70_2
; %bb.1:
	s_load_dword s48, s[48:49], 0x0
.LBB70_2:
	s_andn2_b64 vcc, exec, s[0:1]
	s_cbranch_vccnz .LBB70_4
; %bb.3:
	s_load_dword s34, s[34:35], 0x0
.LBB70_4:
	s_waitcnt lgkmcnt(0)
	v_cmp_neq_f32_e64 s[0:1], s48, 0
	v_cmp_neq_f32_e64 s[2:3], s34, 1.0
	s_or_b64 s[0:1], s[0:1], s[2:3]
	s_andn2_b64 vcc, exec, s[0:1]
	s_cbranch_vccnz .LBB70_115
; %bb.5:
	s_load_dwordx2 s[0:1], s[4:5], 0x10
	s_load_dwordx2 s[2:3], s[4:5], 0x20
	s_ashr_i32 s7, s6, 31
	s_lshl_b64 s[8:9], s[6:7], 3
	s_waitcnt lgkmcnt(0)
	s_add_u32 s0, s0, s8
	s_addc_u32 s1, s1, s9
	s_load_dwordx4 s[36:39], s[0:1], 0x0
	s_load_dwordx2 s[40:41], s[4:5], 0x58
	s_load_dwordx8 s[24:31], s[4:5], 0x30
	s_waitcnt lgkmcnt(0)
	s_sub_u32 s0, s38, s36
	s_subb_u32 s1, s39, s37
	s_add_u32 s2, s2, s8
	s_addc_u32 s3, s3, s9
	s_lshl_b64 s[8:9], s[36:37], 3
	s_add_u32 s46, s24, s8
	s_addc_u32 s47, s25, s9
	s_load_dwordx2 s[42:43], s[2:3], 0x0
	s_load_dwordx2 s[44:45], s[46:47], 0x0
	v_cmp_lt_i64_e64 s[8:9], s[0:1], 2
	s_mov_b64 s[2:3], -1
	s_and_b64 vcc, exec, s[8:9]
	s_cbranch_vccz .LBB70_71
; %bb.6:
	s_cmp_lg_u64 s[0:1], 1
	s_cselect_b64 s[0:1], -1, 0
	s_waitcnt lgkmcnt(0)
	s_cmp_lg_u64 s[42:43], 0
	s_cselect_b64 s[2:3], -1, 0
	s_or_b64 s[0:1], s[0:1], s[2:3]
	s_mov_b64 s[18:19], -1
	s_and_b64 vcc, exec, s[0:1]
	v_cmp_gt_u32_e64 s[0:1], 64, v0
	v_cmp_gt_u32_e64 s[2:3], 32, v0
	;; [unrolled: 1-line block ×6, first 2 shown]
	v_cmp_eq_u32_e64 s[16:17], 0, v0
	s_cbranch_vccnz .LBB70_34
; %bb.7:
	v_subrev_co_u32_e32 v10, vcc, s50, v0
	v_cmp_neq_f32_e64 s[20:21], s34, 0
	v_subb_co_u32_e64 v11, s[18:19], 0, 0, vcc
	v_cndmask_b32_e64 v1, 0, 1, s[20:21]
	s_movk_i32 s18, 0x80
	v_cmp_ne_u32_e64 s[20:21], 1, v1
	v_mov_b32_e32 v1, s38
	v_mov_b32_e32 v9, 0
	v_lshlrev_b32_e32 v12, 2, v0
	v_cmp_gt_u32_e64 s[18:19], s18, v0
	v_mov_b32_e32 v2, s39
	s_movk_i32 s33, 0x100
	s_mov_b64 s[52:53], s[36:37]
	s_branch .LBB70_10
.LBB70_8:                               ;   in Loop: Header=BB70_10 Depth=1
	s_lshl_b64 s[54:55], s[52:53], 2
	s_add_u32 s54, s40, s54
	s_addc_u32 s55, s41, s55
	s_waitcnt lgkmcnt(0)
	global_store_dword v9, v3, s[54:55]
.LBB70_9:                               ;   in Loop: Header=BB70_10 Depth=1
	s_or_b64 exec, exec, s[22:23]
	s_add_u32 s52, s52, 1
	s_addc_u32 s53, s53, 0
	v_cmp_ge_i64_e32 vcc, s[52:53], v[1:2]
	s_cbranch_vccnz .LBB70_33
.LBB70_10:                              ; =>This Loop Header: Depth=1
                                        ;     Child Loop BB70_12 Depth 2
	s_lshl_b64 s[22:23], s[52:53], 3
	s_add_u32 s22, s24, s22
	s_addc_u32 s23, s25, s23
	s_load_dwordx4 s[56:59], s[22:23], 0x0
	v_mov_b32_e32 v13, 0
	s_waitcnt lgkmcnt(0)
	s_sub_u32 s54, s58, s50
	v_mov_b32_e32 v4, s57
	v_add_co_u32_e32 v3, vcc, s56, v10
	s_subb_u32 s55, s59, 0
	v_addc_co_u32_e32 v4, vcc, v4, v11, vcc
	v_cmp_gt_i64_e32 vcc, s[54:55], v[3:4]
	s_and_saveexec_b64 s[56:57], vcc
	s_cbranch_execz .LBB70_14
; %bb.11:                               ;   in Loop: Header=BB70_10 Depth=1
	v_lshlrev_b64 v[5:6], 1, v[3:4]
	v_mov_b32_e32 v7, s29
	v_add_co_u32_e32 v5, vcc, s28, v5
	v_addc_co_u32_e32 v6, vcc, v7, v6, vcc
	v_lshlrev_b64 v[7:8], 3, v[3:4]
	v_mov_b32_e32 v13, s27
	v_add_co_u32_e32 v7, vcc, s26, v7
	v_addc_co_u32_e32 v8, vcc, v13, v8, vcc
	v_mov_b32_e32 v13, 0
	s_mov_b64 s[58:59], 0
.LBB70_12:                              ;   Parent Loop BB70_10 Depth=1
                                        ; =>  This Inner Loop Header: Depth=2
	global_load_dwordx2 v[14:15], v[7:8], off
	global_load_ushort v16, v[5:6], off
	v_mov_b32_e32 v17, s31
	s_waitcnt vmcnt(1)
	v_subrev_co_u32_e32 v14, vcc, s50, v14
	v_subbrev_co_u32_e32 v15, vcc, 0, v15, vcc
	v_lshlrev_b64 v[14:15], 1, v[14:15]
	v_add_co_u32_e32 v14, vcc, s30, v14
	v_addc_co_u32_e32 v15, vcc, v17, v15, vcc
	global_load_ushort v14, v[14:15], off
	v_add_co_u32_e32 v3, vcc, s33, v3
	s_waitcnt vmcnt(1)
	v_cvt_f32_f16_e32 v15, v16
	v_addc_co_u32_e32 v4, vcc, 0, v4, vcc
	v_add_co_u32_e32 v5, vcc, 0x200, v5
	v_addc_co_u32_e32 v6, vcc, 0, v6, vcc
	v_cmp_le_i64_e64 s[22:23], s[54:55], v[3:4]
	v_add_co_u32_e32 v7, vcc, 0x800, v7
	v_mul_f32_e32 v15, s48, v15
	v_addc_co_u32_e32 v8, vcc, 0, v8, vcc
	s_or_b64 s[58:59], s[22:23], s[58:59]
	s_waitcnt vmcnt(0)
	v_fma_mix_f32 v13, v15, v14, v13 op_sel_hi:[0,1,0]
	s_andn2_b64 exec, exec, s[58:59]
	s_cbranch_execnz .LBB70_12
; %bb.13:                               ;   in Loop: Header=BB70_10 Depth=1
	s_or_b64 exec, exec, s[58:59]
.LBB70_14:                              ;   in Loop: Header=BB70_10 Depth=1
	s_or_b64 exec, exec, s[56:57]
	ds_write_b32 v12, v13
	s_waitcnt vmcnt(0) lgkmcnt(0)
	s_barrier
	s_and_saveexec_b64 s[22:23], s[18:19]
	s_cbranch_execz .LBB70_16
; %bb.15:                               ;   in Loop: Header=BB70_10 Depth=1
	ds_read2st64_b32 v[3:4], v12 offset1:2
	s_waitcnt lgkmcnt(0)
	v_add_f32_e32 v3, v3, v4
	ds_write_b32 v12, v3
.LBB70_16:                              ;   in Loop: Header=BB70_10 Depth=1
	s_or_b64 exec, exec, s[22:23]
	s_waitcnt lgkmcnt(0)
	s_barrier
	s_and_saveexec_b64 s[22:23], s[0:1]
	s_cbranch_execz .LBB70_18
; %bb.17:                               ;   in Loop: Header=BB70_10 Depth=1
	ds_read2st64_b32 v[3:4], v12 offset1:1
	s_waitcnt lgkmcnt(0)
	v_add_f32_e32 v3, v3, v4
	ds_write_b32 v12, v3
.LBB70_18:                              ;   in Loop: Header=BB70_10 Depth=1
	s_or_b64 exec, exec, s[22:23]
	s_waitcnt lgkmcnt(0)
	s_barrier
	s_and_saveexec_b64 s[22:23], s[2:3]
	s_cbranch_execz .LBB70_20
; %bb.19:                               ;   in Loop: Header=BB70_10 Depth=1
	ds_read2_b32 v[3:4], v12 offset1:32
	s_waitcnt lgkmcnt(0)
	v_add_f32_e32 v3, v3, v4
	ds_write_b32 v12, v3
.LBB70_20:                              ;   in Loop: Header=BB70_10 Depth=1
	s_or_b64 exec, exec, s[22:23]
	s_waitcnt lgkmcnt(0)
	s_barrier
	s_and_saveexec_b64 s[22:23], s[8:9]
	s_cbranch_execz .LBB70_22
; %bb.21:                               ;   in Loop: Header=BB70_10 Depth=1
	ds_read2_b32 v[3:4], v12 offset1:16
	s_waitcnt lgkmcnt(0)
	v_add_f32_e32 v3, v3, v4
	ds_write_b32 v12, v3
.LBB70_22:                              ;   in Loop: Header=BB70_10 Depth=1
	;; [unrolled: 11-line block ×5, first 2 shown]
	s_or_b64 exec, exec, s[22:23]
	s_waitcnt lgkmcnt(0)
	s_barrier
	s_and_saveexec_b64 s[22:23], s[16:17]
	s_cbranch_execz .LBB70_30
; %bb.29:                               ;   in Loop: Header=BB70_10 Depth=1
	ds_read_b64 v[3:4], v9
	s_waitcnt lgkmcnt(0)
	v_add_f32_e32 v3, v3, v4
	ds_write_b32 v9, v3
.LBB70_30:                              ;   in Loop: Header=BB70_10 Depth=1
	s_or_b64 exec, exec, s[22:23]
	s_waitcnt lgkmcnt(0)
	s_barrier
	s_and_saveexec_b64 s[22:23], s[16:17]
	s_cbranch_execz .LBB70_9
; %bb.31:                               ;   in Loop: Header=BB70_10 Depth=1
	ds_read_b32 v3, v9
	s_and_b64 vcc, exec, s[20:21]
	s_cbranch_vccnz .LBB70_8
; %bb.32:                               ;   in Loop: Header=BB70_10 Depth=1
	s_lshl_b64 s[54:55], s[52:53], 2
	s_add_u32 s54, s40, s54
	s_addc_u32 s55, s41, s55
	global_load_dword v4, v9, s[54:55]
	s_waitcnt vmcnt(0) lgkmcnt(0)
	v_fmac_f32_e32 v3, s34, v4
	s_branch .LBB70_8
.LBB70_33:
	s_mov_b64 s[18:19], 0
.LBB70_34:
	s_and_b64 vcc, exec, s[18:19]
	s_cbranch_vccz .LBB70_70
; %bb.35:
	s_load_dwordx2 s[8:9], s[4:5], 0x18
	s_sub_u32 s10, s6, s42
	s_subb_u32 s11, s7, s43
	s_lshl_b64 s[0:1], s[6:7], 2
	v_mov_b32_e32 v8, 0
	s_waitcnt lgkmcnt(0)
	s_add_u32 s6, s8, s0
	s_addc_u32 s7, s9, s1
	global_load_dword v7, v8, s[6:7]
	s_cmp_lg_u64 s[42:43], 0
	s_cselect_b64 s[12:13], -1, 0
	s_cmp_eq_u64 s[42:43], 0
	s_cselect_b64 s[2:3], -1, 0
	v_cmp_eq_u32_e64 s[0:1], 0, v0
	s_and_b64 s[14:15], s[0:1], s[2:3]
	s_and_saveexec_b64 s[2:3], s[14:15]
	s_cbranch_execz .LBB70_39
; %bb.36:
	s_lshl_b64 s[16:17], s[36:37], 2
	s_add_u32 s16, s40, s16
	s_addc_u32 s17, s41, s17
	v_mov_b32_e32 v3, 0
	global_load_dword v1, v3, s[16:17]
	s_mov_b64 s[14:15], exec
	v_mbcnt_lo_u32_b32 v4, s14, 0
	v_mbcnt_hi_u32_b32 v4, s15, v4
	v_add_f32_e64 v2, s34, -1.0
	v_cmp_eq_u32_e32 vcc, 0, v4
	s_waitcnt vmcnt(0) expcnt(0) lgkmcnt(0)
	s_and_saveexec_b64 s[16:17], vcc
	s_cbranch_execz .LBB70_38
; %bb.37:
	s_lshl_b64 s[18:19], s[10:11], 2
	s_add_u32 s18, s8, s18
	s_addc_u32 s19, s9, s19
	s_bcnt1_i32_b64 s14, s[14:15]
	s_and_b32 s14, s14, 1
	v_mov_b32_e32 v4, s14
	global_atomic_xor v3, v4, s[18:19]
.LBB70_38:
	s_or_b64 exec, exec, s[16:17]
	v_mul_f32_e32 v8, v2, v1
.LBB70_39:
	s_or_b64 exec, exec, s[2:3]
	s_mul_i32 s2, s43, 0xc00
	s_mul_hi_u32 s3, s42, 0xc00
	s_add_i32 s14, s3, s2
	s_load_dwordx2 s[2:3], s[46:47], 0x8
	s_sub_u32 s16, s44, s50
	s_mul_i32 s15, s42, 0xc00
	s_subb_u32 s17, s45, 0
	s_add_u32 s16, s16, s15
	s_addc_u32 s17, s17, s14
	s_waitcnt lgkmcnt(0)
	s_sub_u32 s2, s2, s50
	v_mov_b32_e32 v2, s17
	v_add_co_u32_e32 v1, vcc, s16, v0
	s_subb_u32 s3, s3, 0
	v_addc_co_u32_e32 v2, vcc, 0, v2, vcc
	v_cmp_gt_i64_e32 vcc, s[2:3], v[1:2]
	s_and_saveexec_b64 s[14:15], vcc
	s_cbranch_execz .LBB70_43
; %bb.40:
	s_add_u32 s16, s16, 0xc00
	v_mov_b32_e32 v4, s3
	s_addc_u32 s17, s17, 0
	v_mov_b32_e32 v3, s2
	v_cmp_lt_i64_e32 vcc, s[16:17], v[3:4]
	v_lshlrev_b64 v[3:4], 1, v[1:2]
	s_and_b64 s[18:19], vcc, exec
	v_mov_b32_e32 v5, s29
	v_add_co_u32_e32 v3, vcc, s28, v3
	v_addc_co_u32_e32 v4, vcc, v5, v4, vcc
	v_lshlrev_b64 v[5:6], 3, v[1:2]
	v_mov_b32_e32 v9, s27
	v_add_co_u32_e32 v5, vcc, s26, v5
	s_cselect_b32 s17, s17, s3
	s_cselect_b32 s16, s16, s2
	v_addc_co_u32_e32 v6, vcc, v9, v6, vcc
	s_mov_b64 s[18:19], 0
	v_mov_b32_e32 v9, s31
	s_movk_i32 s20, 0x100
.LBB70_41:                              ; =>This Inner Loop Header: Depth=1
	global_load_dwordx2 v[10:11], v[5:6], off
	global_load_ushort v12, v[3:4], off
	s_waitcnt vmcnt(1)
	v_subrev_co_u32_e32 v10, vcc, s50, v10
	v_subbrev_co_u32_e32 v11, vcc, 0, v11, vcc
	v_lshlrev_b64 v[10:11], 1, v[10:11]
	v_add_co_u32_e32 v10, vcc, s30, v10
	v_addc_co_u32_e32 v11, vcc, v9, v11, vcc
	global_load_ushort v10, v[10:11], off
	v_add_co_u32_e32 v1, vcc, s20, v1
	s_waitcnt vmcnt(1)
	v_cvt_f32_f16_e32 v11, v12
	v_addc_co_u32_e32 v2, vcc, 0, v2, vcc
	v_add_co_u32_e32 v3, vcc, 0x200, v3
	v_addc_co_u32_e32 v4, vcc, 0, v4, vcc
	v_cmp_le_i64_e64 s[2:3], s[16:17], v[1:2]
	v_add_co_u32_e32 v5, vcc, 0x800, v5
	v_mul_f32_e32 v11, s48, v11
	v_addc_co_u32_e32 v6, vcc, 0, v6, vcc
	s_or_b64 s[18:19], s[2:3], s[18:19]
	s_waitcnt vmcnt(0)
	v_fma_mix_f32 v8, v11, v10, v8 op_sel_hi:[0,1,0]
	s_andn2_b64 exec, exec, s[18:19]
	s_cbranch_execnz .LBB70_41
; %bb.42:
	s_or_b64 exec, exec, s[18:19]
.LBB70_43:
	s_or_b64 exec, exec, s[14:15]
	s_movk_i32 s2, 0x80
	v_lshlrev_b32_e32 v1, 2, v0
	v_cmp_gt_u32_e32 vcc, s2, v0
	ds_write_b32 v1, v8
	s_waitcnt vmcnt(0) lgkmcnt(0)
	s_barrier
	s_and_saveexec_b64 s[2:3], vcc
	s_cbranch_execz .LBB70_45
; %bb.44:
	ds_read2st64_b32 v[2:3], v1 offset1:2
	s_waitcnt lgkmcnt(0)
	v_add_f32_e32 v2, v2, v3
	ds_write_b32 v1, v2
.LBB70_45:
	s_or_b64 exec, exec, s[2:3]
	v_cmp_gt_u32_e32 vcc, 64, v0
	s_waitcnt lgkmcnt(0)
	s_barrier
	s_and_saveexec_b64 s[2:3], vcc
	s_cbranch_execz .LBB70_47
; %bb.46:
	ds_read2st64_b32 v[2:3], v1 offset1:1
	s_waitcnt lgkmcnt(0)
	v_add_f32_e32 v2, v2, v3
	ds_write_b32 v1, v2
.LBB70_47:
	s_or_b64 exec, exec, s[2:3]
	v_cmp_gt_u32_e32 vcc, 32, v0
	s_waitcnt lgkmcnt(0)
	s_barrier
	s_and_saveexec_b64 s[2:3], vcc
	s_cbranch_execz .LBB70_49
; %bb.48:
	ds_read2_b32 v[2:3], v1 offset1:32
	s_waitcnt lgkmcnt(0)
	v_add_f32_e32 v2, v2, v3
	ds_write_b32 v1, v2
.LBB70_49:
	s_or_b64 exec, exec, s[2:3]
	v_cmp_gt_u32_e32 vcc, 16, v0
	s_waitcnt lgkmcnt(0)
	s_barrier
	s_and_saveexec_b64 s[2:3], vcc
	s_cbranch_execz .LBB70_51
; %bb.50:
	ds_read2_b32 v[2:3], v1 offset1:16
	s_waitcnt lgkmcnt(0)
	v_add_f32_e32 v2, v2, v3
	ds_write_b32 v1, v2
.LBB70_51:
	;; [unrolled: 12-line block ×5, first 2 shown]
	s_or_b64 exec, exec, s[2:3]
	s_waitcnt lgkmcnt(0)
	s_barrier
	s_and_saveexec_b64 s[2:3], s[0:1]
	s_cbranch_execz .LBB70_59
; %bb.58:
	v_mov_b32_e32 v3, 0
	ds_read_b64 v[1:2], v3
	s_waitcnt lgkmcnt(0)
	v_add_f32_e32 v1, v1, v2
	ds_write_b32 v3, v1
.LBB70_59:
	s_or_b64 exec, exec, s[2:3]
	s_waitcnt lgkmcnt(0)
	s_barrier
	s_and_saveexec_b64 s[2:3], s[0:1]
	s_cbranch_execz .LBB70_69
; %bb.60:
	s_andn2_b64 vcc, exec, s[12:13]
	s_cbranch_vccnz .LBB70_66
; %bb.61:
	s_lshl_b64 s[0:1], s[10:11], 2
	s_add_u32 s0, s8, s0
	s_addc_u32 s1, s9, s1
	v_mov_b32_e32 v1, 0
	s_branch .LBB70_63
.LBB70_62:                              ;   in Loop: Header=BB70_63 Depth=1
	s_or_b64 exec, exec, s[8:9]
	s_waitcnt vmcnt(0)
	v_readfirstlane_b32 s8, v2
	v_cmp_eq_u32_e32 vcc, s8, v7
	s_cbranch_vccz .LBB70_65
.LBB70_63:                              ; =>This Inner Loop Header: Depth=1
	v_mbcnt_lo_u32_b32 v2, exec_lo, 0
	v_mbcnt_hi_u32_b32 v2, exec_hi, v2
	v_cmp_eq_u32_e32 vcc, 0, v2
                                        ; implicit-def: $vgpr2
	s_and_saveexec_b64 s[8:9], vcc
	s_cbranch_execz .LBB70_62
; %bb.64:                               ;   in Loop: Header=BB70_63 Depth=1
	global_load_dword v2, v1, s[0:1] glc
	s_branch .LBB70_62
.LBB70_65:
	v_mov_b32_e32 v1, 0
	global_load_ushort v2, v1, s[6:7]
	s_waitcnt vmcnt(0)
	v_xor_b32_e32 v2, 1, v2
	global_store_short v1, v2, s[6:7]
.LBB70_66:
	s_mov_b64 s[6:7], exec
	v_mbcnt_lo_u32_b32 v1, s6, 0
	v_mbcnt_hi_u32_b32 v1, s7, v1
	v_cmp_eq_u32_e32 vcc, 0, v1
	s_and_b64 s[0:1], exec, vcc
	s_mov_b64 exec, s[0:1]
	s_cbranch_execz .LBB70_69
; %bb.67:
	s_lshl_b64 s[0:1], s[36:37], 2
	s_add_u32 s0, s40, s0
	s_addc_u32 s1, s41, s1
	v_mov_b32_e32 v3, 0
	global_load_dword v2, v3, s[0:1]
	ds_read_b32 v1, v3
	s_bcnt1_i32_b64 s6, s[6:7]
	v_cvt_f32_ubyte0_e32 v4, s6
	s_mov_b64 s[6:7], 0
	s_waitcnt lgkmcnt(0)
	v_mul_f32_e32 v4, v1, v4
.LBB70_68:                              ; =>This Inner Loop Header: Depth=1
	s_waitcnt vmcnt(0)
	v_add_f32_e32 v1, v2, v4
	global_atomic_cmpswap v1, v3, v[1:2], s[0:1] glc
	s_waitcnt vmcnt(0)
	v_cmp_eq_u32_e32 vcc, v1, v2
	s_or_b64 s[6:7], vcc, s[6:7]
	v_mov_b32_e32 v2, v1
	s_andn2_b64 exec, exec, s[6:7]
	s_cbranch_execnz .LBB70_68
.LBB70_69:
	s_or_b64 exec, exec, s[2:3]
.LBB70_70:
	s_mov_b64 s[2:3], 0
.LBB70_71:
	s_andn2_b64 vcc, exec, s[2:3]
	s_cbranch_vccnz .LBB70_115
; %bb.72:
	s_load_dwordx2 s[0:1], s[4:5], 0x8
	v_subrev_co_u32_e32 v1, vcc, s50, v0
	v_subb_co_u32_e64 v2, s[2:3], 0, 0, vcc
	s_waitcnt lgkmcnt(0)
	v_mov_b32_e32 v3, s45
	v_add_co_u32_e32 v1, vcc, s44, v1
	v_addc_co_u32_e32 v2, vcc, v3, v2, vcc
	v_add_co_u32_e32 v3, vcc, 0x300, v1
	v_addc_co_u32_e32 v4, vcc, 0, v2, vcc
	v_cmp_le_i64_e32 vcc, s[0:1], v[3:4]
	s_and_saveexec_b64 s[0:1], vcc
	s_xor_b64 s[2:3], exec, s[0:1]
	s_cbranch_execz .LBB70_77
; %bb.73:
	s_lshl_b64 s[0:1], s[38:39], 3
	s_add_u32 s0, s24, s0
	s_addc_u32 s1, s25, s1
	s_load_dwordx2 s[0:1], s[0:1], 0x0
	s_waitcnt lgkmcnt(0)
	s_sub_u32 s4, s0, s50
	s_subb_u32 s5, s1, 0
	v_cmp_gt_i64_e32 vcc, s[4:5], v[1:2]
	s_and_saveexec_b64 s[6:7], vcc
	s_cbranch_execz .LBB70_76
; %bb.74:
	v_lshlrev_b64 v[3:4], 1, v[1:2]
	v_mov_b32_e32 v5, s29
	v_add_co_u32_e32 v3, vcc, s28, v3
	v_addc_co_u32_e32 v4, vcc, v5, v4, vcc
	v_lshlrev_b64 v[5:6], 3, v[1:2]
	v_mov_b32_e32 v8, s27
	v_add_co_u32_e32 v5, vcc, s26, v5
	v_lshlrev_b32_e32 v7, 2, v0
	v_addc_co_u32_e32 v6, vcc, v8, v6, vcc
	s_mov_b64 s[8:9], 0
	v_mov_b32_e32 v8, s31
	s_movk_i32 s10, 0x100
.LBB70_75:                              ; =>This Inner Loop Header: Depth=1
	global_load_dwordx2 v[9:10], v[5:6], off
	global_load_ushort v11, v[3:4], off
	s_waitcnt vmcnt(1)
	v_subrev_co_u32_e32 v9, vcc, s50, v9
	v_subbrev_co_u32_e32 v10, vcc, 0, v10, vcc
	v_lshlrev_b64 v[9:10], 1, v[9:10]
	v_add_co_u32_e32 v9, vcc, s30, v9
	v_addc_co_u32_e32 v10, vcc, v8, v10, vcc
	global_load_ushort v9, v[9:10], off
	s_waitcnt vmcnt(1)
	v_cvt_f32_f16_e32 v10, v11
	v_add_co_u32_e32 v1, vcc, s10, v1
	v_addc_co_u32_e32 v2, vcc, 0, v2, vcc
	v_add_co_u32_e32 v3, vcc, 0x200, v3
	v_addc_co_u32_e32 v4, vcc, 0, v4, vcc
	v_cmp_le_i64_e64 s[0:1], s[4:5], v[1:2]
	v_mul_f32_e32 v10, s48, v10
	v_add_co_u32_e32 v5, vcc, 0x800, v5
	v_addc_co_u32_e32 v6, vcc, 0, v6, vcc
	s_or_b64 s[8:9], s[0:1], s[8:9]
	s_waitcnt vmcnt(0)
	v_cvt_f32_f16_e32 v9, v9
	v_mul_f32_e32 v9, v10, v9
	ds_write_b32 v7, v9
	v_add_u32_e32 v7, 0x400, v7
	s_andn2_b64 exec, exec, s[8:9]
	s_cbranch_execnz .LBB70_75
.LBB70_76:
	s_or_b64 exec, exec, s[6:7]
                                        ; implicit-def: $vgpr1_vgpr2
.LBB70_77:
	s_or_saveexec_b64 s[0:1], s[2:3]
	v_lshlrev_b32_e32 v9, 2, v0
	s_xor_b64 exec, exec, s[0:1]
	s_cbranch_execz .LBB70_79
; %bb.78:
	v_lshlrev_b64 v[3:4], 3, v[1:2]
	v_mov_b32_e32 v5, s27
	v_add_co_u32_e32 v3, vcc, s26, v3
	v_addc_co_u32_e32 v4, vcc, v5, v4, vcc
	global_load_dwordx2 v[5:6], v[3:4], off
	global_load_dwordx2 v[7:8], v[3:4], off offset:2048
	s_movk_i32 s2, 0x1000
	v_add_co_u32_e32 v3, vcc, s2, v3
	v_addc_co_u32_e32 v4, vcc, 0, v4, vcc
	global_load_dwordx2 v[10:11], v[3:4], off
	global_load_dwordx2 v[12:13], v[3:4], off offset:2048
	v_lshlrev_b64 v[1:2], 1, v[1:2]
	v_mov_b32_e32 v3, s29
	v_add_co_u32_e32 v1, vcc, s28, v1
	v_addc_co_u32_e32 v2, vcc, v3, v2, vcc
	global_load_ushort v18, v[1:2], off
	global_load_ushort v19, v[1:2], off offset:512
	global_load_ushort v20, v[1:2], off offset:1024
	;; [unrolled: 1-line block ×3, first 2 shown]
	v_mov_b32_e32 v14, s31
	v_mov_b32_e32 v15, s31
	;; [unrolled: 1-line block ×4, first 2 shown]
	s_waitcnt vmcnt(7)
	v_subrev_co_u32_e32 v1, vcc, s50, v5
	v_subbrev_co_u32_e32 v2, vcc, 0, v6, vcc
	s_waitcnt vmcnt(6)
	v_subrev_co_u32_e32 v3, vcc, s50, v7
	v_subbrev_co_u32_e32 v4, vcc, 0, v8, vcc
	;; [unrolled: 3-line block ×3, first 2 shown]
	v_lshlrev_b64 v[1:2], 1, v[1:2]
	s_waitcnt vmcnt(4)
	v_subrev_co_u32_e32 v7, vcc, s50, v12
	v_subbrev_co_u32_e32 v8, vcc, 0, v13, vcc
	v_lshlrev_b64 v[3:4], 1, v[3:4]
	v_add_co_u32_e32 v1, vcc, s30, v1
	v_addc_co_u32_e32 v2, vcc, v14, v2, vcc
	v_lshlrev_b64 v[5:6], 1, v[5:6]
	v_add_co_u32_e32 v3, vcc, s30, v3
	v_addc_co_u32_e32 v4, vcc, v15, v4, vcc
	v_lshlrev_b64 v[7:8], 1, v[7:8]
	global_load_ushort v10, v[1:2], off
	global_load_ushort v11, v[3:4], off
	v_add_co_u32_e32 v1, vcc, s30, v5
	v_addc_co_u32_e32 v2, vcc, v16, v6, vcc
	v_add_co_u32_e32 v3, vcc, s30, v7
	v_addc_co_u32_e32 v4, vcc, v17, v8, vcc
	global_load_ushort v5, v[1:2], off
	global_load_ushort v6, v[3:4], off
	s_waitcnt vmcnt(7)
	v_cvt_f32_f16_e32 v1, v18
	s_waitcnt vmcnt(6)
	v_cvt_f32_f16_e32 v2, v19
	;; [unrolled: 2-line block ×4, first 2 shown]
	v_mul_f32_e32 v1, s48, v1
	v_mul_f32_e32 v2, s48, v2
	;; [unrolled: 1-line block ×4, first 2 shown]
	s_waitcnt vmcnt(3)
	v_cvt_f32_f16_e32 v7, v10
	s_waitcnt vmcnt(2)
	v_cvt_f32_f16_e32 v8, v11
	v_mul_f32_e32 v1, v1, v7
	v_mul_f32_e32 v2, v2, v8
	ds_write2st64_b32 v9, v1, v2 offset1:4
	s_waitcnt vmcnt(1)
	v_cvt_f32_f16_e32 v5, v5
	s_waitcnt vmcnt(0)
	v_cvt_f32_f16_e32 v6, v6
	v_mul_f32_e32 v1, v3, v5
	v_mul_f32_e32 v2, v4, v6
	ds_write2st64_b32 v9, v1, v2 offset0:8 offset1:12
.LBB70_79:
	s_or_b64 exec, exec, s[0:1]
	v_cmp_lt_i64_e64 s[2:3], s[42:43], 2
	s_mov_b64 s[0:1], -1
	s_and_b64 vcc, exec, s[2:3]
	s_waitcnt vmcnt(0) lgkmcnt(0)
	s_barrier
	s_cbranch_vccz .LBB70_90
; %bb.80:
	v_mov_b32_e32 v1, s37
	v_add_co_u32_e32 v5, vcc, s36, v0
	v_addc_co_u32_e32 v6, vcc, 0, v1, vcc
	v_cmp_gt_i64_e32 vcc, s[38:39], v[5:6]
	s_and_saveexec_b64 s[2:3], vcc
	s_cbranch_execz .LBB70_89
; %bb.81:
	s_lshl_b32 s0, s44, 2
	v_cmp_neq_f32_e64 s[4:5], s34, 0
	s_sub_i32 s10, 0, s0
	s_mov_b64 s[6:7], 0
	v_mov_b32_e32 v10, s25
	v_mov_b32_e32 v11, s41
	s_branch .LBB70_83
.LBB70_82:                              ;   in Loop: Header=BB70_83 Depth=1
	v_add_co_u32_e32 v5, vcc, 0x100, v5
	v_addc_co_u32_e32 v6, vcc, 0, v6, vcc
	v_cmp_le_i64_e32 vcc, s[38:39], v[5:6]
	v_add_co_u32_e64 v1, s[0:1], s40, v1
	v_addc_co_u32_e64 v2, s[0:1], v11, v2, s[0:1]
	s_or_b64 s[6:7], vcc, s[6:7]
	global_store_dword v[1:2], v12, off
	s_andn2_b64 exec, exec, s[6:7]
	s_cbranch_execz .LBB70_89
.LBB70_83:                              ; =>This Loop Header: Depth=1
                                        ;     Child Loop BB70_85 Depth 2
	v_lshlrev_b64 v[1:2], 3, v[5:6]
	v_mov_b32_e32 v12, 0
	v_add_co_u32_e32 v1, vcc, s24, v1
	v_addc_co_u32_e32 v2, vcc, v10, v2, vcc
	global_load_dwordx4 v[1:4], v[1:2], off
	s_waitcnt vmcnt(0)
	v_cmp_lt_i64_e32 vcc, v[1:2], v[3:4]
	s_and_saveexec_b64 s[0:1], vcc
	s_cbranch_execz .LBB70_87
; %bb.84:                               ;   in Loop: Header=BB70_83 Depth=1
	v_mov_b32_e32 v7, s45
	v_subrev_co_u32_e32 v3, vcc, s44, v3
	v_subb_co_u32_e32 v4, vcc, v4, v7, vcc
	v_mov_b32_e32 v8, s45
	v_subrev_co_u32_e32 v7, vcc, s44, v1
	v_subb_co_u32_e32 v8, vcc, v2, v8, vcc
	v_lshl_add_u32 v1, v1, 2, s10
	v_mov_b32_e32 v12, 0
	s_mov_b64 s[8:9], 0
.LBB70_85:                              ;   Parent Loop BB70_83 Depth=1
                                        ; =>  This Inner Loop Header: Depth=2
	ds_read_b32 v2, v1
	v_add_co_u32_e32 v7, vcc, 1, v7
	v_addc_co_u32_e32 v8, vcc, 0, v8, vcc
	v_cmp_ge_i64_e32 vcc, v[7:8], v[3:4]
	v_add_u32_e32 v1, 4, v1
	s_or_b64 s[8:9], vcc, s[8:9]
	s_waitcnt lgkmcnt(0)
	v_add_f32_e32 v12, v12, v2
	s_andn2_b64 exec, exec, s[8:9]
	s_cbranch_execnz .LBB70_85
; %bb.86:                               ;   in Loop: Header=BB70_83 Depth=1
	s_or_b64 exec, exec, s[8:9]
.LBB70_87:                              ;   in Loop: Header=BB70_83 Depth=1
	s_or_b64 exec, exec, s[0:1]
	v_lshlrev_b64 v[1:2], 2, v[5:6]
	s_and_b64 vcc, exec, s[4:5]
	s_cbranch_vccz .LBB70_82
; %bb.88:                               ;   in Loop: Header=BB70_83 Depth=1
	v_mov_b32_e32 v4, s41
	v_add_co_u32_e32 v3, vcc, s40, v1
	v_addc_co_u32_e32 v4, vcc, v4, v2, vcc
	global_load_dword v3, v[3:4], off
	s_waitcnt vmcnt(0)
	v_fmac_f32_e32 v12, s34, v3
	s_branch .LBB70_82
.LBB70_89:
	s_or_b64 exec, exec, s[2:3]
	s_mov_b64 s[0:1], 0
.LBB70_90:
	s_andn2_b64 vcc, exec, s[0:1]
	s_cbranch_vccnz .LBB70_115
; %bb.91:
	s_flbit_i32_b32 s0, s42
	s_min_u32 s0, s0, 32
	s_sub_i32 s0, 31, s0
	v_lshrrev_b32_e32 v5, s0, v0
	v_mov_b32_e32 v2, s37
	v_add_co_u32_e32 v1, vcc, s36, v5
	v_addc_co_u32_e32 v2, vcc, 0, v2, vcc
	s_add_i32 s0, s42, -1
	v_mov_b32_e32 v4, 0
	v_and_b32_e32 v3, s0, v0
	v_cmp_le_i64_e64 s[0:1], s[38:39], v[1:2]
	v_cmp_gt_i64_e32 vcc, s[38:39], v[1:2]
	v_mov_b32_e32 v0, v4
	s_and_saveexec_b64 s[2:3], vcc
	s_cbranch_execz .LBB70_97
; %bb.92:
	v_lshlrev_b32_e32 v0, 3, v5
	global_load_dwordx4 v[10:13], v0, s[46:47]
	v_mov_b32_e32 v5, s45
	v_subrev_co_u32_e32 v7, vcc, s44, v3
	v_subb_co_u32_e32 v8, vcc, 0, v5, vcc
	v_mov_b32_e32 v0, s45
	s_waitcnt vmcnt(0)
	v_subrev_co_u32_e32 v5, vcc, s44, v12
	v_subb_co_u32_e32 v6, vcc, v13, v0, vcc
	v_add_co_u32_e32 v7, vcc, v10, v7
	v_addc_co_u32_e32 v8, vcc, v11, v8, vcc
	v_cmp_lt_i64_e32 vcc, v[7:8], v[5:6]
	v_mov_b32_e32 v0, 0
	s_and_saveexec_b64 s[4:5], vcc
	s_cbranch_execz .LBB70_96
; %bb.93:
	v_lshlrev_b32_e32 v10, 2, v7
	s_lshl_b32 s8, s42, 2
	v_mov_b32_e32 v0, 0
	s_mov_b64 s[6:7], 0
	v_mov_b32_e32 v11, s43
.LBB70_94:                              ; =>This Inner Loop Header: Depth=1
	ds_read_b32 v12, v10
	v_add_co_u32_e32 v7, vcc, s42, v7
	v_addc_co_u32_e32 v8, vcc, v8, v11, vcc
	v_cmp_ge_i64_e32 vcc, v[7:8], v[5:6]
	v_add_u32_e32 v10, s8, v10
	s_or_b64 s[6:7], vcc, s[6:7]
	s_waitcnt lgkmcnt(0)
	v_add_f32_e32 v0, v0, v12
	s_andn2_b64 exec, exec, s[6:7]
	s_cbranch_execnz .LBB70_94
; %bb.95:
	s_or_b64 exec, exec, s[6:7]
.LBB70_96:
	s_or_b64 exec, exec, s[4:5]
.LBB70_97:
	s_or_b64 exec, exec, s[2:3]
	v_mov_b32_e32 v5, 0x81
	v_mov_b32_e32 v6, 0
	v_cmp_lt_u64_e32 vcc, s[42:43], v[5:6]
	s_and_b64 vcc, exec, vcc
	s_waitcnt vmcnt(0)
	s_barrier
	ds_write_b32 v9, v0
	s_waitcnt lgkmcnt(0)
	s_barrier
	s_cbranch_vccnz .LBB70_99
; %bb.98:
	ds_read_b32 v5, v9 offset:512
	s_waitcnt lgkmcnt(0)
	s_barrier
	v_add_f32_e32 v0, v0, v5
	ds_write_b32 v9, v0
.LBB70_99:
	v_mov_b32_e32 v5, 0x41
	v_mov_b32_e32 v6, 0
	v_cmp_lt_u64_e32 vcc, s[42:43], v[5:6]
	s_waitcnt lgkmcnt(0)
	s_barrier
	s_cbranch_vccnz .LBB70_101
; %bb.100:
	ds_read_b32 v5, v9 offset:256
	s_waitcnt lgkmcnt(0)
	s_barrier
	v_add_f32_e32 v0, v0, v5
	ds_write_b32 v9, v0
.LBB70_101:
	v_cmp_lt_u64_e64 s[2:3], s[42:43], 33
	s_waitcnt lgkmcnt(0)
	s_and_b64 vcc, exec, s[2:3]
	s_barrier
	s_cbranch_vccnz .LBB70_103
; %bb.102:
	ds_read_b32 v5, v9 offset:128
	s_waitcnt lgkmcnt(0)
	s_barrier
	v_add_f32_e32 v0, v0, v5
	ds_write_b32 v9, v0
.LBB70_103:
	v_cmp_lt_u64_e64 s[2:3], s[42:43], 17
	s_waitcnt lgkmcnt(0)
	s_and_b64 vcc, exec, s[2:3]
	s_barrier
	s_cbranch_vccnz .LBB70_105
; %bb.104:
	ds_read_b32 v5, v9 offset:64
	s_waitcnt lgkmcnt(0)
	s_barrier
	v_add_f32_e32 v0, v0, v5
	ds_write_b32 v9, v0
.LBB70_105:
	v_cmp_lt_u64_e64 s[2:3], s[42:43], 9
	s_waitcnt lgkmcnt(0)
	s_and_b64 vcc, exec, s[2:3]
	s_barrier
	s_cbranch_vccnz .LBB70_107
; %bb.106:
	ds_read_b32 v5, v9 offset:32
	s_waitcnt lgkmcnt(0)
	s_barrier
	v_add_f32_e32 v0, v0, v5
	ds_write_b32 v9, v0
.LBB70_107:
	v_cmp_lt_u64_e64 s[2:3], s[42:43], 5
	s_waitcnt lgkmcnt(0)
	s_and_b64 vcc, exec, s[2:3]
	s_barrier
	s_cbranch_vccnz .LBB70_109
; %bb.108:
	ds_read_b32 v5, v9 offset:16
	s_waitcnt lgkmcnt(0)
	s_barrier
	v_add_f32_e32 v0, v0, v5
	ds_write_b32 v9, v0
.LBB70_109:
	s_cmp_eq_u64 s[42:43], 2
	s_waitcnt lgkmcnt(0)
	s_barrier
	s_cbranch_scc1 .LBB70_111
; %bb.110:
	ds_read_b32 v5, v9 offset:8
	s_waitcnt lgkmcnt(0)
	s_barrier
	v_add_f32_e32 v0, v0, v5
	ds_write_b32 v9, v0
.LBB70_111:
	s_waitcnt lgkmcnt(0)
	s_barrier
	ds_read_b32 v5, v9 offset:4
	v_cmp_eq_u64_e32 vcc, 0, v[3:4]
	s_xor_b64 s[0:1], s[0:1], -1
	s_and_b64 s[0:1], vcc, s[0:1]
	s_waitcnt lgkmcnt(0)
	v_add_f32_e32 v5, v0, v5
	s_barrier
	ds_write_b32 v9, v5
	s_and_saveexec_b64 s[2:3], s[0:1]
	s_cbranch_execz .LBB70_115
; %bb.112:
	v_cmp_eq_f32_e64 s[0:1], s34, 0
	v_lshlrev_b64 v[0:1], 2, v[1:2]
	s_and_b64 vcc, exec, s[0:1]
	s_cbranch_vccnz .LBB70_114
; %bb.113:
	v_mov_b32_e32 v3, s41
	v_add_co_u32_e32 v2, vcc, s40, v0
	v_addc_co_u32_e32 v3, vcc, v3, v1, vcc
	global_load_dword v2, v[2:3], off
	s_waitcnt vmcnt(0)
	v_fmac_f32_e32 v5, s34, v2
.LBB70_114:
	v_mov_b32_e32 v2, s41
	v_add_co_u32_e32 v0, vcc, s40, v0
	v_addc_co_u32_e32 v1, vcc, v2, v1, vcc
	global_store_dword v[0:1], v5, off
.LBB70_115:
	s_endpgm
	.section	.rodata,"a",@progbits
	.p2align	6, 0x0
	.amdhsa_kernel _ZN9rocsparseL22csrmvn_adaptive_kernelIllDF16_DF16_ffEEvbT_PKS1_PjPKT0_NS_24const_host_device_scalarIT4_EES3_S7_PKT1_PKT2_SA_PT3_21rocsparse_index_base_b
		.amdhsa_group_segment_fixed_size 4096
		.amdhsa_private_segment_fixed_size 0
		.amdhsa_kernarg_size 104
		.amdhsa_user_sgpr_count 6
		.amdhsa_user_sgpr_private_segment_buffer 1
		.amdhsa_user_sgpr_dispatch_ptr 0
		.amdhsa_user_sgpr_queue_ptr 0
		.amdhsa_user_sgpr_kernarg_segment_ptr 1
		.amdhsa_user_sgpr_dispatch_id 0
		.amdhsa_user_sgpr_flat_scratch_init 0
		.amdhsa_user_sgpr_private_segment_size 0
		.amdhsa_uses_dynamic_stack 0
		.amdhsa_system_sgpr_private_segment_wavefront_offset 0
		.amdhsa_system_sgpr_workgroup_id_x 1
		.amdhsa_system_sgpr_workgroup_id_y 0
		.amdhsa_system_sgpr_workgroup_id_z 0
		.amdhsa_system_sgpr_workgroup_info 0
		.amdhsa_system_vgpr_workitem_id 0
		.amdhsa_next_free_vgpr 22
		.amdhsa_next_free_sgpr 60
		.amdhsa_reserve_vcc 1
		.amdhsa_reserve_flat_scratch 0
		.amdhsa_float_round_mode_32 0
		.amdhsa_float_round_mode_16_64 0
		.amdhsa_float_denorm_mode_32 3
		.amdhsa_float_denorm_mode_16_64 3
		.amdhsa_dx10_clamp 1
		.amdhsa_ieee_mode 1
		.amdhsa_fp16_overflow 0
		.amdhsa_exception_fp_ieee_invalid_op 0
		.amdhsa_exception_fp_denorm_src 0
		.amdhsa_exception_fp_ieee_div_zero 0
		.amdhsa_exception_fp_ieee_overflow 0
		.amdhsa_exception_fp_ieee_underflow 0
		.amdhsa_exception_fp_ieee_inexact 0
		.amdhsa_exception_int_div_zero 0
	.end_amdhsa_kernel
	.section	.text._ZN9rocsparseL22csrmvn_adaptive_kernelIllDF16_DF16_ffEEvbT_PKS1_PjPKT0_NS_24const_host_device_scalarIT4_EES3_S7_PKT1_PKT2_SA_PT3_21rocsparse_index_base_b,"axG",@progbits,_ZN9rocsparseL22csrmvn_adaptive_kernelIllDF16_DF16_ffEEvbT_PKS1_PjPKT0_NS_24const_host_device_scalarIT4_EES3_S7_PKT1_PKT2_SA_PT3_21rocsparse_index_base_b,comdat
.Lfunc_end70:
	.size	_ZN9rocsparseL22csrmvn_adaptive_kernelIllDF16_DF16_ffEEvbT_PKS1_PjPKT0_NS_24const_host_device_scalarIT4_EES3_S7_PKT1_PKT2_SA_PT3_21rocsparse_index_base_b, .Lfunc_end70-_ZN9rocsparseL22csrmvn_adaptive_kernelIllDF16_DF16_ffEEvbT_PKS1_PjPKT0_NS_24const_host_device_scalarIT4_EES3_S7_PKT1_PKT2_SA_PT3_21rocsparse_index_base_b
                                        ; -- End function
	.set _ZN9rocsparseL22csrmvn_adaptive_kernelIllDF16_DF16_ffEEvbT_PKS1_PjPKT0_NS_24const_host_device_scalarIT4_EES3_S7_PKT1_PKT2_SA_PT3_21rocsparse_index_base_b.num_vgpr, 22
	.set _ZN9rocsparseL22csrmvn_adaptive_kernelIllDF16_DF16_ffEEvbT_PKS1_PjPKT0_NS_24const_host_device_scalarIT4_EES3_S7_PKT1_PKT2_SA_PT3_21rocsparse_index_base_b.num_agpr, 0
	.set _ZN9rocsparseL22csrmvn_adaptive_kernelIllDF16_DF16_ffEEvbT_PKS1_PjPKT0_NS_24const_host_device_scalarIT4_EES3_S7_PKT1_PKT2_SA_PT3_21rocsparse_index_base_b.numbered_sgpr, 60
	.set _ZN9rocsparseL22csrmvn_adaptive_kernelIllDF16_DF16_ffEEvbT_PKS1_PjPKT0_NS_24const_host_device_scalarIT4_EES3_S7_PKT1_PKT2_SA_PT3_21rocsparse_index_base_b.num_named_barrier, 0
	.set _ZN9rocsparseL22csrmvn_adaptive_kernelIllDF16_DF16_ffEEvbT_PKS1_PjPKT0_NS_24const_host_device_scalarIT4_EES3_S7_PKT1_PKT2_SA_PT3_21rocsparse_index_base_b.private_seg_size, 0
	.set _ZN9rocsparseL22csrmvn_adaptive_kernelIllDF16_DF16_ffEEvbT_PKS1_PjPKT0_NS_24const_host_device_scalarIT4_EES3_S7_PKT1_PKT2_SA_PT3_21rocsparse_index_base_b.uses_vcc, 1
	.set _ZN9rocsparseL22csrmvn_adaptive_kernelIllDF16_DF16_ffEEvbT_PKS1_PjPKT0_NS_24const_host_device_scalarIT4_EES3_S7_PKT1_PKT2_SA_PT3_21rocsparse_index_base_b.uses_flat_scratch, 0
	.set _ZN9rocsparseL22csrmvn_adaptive_kernelIllDF16_DF16_ffEEvbT_PKS1_PjPKT0_NS_24const_host_device_scalarIT4_EES3_S7_PKT1_PKT2_SA_PT3_21rocsparse_index_base_b.has_dyn_sized_stack, 0
	.set _ZN9rocsparseL22csrmvn_adaptive_kernelIllDF16_DF16_ffEEvbT_PKS1_PjPKT0_NS_24const_host_device_scalarIT4_EES3_S7_PKT1_PKT2_SA_PT3_21rocsparse_index_base_b.has_recursion, 0
	.set _ZN9rocsparseL22csrmvn_adaptive_kernelIllDF16_DF16_ffEEvbT_PKS1_PjPKT0_NS_24const_host_device_scalarIT4_EES3_S7_PKT1_PKT2_SA_PT3_21rocsparse_index_base_b.has_indirect_call, 0
	.section	.AMDGPU.csdata,"",@progbits
; Kernel info:
; codeLenInByte = 4084
; TotalNumSgprs: 64
; NumVgprs: 22
; ScratchSize: 0
; MemoryBound: 0
; FloatMode: 240
; IeeeMode: 1
; LDSByteSize: 4096 bytes/workgroup (compile time only)
; SGPRBlocks: 7
; VGPRBlocks: 5
; NumSGPRsForWavesPerEU: 64
; NumVGPRsForWavesPerEU: 22
; Occupancy: 10
; WaveLimiterHint : 1
; COMPUTE_PGM_RSRC2:SCRATCH_EN: 0
; COMPUTE_PGM_RSRC2:USER_SGPR: 6
; COMPUTE_PGM_RSRC2:TRAP_HANDLER: 0
; COMPUTE_PGM_RSRC2:TGID_X_EN: 1
; COMPUTE_PGM_RSRC2:TGID_Y_EN: 0
; COMPUTE_PGM_RSRC2:TGID_Z_EN: 0
; COMPUTE_PGM_RSRC2:TIDIG_COMP_CNT: 0
	.section	.text._ZN9rocsparseL27csrmvn_symm_adaptive_kernelIllDF16_DF16_ffEEvbT_S1_PKS1_NS_24const_host_device_scalarIT4_EES3_PKT0_PKT1_PKT2_S6_PT3_21rocsparse_index_base_b,"axG",@progbits,_ZN9rocsparseL27csrmvn_symm_adaptive_kernelIllDF16_DF16_ffEEvbT_S1_PKS1_NS_24const_host_device_scalarIT4_EES3_PKT0_PKT1_PKT2_S6_PT3_21rocsparse_index_base_b,comdat
	.globl	_ZN9rocsparseL27csrmvn_symm_adaptive_kernelIllDF16_DF16_ffEEvbT_S1_PKS1_NS_24const_host_device_scalarIT4_EES3_PKT0_PKT1_PKT2_S6_PT3_21rocsparse_index_base_b ; -- Begin function _ZN9rocsparseL27csrmvn_symm_adaptive_kernelIllDF16_DF16_ffEEvbT_S1_PKS1_NS_24const_host_device_scalarIT4_EES3_PKT0_PKT1_PKT2_S6_PT3_21rocsparse_index_base_b
	.p2align	8
	.type	_ZN9rocsparseL27csrmvn_symm_adaptive_kernelIllDF16_DF16_ffEEvbT_S1_PKS1_NS_24const_host_device_scalarIT4_EES3_PKT0_PKT1_PKT2_S6_PT3_21rocsparse_index_base_b,@function
_ZN9rocsparseL27csrmvn_symm_adaptive_kernelIllDF16_DF16_ffEEvbT_S1_PKS1_NS_24const_host_device_scalarIT4_EES3_PKT0_PKT1_PKT2_S6_PT3_21rocsparse_index_base_b: ; @_ZN9rocsparseL27csrmvn_symm_adaptive_kernelIllDF16_DF16_ffEEvbT_S1_PKS1_NS_24const_host_device_scalarIT4_EES3_PKT0_PKT1_PKT2_S6_PT3_21rocsparse_index_base_b
; %bb.0:
	s_load_dwordx2 s[30:31], s[4:5], 0x58
	s_load_dwordx2 s[38:39], s[4:5], 0x20
	;; [unrolled: 1-line block ×3, first 2 shown]
	s_waitcnt lgkmcnt(0)
	s_bitcmp1_b32 s31, 0
	s_cselect_b64 s[8:9], -1, 0
	s_xor_b64 s[2:3], s[8:9], -1
	s_and_b64 vcc, exec, s[8:9]
	s_cbranch_vccnz .LBB71_2
; %bb.1:
	s_load_dword s38, s[38:39], 0x0
.LBB71_2:
	s_andn2_b64 vcc, exec, s[2:3]
	s_cbranch_vccnz .LBB71_4
; %bb.3:
	s_load_dword s0, s[0:1], 0x0
.LBB71_4:
	s_waitcnt lgkmcnt(0)
	v_cmp_neq_f32_e64 s[2:3], s38, 0
	v_cmp_neq_f32_e64 s[0:1], s0, 1.0
	s_or_b64 s[0:1], s[2:3], s[0:1]
	s_andn2_b64 vcc, exec, s[0:1]
	s_cbranch_vccnz .LBB71_154
; %bb.5:
	s_load_dwordx2 s[0:1], s[4:5], 0x18
	s_ashr_i32 s7, s6, 31
	s_lshl_b64 s[2:3], s[6:7], 3
	v_lshlrev_b32_e32 v14, 2, v0
	v_mov_b32_e32 v1, 0
	s_waitcnt lgkmcnt(0)
	s_add_u32 s0, s0, s2
	s_addc_u32 s1, s1, s3
	ds_write2st64_b32 v14, v1, v1 offset1:4
	ds_write2st64_b32 v14, v1, v1 offset0:8 offset1:12
	s_waitcnt lgkmcnt(0)
	s_barrier
	s_load_dwordx4 s[24:27], s[0:1], 0x0
	s_load_dwordx8 s[16:23], s[4:5], 0x28
	s_load_dwordx2 s[14:15], s[4:5], 0x50
	s_mov_b64 s[0:1], -1
	s_waitcnt lgkmcnt(0)
	s_sub_u32 s28, s26, s24
	s_subb_u32 s29, s27, s25
	v_cmp_gt_i64_e64 s[2:3], s[28:29], 2
	s_and_b64 vcc, exec, s[2:3]
	s_cbranch_vccnz .LBB71_38
; %bb.6:
	v_mov_b32_e32 v1, s24
	v_mov_b32_e32 v2, s25
	v_cmp_le_i64_e32 vcc, s[26:27], v[1:2]
	v_subrev_co_u32_e64 v9, s[0:1], s30, v0
	v_subb_co_u32_e64 v10, s[0:1], 0, 0, s[0:1]
	s_cbranch_vccnz .LBB71_27
; %bb.7:
	s_movk_i32 s31, 0x100
	v_mov_b32_e32 v1, s26
	v_cmp_gt_u32_e64 s[0:1], s31, v0
	v_cmp_gt_u32_e64 s[2:3], 64, v0
	;; [unrolled: 1-line block ×4, first 2 shown]
	v_cmp_eq_u32_e64 s[10:11], 0, v0
	v_mov_b32_e32 v11, 0
	v_mov_b32_e32 v2, s27
	s_mov_b64 s[34:35], s[24:25]
	s_branch .LBB71_9
.LBB71_8:                               ;   in Loop: Header=BB71_9 Depth=1
	s_or_b64 exec, exec, s[12:13]
	s_add_u32 s34, s34, 1
	s_addc_u32 s35, s35, 0
	v_cmp_ge_i64_e32 vcc, s[34:35], v[1:2]
	s_cbranch_vccnz .LBB71_27
.LBB71_9:                               ; =>This Loop Header: Depth=1
                                        ;     Child Loop BB71_11 Depth 2
                                        ;     Child Loop BB71_26 Depth 2
	s_lshl_b64 s[12:13], s[34:35], 3
	s_add_u32 s12, s16, s12
	s_addc_u32 s13, s17, s13
	s_load_dwordx4 s[40:43], s[12:13], 0x0
	v_mov_b32_e32 v12, 0
	s_waitcnt lgkmcnt(0)
	s_sub_u32 s36, s42, s30
	v_mov_b32_e32 v4, s41
	v_add_co_u32_e32 v3, vcc, s40, v9
	s_subb_u32 s37, s43, 0
	v_addc_co_u32_e32 v4, vcc, v4, v10, vcc
	v_cmp_gt_i64_e32 vcc, s[36:37], v[3:4]
	s_and_saveexec_b64 s[40:41], vcc
	s_cbranch_execz .LBB71_13
; %bb.10:                               ;   in Loop: Header=BB71_9 Depth=1
	v_lshlrev_b64 v[5:6], 3, v[3:4]
	v_mov_b32_e32 v7, s19
	v_add_co_u32_e32 v5, vcc, s18, v5
	v_addc_co_u32_e32 v6, vcc, v7, v6, vcc
	v_lshlrev_b64 v[7:8], 1, v[3:4]
	v_mov_b32_e32 v12, s21
	v_add_co_u32_e32 v7, vcc, s20, v7
	v_addc_co_u32_e32 v8, vcc, v12, v8, vcc
	v_mov_b32_e32 v12, 0
	s_mov_b64 s[42:43], 0
.LBB71_11:                              ;   Parent Loop BB71_9 Depth=1
                                        ; =>  This Inner Loop Header: Depth=2
	global_load_dwordx2 v[15:16], v[5:6], off
	global_load_ushort v13, v[7:8], off
	v_mov_b32_e32 v17, s23
	s_waitcnt vmcnt(1)
	v_subrev_co_u32_e32 v15, vcc, s30, v15
	v_subbrev_co_u32_e32 v16, vcc, 0, v16, vcc
	v_lshlrev_b64 v[15:16], 1, v[15:16]
	v_add_co_u32_e32 v15, vcc, s22, v15
	v_addc_co_u32_e32 v16, vcc, v17, v16, vcc
	global_load_ushort v15, v[15:16], off
	v_add_co_u32_e32 v3, vcc, s31, v3
	v_addc_co_u32_e32 v4, vcc, 0, v4, vcc
	v_add_co_u32_e32 v5, vcc, 0x800, v5
	v_addc_co_u32_e32 v6, vcc, 0, v6, vcc
	v_cmp_le_i64_e64 s[12:13], s[36:37], v[3:4]
	v_add_co_u32_e32 v7, vcc, 0x200, v7
	v_addc_co_u32_e32 v8, vcc, 0, v8, vcc
	s_or_b64 s[42:43], s[12:13], s[42:43]
	s_waitcnt vmcnt(0)
	v_fma_mix_f32 v12, v13, v15, v12 op_sel_hi:[1,1,0]
	s_andn2_b64 exec, exec, s[42:43]
	s_cbranch_execnz .LBB71_11
; %bb.12:                               ;   in Loop: Header=BB71_9 Depth=1
	s_or_b64 exec, exec, s[42:43]
.LBB71_13:                              ;   in Loop: Header=BB71_9 Depth=1
	s_or_b64 exec, exec, s[40:41]
	ds_write_b32 v14, v12
	s_waitcnt lgkmcnt(0)
	s_barrier
	s_and_saveexec_b64 s[12:13], s[0:1]
	s_cbranch_execz .LBB71_15
; %bb.14:                               ;   in Loop: Header=BB71_9 Depth=1
	ds_read2st64_b32 v[3:4], v14 offset1:4
	ds_read2st64_b32 v[5:6], v14 offset0:8 offset1:12
	s_waitcnt lgkmcnt(0)
	v_add_f32_e32 v4, v4, v5
	v_add_f32_e32 v4, v4, v6
	;; [unrolled: 1-line block ×3, first 2 shown]
	ds_write_b32 v14, v3
.LBB71_15:                              ;   in Loop: Header=BB71_9 Depth=1
	s_or_b64 exec, exec, s[12:13]
	s_waitcnt lgkmcnt(0)
	s_barrier
	s_and_saveexec_b64 s[12:13], s[2:3]
	s_cbranch_execz .LBB71_17
; %bb.16:                               ;   in Loop: Header=BB71_9 Depth=1
	ds_read2st64_b32 v[3:4], v14 offset1:1
	ds_read2st64_b32 v[5:6], v14 offset0:2 offset1:3
	s_waitcnt lgkmcnt(0)
	v_add_f32_e32 v4, v4, v5
	v_add_f32_e32 v4, v4, v6
	;; [unrolled: 1-line block ×3, first 2 shown]
	ds_write_b32 v14, v3
.LBB71_17:                              ;   in Loop: Header=BB71_9 Depth=1
	s_or_b64 exec, exec, s[12:13]
	s_waitcnt lgkmcnt(0)
	s_barrier
	s_and_saveexec_b64 s[12:13], s[6:7]
	s_cbranch_execz .LBB71_19
; %bb.18:                               ;   in Loop: Header=BB71_9 Depth=1
	ds_read2_b32 v[3:4], v14 offset1:16
	ds_read2_b32 v[5:6], v14 offset0:32 offset1:48
	s_waitcnt lgkmcnt(0)
	v_add_f32_e32 v4, v4, v5
	v_add_f32_e32 v4, v4, v6
	;; [unrolled: 1-line block ×3, first 2 shown]
	ds_write_b32 v14, v3
.LBB71_19:                              ;   in Loop: Header=BB71_9 Depth=1
	s_or_b64 exec, exec, s[12:13]
	s_waitcnt lgkmcnt(0)
	s_barrier
	s_and_saveexec_b64 s[12:13], s[8:9]
	s_cbranch_execz .LBB71_21
; %bb.20:                               ;   in Loop: Header=BB71_9 Depth=1
	ds_read2_b32 v[3:4], v14 offset1:4
	ds_read2_b32 v[5:6], v14 offset0:8 offset1:12
	s_waitcnt lgkmcnt(0)
	v_add_f32_e32 v4, v4, v5
	v_add_f32_e32 v4, v4, v6
	;; [unrolled: 1-line block ×3, first 2 shown]
	ds_write_b32 v14, v3
.LBB71_21:                              ;   in Loop: Header=BB71_9 Depth=1
	s_or_b64 exec, exec, s[12:13]
	s_waitcnt lgkmcnt(0)
	s_barrier
	s_and_saveexec_b64 s[12:13], s[10:11]
	s_cbranch_execz .LBB71_23
; %bb.22:                               ;   in Loop: Header=BB71_9 Depth=1
	ds_read2_b32 v[3:4], v11 offset0:1 offset1:2
	ds_read_b32 v5, v11 offset:12
	ds_read_b32 v6, v14
	s_waitcnt lgkmcnt(2)
	v_add_f32_e32 v3, v3, v4
	s_waitcnt lgkmcnt(1)
	v_add_f32_e32 v3, v3, v5
	s_waitcnt lgkmcnt(0)
	v_add_f32_e32 v3, v6, v3
	ds_write_b32 v14, v3
.LBB71_23:                              ;   in Loop: Header=BB71_9 Depth=1
	s_or_b64 exec, exec, s[12:13]
	s_waitcnt lgkmcnt(0)
	s_barrier
	s_and_saveexec_b64 s[12:13], s[10:11]
	s_cbranch_execz .LBB71_8
; %bb.24:                               ;   in Loop: Header=BB71_9 Depth=1
	s_mov_b64 s[40:41], exec
	v_mbcnt_lo_u32_b32 v3, s40, 0
	v_mbcnt_hi_u32_b32 v3, s41, v3
	v_cmp_eq_u32_e32 vcc, 0, v3
	s_and_b64 s[36:37], exec, vcc
	s_mov_b64 exec, s[36:37]
	s_cbranch_execz .LBB71_8
; %bb.25:                               ;   in Loop: Header=BB71_9 Depth=1
	s_lshl_b64 s[36:37], s[34:35], 2
	s_add_u32 s36, s14, s36
	s_addc_u32 s37, s15, s37
	global_load_dword v4, v11, s[36:37]
	ds_read_b32 v3, v11
	s_bcnt1_i32_b64 s33, s[40:41]
	v_cvt_f32_ubyte0_e32 v5, s33
	s_mov_b64 s[40:41], 0
	s_waitcnt lgkmcnt(0)
	v_mul_f32_e32 v3, s38, v3
	v_mul_f32_e32 v5, v3, v5
.LBB71_26:                              ;   Parent Loop BB71_9 Depth=1
                                        ; =>  This Inner Loop Header: Depth=2
	s_waitcnt vmcnt(0)
	v_add_f32_e32 v3, v4, v5
	global_atomic_cmpswap v3, v11, v[3:4], s[36:37] glc
	s_waitcnt vmcnt(0)
	v_cmp_eq_u32_e32 vcc, v3, v4
	s_or_b64 s[40:41], vcc, s[40:41]
	v_mov_b32_e32 v4, v3
	s_andn2_b64 exec, exec, s[40:41]
	s_cbranch_execnz .LBB71_26
	s_branch .LBB71_8
.LBB71_27:
	s_lshl_b64 s[0:1], s[24:25], 3
	s_add_u32 s0, s16, s0
	s_addc_u32 s1, s17, s1
	s_lshl_b64 s[2:3], s[26:27], 3
	s_add_u32 s2, s16, s2
	s_addc_u32 s3, s17, s3
	s_load_dwordx2 s[8:9], s[0:1], 0x0
	s_load_dwordx2 s[6:7], s[2:3], 0x0
	s_waitcnt lgkmcnt(0)
	v_mov_b32_e32 v2, s9
	s_sub_u32 s6, s6, s30
	v_add_co_u32_e32 v1, vcc, s8, v9
	s_subb_u32 s7, s7, 0
	v_addc_co_u32_e32 v2, vcc, v2, v10, vcc
	v_cmp_gt_i64_e32 vcc, s[6:7], v[1:2]
	s_and_saveexec_b64 s[8:9], vcc
	s_cbranch_execz .LBB71_37
; %bb.28:
	s_add_u32 s10, s26, -1
	s_addc_u32 s11, s27, -1
	v_mov_b32_e32 v3, s10
	s_add_u32 s0, s26, -2
	v_mov_b32_e32 v4, s11
	s_addc_u32 s1, s27, -1
	v_cmp_lt_i64_e32 vcc, s[24:25], v[3:4]
	s_cmp_lg_u64 s[24:25], s[0:1]
	s_cselect_b64 s[0:1], -1, 0
	s_and_b64 s[0:1], vcc, s[0:1]
	v_cndmask_b32_e64 v3, 0, 1, s[0:1]
	s_mov_b64 s[12:13], 0
	v_cmp_ne_u32_e64 s[0:1], 1, v3
	v_mov_b32_e32 v7, s17
	v_mov_b32_e32 v8, s19
	s_branch .LBB71_30
.LBB71_29:                              ;   in Loop: Header=BB71_30 Depth=1
	s_or_b64 exec, exec, s[2:3]
	v_add_co_u32_e32 v1, vcc, 0x100, v1
	v_addc_co_u32_e32 v2, vcc, 0, v2, vcc
	v_cmp_le_i64_e32 vcc, s[6:7], v[1:2]
	s_or_b64 s[12:13], vcc, s[12:13]
	s_andn2_b64 exec, exec, s[12:13]
	s_cbranch_execz .LBB71_37
.LBB71_30:                              ; =>This Loop Header: Depth=1
                                        ;     Child Loop BB71_32 Depth 2
                                        ;     Child Loop BB71_36 Depth 2
	v_mov_b32_e32 v3, s24
	v_mov_b32_e32 v5, s10
	s_and_b64 vcc, exec, s[0:1]
	v_mov_b32_e32 v4, s25
	v_mov_b32_e32 v6, s11
	s_cbranch_vccnz .LBB71_34
; %bb.31:                               ;   in Loop: Header=BB71_30 Depth=1
	v_mov_b32_e32 v3, s24
	v_mov_b32_e32 v5, s10
	s_mov_b64 s[34:35], 0
	v_mov_b32_e32 v4, s25
	v_mov_b32_e32 v6, s11
.LBB71_32:                              ;   Parent Loop BB71_30 Depth=1
                                        ; =>  This Inner Loop Header: Depth=2
	v_add_co_u32_e32 v9, vcc, v5, v3
	v_addc_co_u32_e32 v10, vcc, v6, v4, vcc
	v_lshrrev_b32_e32 v11, 31, v10
	v_add_co_u32_e32 v9, vcc, v9, v11
	v_addc_co_u32_e32 v10, vcc, 0, v10, vcc
	v_ashrrev_i64 v[9:10], 1, v[9:10]
	v_mov_b32_e32 v13, s17
	v_lshlrev_b64 v[11:12], 3, v[9:10]
	v_add_co_u32_e32 v11, vcc, s16, v11
	v_addc_co_u32_e32 v12, vcc, v13, v12, vcc
	global_load_dwordx2 v[11:12], v[11:12], off
	s_waitcnt vmcnt(0)
	v_subrev_co_u32_e32 v11, vcc, s30, v11
	v_subbrev_co_u32_e32 v12, vcc, 0, v12, vcc
	v_cmp_lt_i64_e32 vcc, v[1:2], v[11:12]
	v_cndmask_b32_e32 v5, v5, v9, vcc
	v_cndmask_b32_e32 v6, v6, v10, vcc
	;; [unrolled: 1-line block ×3, first 2 shown]
	v_add_co_u32_e64 v9, s[2:3], -1, v5
	v_cndmask_b32_e32 v4, v10, v4, vcc
	v_addc_co_u32_e64 v10, s[2:3], -1, v6, s[2:3]
	v_cmp_ge_i64_e32 vcc, v[3:4], v[5:6]
	v_cmp_eq_u64_e64 s[2:3], v[3:4], v[9:10]
	s_or_b64 s[2:3], vcc, s[2:3]
	s_and_b64 s[2:3], exec, s[2:3]
	s_or_b64 s[34:35], s[2:3], s[34:35]
	s_andn2_b64 exec, exec, s[34:35]
	s_cbranch_execnz .LBB71_32
; %bb.33:                               ;   in Loop: Header=BB71_30 Depth=1
	s_or_b64 exec, exec, s[34:35]
.LBB71_34:                              ;   in Loop: Header=BB71_30 Depth=1
	v_lshlrev_b64 v[9:10], 3, v[5:6]
	v_lshlrev_b64 v[11:12], 3, v[1:2]
	v_add_co_u32_e32 v9, vcc, s16, v9
	v_addc_co_u32_e32 v10, vcc, v7, v10, vcc
	global_load_dwordx2 v[9:10], v[9:10], off
	v_add_co_u32_e32 v11, vcc, s18, v11
	v_addc_co_u32_e32 v12, vcc, v8, v12, vcc
	global_load_dwordx2 v[11:12], v[11:12], off
	s_waitcnt vmcnt(1)
	v_subrev_co_u32_e32 v9, vcc, s30, v9
	v_subbrev_co_u32_e32 v10, vcc, 0, v10, vcc
	v_cmp_lt_i64_e32 vcc, v[1:2], v[9:10]
	v_cndmask_b32_e32 v4, v6, v4, vcc
	v_cndmask_b32_e32 v3, v5, v3, vcc
	s_waitcnt vmcnt(0)
	v_subrev_co_u32_e32 v5, vcc, s30, v11
	v_subbrev_co_u32_e32 v6, vcc, 0, v12, vcc
	v_cmp_ne_u64_e32 vcc, v[5:6], v[3:4]
	s_and_saveexec_b64 s[2:3], vcc
	s_cbranch_execz .LBB71_29
; %bb.35:                               ;   in Loop: Header=BB71_30 Depth=1
	v_lshlrev_b64 v[9:10], 1, v[1:2]
	v_mov_b32_e32 v11, s21
	v_add_co_u32_e32 v9, vcc, s20, v9
	v_lshlrev_b64 v[3:4], 1, v[3:4]
	v_addc_co_u32_e32 v10, vcc, v11, v10, vcc
	global_load_ushort v9, v[9:10], off
	v_mov_b32_e32 v10, s23
	v_add_co_u32_e32 v3, vcc, s22, v3
	v_addc_co_u32_e32 v4, vcc, v10, v4, vcc
	global_load_ushort v10, v[3:4], off
	v_lshlrev_b64 v[5:6], 2, v[5:6]
	v_mov_b32_e32 v4, s15
	v_add_co_u32_e32 v3, vcc, s14, v5
	v_addc_co_u32_e32 v4, vcc, v4, v6, vcc
	global_load_dword v6, v[3:4], off
	s_mov_b64 s[34:35], 0
	s_waitcnt vmcnt(2)
	v_cvt_f32_f16_e32 v5, v9
	v_mul_f32_e32 v5, s38, v5
	s_waitcnt vmcnt(1)
	v_cvt_f32_f16_e32 v9, v10
	v_mul_f32_e32 v9, v5, v9
.LBB71_36:                              ;   Parent Loop BB71_30 Depth=1
                                        ; =>  This Inner Loop Header: Depth=2
	s_waitcnt vmcnt(0)
	v_add_f32_e32 v5, v6, v9
	global_atomic_cmpswap v5, v[3:4], v[5:6], off glc
	s_waitcnt vmcnt(0)
	v_cmp_eq_u32_e32 vcc, v5, v6
	s_or_b64 s[34:35], vcc, s[34:35]
	v_mov_b32_e32 v6, v5
	s_andn2_b64 exec, exec, s[34:35]
	s_cbranch_execnz .LBB71_36
	s_branch .LBB71_29
.LBB71_37:
	s_or_b64 exec, exec, s[8:9]
	s_mov_b64 s[0:1], 0
.LBB71_38:
	s_and_b64 vcc, exec, s[0:1]
	s_cbranch_vccz .LBB71_154
; %bb.39:
	s_load_dword s0, s[4:5], 0x6c
	v_mov_b32_e32 v1, s28
	s_mov_b32 s13, 0
	v_mov_b32_e32 v2, s29
	s_mov_b64 s[36:37], 0
	s_waitcnt lgkmcnt(0)
	s_and_b32 s12, s0, 0xffff
	v_cmp_lt_u64_e32 vcc, s[12:13], v[1:2]
	s_cbranch_vccnz .LBB71_41
; %bb.40:
	v_cvt_f32_u32_e32 v1, s28
	s_sub_i32 s0, 0, s28
	v_rcp_iflag_f32_e32 v1, v1
	v_mul_f32_e32 v1, 0x4f7ffffe, v1
	v_cvt_u32_f32_e32 v1, v1
	v_readfirstlane_b32 s1, v1
	s_mul_i32 s0, s0, s1
	s_mul_hi_u32 s0, s1, s0
	s_add_i32 s1, s1, s0
	s_mul_hi_u32 s0, s12, s1
	s_mul_i32 s2, s0, s28
	s_sub_i32 s2, s12, s2
	s_add_i32 s1, s0, 1
	s_sub_i32 s3, s2, s28
	s_cmp_ge_u32 s2, s28
	s_cselect_b32 s0, s1, s0
	s_cselect_b32 s2, s3, s2
	s_add_i32 s1, s0, 1
	s_cmp_ge_u32 s2, s28
	s_cselect_b32 s36, s1, s0
.LBB71_41:
	s_lshl_b64 s[0:1], s[24:25], 3
	s_add_u32 s34, s16, s0
	s_addc_u32 s35, s17, s1
	s_load_dwordx2 s[6:7], s[34:35], 0x0
	s_load_dwordx4 s[8:11], s[4:5], 0x8
	v_subrev_co_u32_e32 v1, vcc, s30, v0
	v_subb_co_u32_e64 v2, s[0:1], 0, 0, vcc
	s_waitcnt lgkmcnt(0)
	v_mov_b32_e32 v3, s7
	v_add_co_u32_e32 v4, vcc, s6, v1
	v_addc_co_u32_e32 v5, vcc, v3, v2, vcc
	v_add_co_u32_e32 v2, vcc, 0x300, v4
	v_addc_co_u32_e32 v3, vcc, 0, v5, vcc
	v_cmp_le_i64_e64 s[0:1], s[8:9], v[2:3]
	v_mov_b32_e32 v1, 0
	s_and_saveexec_b64 s[2:3], s[0:1]
	s_xor_b64 s[2:3], exec, s[2:3]
	s_cbranch_execnz .LBB71_44
; %bb.42:
	s_andn2_saveexec_b64 s[2:3], s[2:3]
	s_cbranch_execnz .LBB71_48
.LBB71_43:
	s_or_b64 exec, exec, s[2:3]
	v_cmp_gt_i64_e32 vcc, s[10:11], v[0:1]
	s_and_saveexec_b64 s[2:3], vcc
	s_cbranch_execnz .LBB71_49
	s_branch .LBB71_51
.LBB71_44:
	s_lshl_b64 s[4:5], s[26:27], 3
	s_add_u32 s4, s16, s4
	s_addc_u32 s5, s17, s5
	s_load_dwordx2 s[4:5], s[4:5], 0x0
	s_waitcnt lgkmcnt(0)
	s_sub_u32 s4, s4, s6
	s_subb_u32 s5, s5, s7
	v_cmp_gt_i64_e32 vcc, s[4:5], v[0:1]
	s_and_saveexec_b64 s[8:9], vcc
	s_cbranch_execz .LBB71_47
; %bb.45:
	v_lshlrev_b64 v[6:7], 1, v[4:5]
	v_mov_b32_e32 v8, s21
	v_add_co_u32_e32 v6, vcc, s20, v6
	v_addc_co_u32_e32 v7, vcc, v8, v7, vcc
	v_mov_b32_e32 v9, v1
	s_mov_b64 s[40:41], 0
	v_mov_b32_e32 v10, v14
	v_mov_b32_e32 v8, v0
.LBB71_46:                              ; =>This Inner Loop Header: Depth=1
	global_load_ushort v11, v[6:7], off
	v_add_co_u32_e32 v6, vcc, 0x200, v6
	v_addc_co_u32_e32 v7, vcc, 0, v7, vcc
	v_add_co_u32_e32 v8, vcc, 0x100, v8
	v_addc_co_u32_e32 v9, vcc, 0, v9, vcc
	v_cmp_le_i64_e32 vcc, s[4:5], v[8:9]
	s_or_b64 s[40:41], vcc, s[40:41]
	s_waitcnt vmcnt(0)
	v_cvt_f32_f16_e32 v11, v11
	v_mul_f32_e32 v11, s38, v11
	ds_write_b32 v10, v11
	v_add_u32_e32 v10, 0x400, v10
	s_andn2_b64 exec, exec, s[40:41]
	s_cbranch_execnz .LBB71_46
.LBB71_47:
	s_or_b64 exec, exec, s[8:9]
	s_andn2_saveexec_b64 s[2:3], s[2:3]
	s_cbranch_execz .LBB71_43
.LBB71_48:
	v_lshlrev_b64 v[6:7], 1, v[4:5]
	v_mov_b32_e32 v8, s21
	v_add_co_u32_e32 v6, vcc, s20, v6
	v_addc_co_u32_e32 v7, vcc, v8, v7, vcc
	global_load_ushort v8, v[6:7], off
	global_load_ushort v9, v[6:7], off offset:512
	global_load_ushort v10, v[6:7], off offset:1024
	;; [unrolled: 1-line block ×3, first 2 shown]
	s_waitcnt vmcnt(3)
	v_cvt_f32_f16_e32 v6, v8
	s_waitcnt vmcnt(2)
	v_cvt_f32_f16_e32 v7, v9
	;; [unrolled: 2-line block ×4, first 2 shown]
	v_mul_f32_e32 v6, s38, v6
	v_mul_f32_e32 v7, s38, v7
	;; [unrolled: 1-line block ×4, first 2 shown]
	ds_write2st64_b32 v14, v6, v7 offset1:4
	ds_write2st64_b32 v14, v8, v9 offset0:8 offset1:12
	s_or_b64 exec, exec, s[2:3]
	v_cmp_gt_i64_e32 vcc, s[10:11], v[0:1]
	s_and_saveexec_b64 s[2:3], vcc
	s_cbranch_execz .LBB71_51
.LBB71_49:
	v_mov_b32_e32 v6, 0x1000
	v_lshl_add_u32 v8, v0, 2, v6
	v_mov_b32_e32 v7, v1
	s_mov_b64 s[4:5], 0
	v_mov_b32_e32 v9, 0
	v_mov_b32_e32 v6, v0
.LBB71_50:                              ; =>This Inner Loop Header: Depth=1
	v_add_co_u32_e32 v6, vcc, 0x100, v6
	v_addc_co_u32_e32 v7, vcc, 0, v7, vcc
	v_cmp_le_i64_e32 vcc, s[10:11], v[6:7]
	ds_write_b32 v8, v9
	s_or_b64 s[4:5], vcc, s[4:5]
	v_add_u32_e32 v8, 0x400, v8
	s_andn2_b64 exec, exec, s[4:5]
	s_cbranch_execnz .LBB71_50
.LBB71_51:
	s_or_b64 exec, exec, s[2:3]
	v_mov_b32_e32 v6, s10
	v_mov_b32_e32 v7, s11
	s_sub_u32 s4, s26, s10
	v_cmp_ge_i64_e32 vcc, s[26:27], v[6:7]
	s_subb_u32 s5, s27, s11
	s_and_b64 s[2:3], vcc, exec
	s_cselect_b32 s9, s5, 0
	s_cselect_b32 s8, s4, 0
	s_waitcnt lgkmcnt(0)
	s_barrier
	s_and_saveexec_b64 s[2:3], s[0:1]
	s_xor_b64 s[20:21], exec, s[2:3]
	s_cbranch_execz .LBB71_70
; %bb.52:
	s_lshl_b64 s[0:1], s[26:27], 3
	s_add_u32 s0, s16, s0
	s_addc_u32 s1, s17, s1
	s_load_dwordx2 s[0:1], s[0:1], 0x0
	s_waitcnt lgkmcnt(0)
	s_sub_u32 s38, s0, s6
	s_subb_u32 s39, s1, s7
	v_cmp_gt_i64_e32 vcc, s[38:39], v[0:1]
	s_and_saveexec_b64 s[40:41], vcc
	s_cbranch_execz .LBB71_69
; %bb.53:
	s_add_u32 s42, s26, -1
	s_addc_u32 s43, s27, -1
	s_add_u32 s2, s26, -2
	s_addc_u32 s3, s27, -1
	s_cmp_lg_u64 s[24:25], s[2:3]
	s_cselect_b64 s[2:3], -1, 0
	s_sub_u32 s44, s0, s30
	v_cndmask_b32_e64 v2, 0, 1, s[2:3]
	s_subb_u32 s45, s1, 0
	s_mov_b64 s[46:47], 0
	v_cmp_ne_u32_e64 s[0:1], 1, v2
	v_mov_b32_e32 v12, s17
	v_mov_b32_e32 v13, s19
	;; [unrolled: 1-line block ×3, first 2 shown]
	s_mov_b64 s[48:49], 0
	s_branch .LBB71_56
.LBB71_54:                              ;   in Loop: Header=BB71_56 Depth=1
	s_or_b64 exec, exec, s[2:3]
.LBB71_55:                              ;   in Loop: Header=BB71_56 Depth=1
	s_or_b64 exec, exec, s[4:5]
	v_lshlrev_b64 v[2:3], 1, v[2:3]
	v_mov_b32_e32 v6, s23
	v_add_co_u32_e32 v2, vcc, s22, v2
	v_addc_co_u32_e32 v3, vcc, v6, v3, vcc
	global_load_ushort v2, v[2:3], off
	s_add_u32 s48, s48, 0x100
	s_addc_u32 s49, s49, 0
	v_mov_b32_e32 v3, s49
	v_lshlrev_b32_e32 v6, 2, v10
	s_waitcnt vmcnt(0)
	v_cvt_f32_f16_e32 v7, v2
	v_add_co_u32_e32 v2, vcc, s48, v0
	v_addc_co_u32_e32 v3, vcc, 0, v3, vcc
	v_cmp_le_i64_e32 vcc, s[38:39], v[2:3]
	s_waitcnt lgkmcnt(0)
	v_mul_f32_e32 v2, v11, v7
	s_or_b64 s[46:47], vcc, s[46:47]
	ds_write_b32 v6, v2
	s_andn2_b64 exec, exec, s[46:47]
	s_cbranch_execz .LBB71_69
.LBB71_56:                              ; =>This Loop Header: Depth=1
                                        ;     Child Loop BB71_58 Depth 2
                                        ;     Child Loop BB71_65 Depth 2
	v_mov_b32_e32 v2, s49
	v_add_co_u32_e32 v6, vcc, s48, v4
	v_addc_co_u32_e32 v7, vcc, v2, v5, vcc
	v_mov_b32_e32 v8, s24
	v_mov_b32_e32 v10, s42
	s_and_b64 vcc, exec, s[0:1]
	v_mov_b32_e32 v9, s25
	v_mov_b32_e32 v11, s43
	s_cbranch_vccnz .LBB71_60
; %bb.57:                               ;   in Loop: Header=BB71_56 Depth=1
	v_mov_b32_e32 v8, s24
	v_mov_b32_e32 v10, s42
	s_mov_b64 s[4:5], 0
	v_mov_b32_e32 v9, s25
	v_mov_b32_e32 v11, s43
.LBB71_58:                              ;   Parent Loop BB71_56 Depth=1
                                        ; =>  This Inner Loop Header: Depth=2
	v_add_co_u32_e32 v2, vcc, v10, v8
	v_addc_co_u32_e32 v3, vcc, v11, v9, vcc
	v_lshrrev_b32_e32 v16, 31, v3
	v_add_co_u32_e32 v2, vcc, v2, v16
	v_addc_co_u32_e32 v3, vcc, 0, v3, vcc
	v_ashrrev_i64 v[2:3], 1, v[2:3]
	v_mov_b32_e32 v18, s17
	v_lshlrev_b64 v[16:17], 3, v[2:3]
	v_add_co_u32_e32 v16, vcc, s16, v16
	v_addc_co_u32_e32 v17, vcc, v18, v17, vcc
	global_load_dwordx2 v[16:17], v[16:17], off
	s_waitcnt vmcnt(0)
	v_subrev_co_u32_e32 v16, vcc, s30, v16
	v_subbrev_co_u32_e32 v17, vcc, 0, v17, vcc
	v_cmp_lt_i64_e32 vcc, v[6:7], v[16:17]
	v_cndmask_b32_e32 v10, v10, v2, vcc
	v_cndmask_b32_e32 v11, v11, v3, vcc
	;; [unrolled: 1-line block ×3, first 2 shown]
	v_add_co_u32_e64 v2, s[2:3], -1, v10
	v_cndmask_b32_e32 v9, v3, v9, vcc
	v_addc_co_u32_e64 v3, s[2:3], -1, v11, s[2:3]
	v_cmp_ge_i64_e32 vcc, v[8:9], v[10:11]
	v_cmp_eq_u64_e64 s[2:3], v[8:9], v[2:3]
	s_or_b64 s[2:3], vcc, s[2:3]
	s_and_b64 s[2:3], exec, s[2:3]
	s_or_b64 s[4:5], s[2:3], s[4:5]
	s_andn2_b64 exec, exec, s[4:5]
	s_cbranch_execnz .LBB71_58
; %bb.59:                               ;   in Loop: Header=BB71_56 Depth=1
	s_or_b64 exec, exec, s[4:5]
.LBB71_60:                              ;   in Loop: Header=BB71_56 Depth=1
	v_lshlrev_b64 v[2:3], 3, v[10:11]
	v_lshlrev_b64 v[16:17], 3, v[6:7]
	v_add_co_u32_e32 v2, vcc, s16, v2
	v_addc_co_u32_e32 v3, vcc, v12, v3, vcc
	global_load_dwordx2 v[2:3], v[2:3], off
	v_add_co_u32_e32 v16, vcc, s18, v16
	v_addc_co_u32_e32 v17, vcc, v13, v17, vcc
	global_load_dwordx2 v[16:17], v[16:17], off
	v_cmp_le_i64_e32 vcc, s[44:45], v[6:7]
	s_waitcnt vmcnt(1)
	v_subrev_co_u32_e64 v18, s[2:3], s30, v2
	v_subbrev_co_u32_e64 v19, s[2:3], 0, v3, s[2:3]
	s_waitcnt vmcnt(0)
	v_subrev_co_u32_e64 v2, s[2:3], s30, v16
	v_subbrev_co_u32_e64 v3, s[2:3], 0, v17, s[2:3]
	v_cmp_lt_i64_e64 s[2:3], v[6:7], v[18:19]
	v_cndmask_b32_e64 v7, v11, v9, s[2:3]
	v_cndmask_b32_e64 v6, v10, v8, s[2:3]
	v_cmp_eq_u64_e64 s[2:3], v[2:3], v[6:7]
	v_add_co_u32_e64 v10, s[4:5], s48, v0
	s_or_b64 s[2:3], s[2:3], vcc
	v_lshlrev_b32_e32 v8, 2, v10
                                        ; implicit-def: $vgpr11
	s_and_saveexec_b64 s[4:5], s[2:3]
	s_xor_b64 s[2:3], exec, s[4:5]
; %bb.61:                               ;   in Loop: Header=BB71_56 Depth=1
	ds_read_b32 v11, v8
                                        ; implicit-def: $vgpr8
                                        ; implicit-def: $vgpr6_vgpr7
; %bb.62:                               ;   in Loop: Header=BB71_56 Depth=1
	s_andn2_saveexec_b64 s[4:5], s[2:3]
	s_cbranch_execz .LBB71_55
; %bb.63:                               ;   in Loop: Header=BB71_56 Depth=1
	v_cmp_gt_i64_e32 vcc, s[8:9], v[2:3]
	v_cmp_le_i64_e64 s[2:3], s[26:27], v[2:3]
	v_lshlrev_b64 v[6:7], 1, v[6:7]
	s_or_b64 s[2:3], vcc, s[2:3]
                                        ; implicit-def: $vgpr11
	s_and_saveexec_b64 s[50:51], s[2:3]
	s_xor_b64 s[2:3], exec, s[50:51]
	s_cbranch_execz .LBB71_67
; %bb.64:                               ;   in Loop: Header=BB71_56 Depth=1
	v_mov_b32_e32 v9, s23
	v_add_co_u32_e32 v6, vcc, s22, v6
	v_addc_co_u32_e32 v7, vcc, v9, v7, vcc
	global_load_ushort v18, v[6:7], off
	v_lshlrev_b64 v[16:17], 2, v[2:3]
	v_mov_b32_e32 v7, s15
	v_add_co_u32_e32 v6, vcc, s14, v16
	v_addc_co_u32_e32 v7, vcc, v7, v17, vcc
	global_load_dword v9, v[6:7], off
	s_waitcnt lgkmcnt(0)
	ds_read_b32 v11, v8
	s_mov_b64 s[50:51], 0
	s_waitcnt vmcnt(1)
	v_cvt_f32_f16_e32 v8, v18
	s_waitcnt lgkmcnt(0)
	v_mul_f32_e32 v16, v11, v8
.LBB71_65:                              ;   Parent Loop BB71_56 Depth=1
                                        ; =>  This Inner Loop Header: Depth=2
	s_waitcnt vmcnt(0)
	v_add_f32_e32 v8, v9, v16
	global_atomic_cmpswap v8, v[6:7], v[8:9], off glc
	s_waitcnt vmcnt(0)
	v_cmp_eq_u32_e32 vcc, v8, v9
	s_or_b64 s[50:51], vcc, s[50:51]
	v_mov_b32_e32 v9, v8
	s_andn2_b64 exec, exec, s[50:51]
	s_cbranch_execnz .LBB71_65
; %bb.66:                               ;   in Loop: Header=BB71_56 Depth=1
	s_or_b64 exec, exec, s[50:51]
                                        ; implicit-def: $vgpr8
                                        ; implicit-def: $vgpr6_vgpr7
.LBB71_67:                              ;   in Loop: Header=BB71_56 Depth=1
	s_andn2_saveexec_b64 s[2:3], s[2:3]
	s_cbranch_execz .LBB71_54
; %bb.68:                               ;   in Loop: Header=BB71_56 Depth=1
	v_mov_b32_e32 v9, s23
	v_add_co_u32_e32 v6, vcc, s22, v6
	v_addc_co_u32_e32 v7, vcc, v9, v7, vcc
	global_load_ushort v6, v[6:7], off
	s_waitcnt lgkmcnt(0)
	ds_read_b32 v11, v8
	v_subrev_u32_e32 v7, s8, v2
	v_lshl_add_u32 v7, v7, 2, v15
	s_waitcnt vmcnt(0)
	v_cvt_f32_f16_e32 v6, v6
	s_waitcnt lgkmcnt(0)
	v_mul_f32_e32 v6, v11, v6
	ds_add_f32 v7, v6
	s_branch .LBB71_54
.LBB71_69:
	s_or_b64 exec, exec, s[40:41]
                                        ; implicit-def: $vgpr2_vgpr3
                                        ; implicit-def: $vgpr4
.LBB71_70:
	s_andn2_saveexec_b64 s[4:5], s[20:21]
	s_cbranch_execz .LBB71_120
; %bb.71:
	s_add_u32 s20, s26, -1
	s_addc_u32 s21, s27, -1
	s_add_u32 s0, s26, -2
	s_addc_u32 s1, s27, -1
	s_cmp_lg_u64 s[24:25], s[0:1]
	v_mov_b32_e32 v8, s24
	v_mov_b32_e32 v10, s20
	s_cselect_b64 s[2:3], -1, 0
	s_cmp_eq_u64 s[24:25], s[0:1]
	v_mov_b32_e32 v9, s25
	v_mov_b32_e32 v11, s21
	s_cbranch_scc1 .LBB71_75
; %bb.72:
	v_mov_b32_e32 v8, s24
	v_mov_b32_e32 v10, s20
	s_mov_b64 s[38:39], 0
	v_mov_b32_e32 v9, s25
	v_mov_b32_e32 v11, s21
	;; [unrolled: 1-line block ×3, first 2 shown]
.LBB71_73:                              ; =>This Inner Loop Header: Depth=1
	v_add_co_u32_e32 v7, vcc, v10, v8
	v_addc_co_u32_e32 v13, vcc, v11, v9, vcc
	v_lshrrev_b32_e32 v12, 31, v13
	v_add_co_u32_e32 v12, vcc, v7, v12
	v_addc_co_u32_e32 v13, vcc, 0, v13, vcc
	v_ashrrev_i64 v[12:13], 1, v[12:13]
	v_lshlrev_b64 v[15:16], 3, v[12:13]
	v_add_co_u32_e32 v15, vcc, s16, v15
	v_addc_co_u32_e32 v16, vcc, v6, v16, vcc
	global_load_dwordx2 v[15:16], v[15:16], off
	s_waitcnt vmcnt(0)
	v_subrev_co_u32_e32 v15, vcc, s30, v15
	v_subbrev_co_u32_e32 v16, vcc, 0, v16, vcc
	v_cmp_lt_i64_e32 vcc, v[4:5], v[15:16]
	v_cndmask_b32_e32 v10, v10, v12, vcc
	v_cndmask_b32_e32 v11, v11, v13, vcc
	;; [unrolled: 1-line block ×3, first 2 shown]
	v_add_co_u32_e64 v12, s[0:1], -1, v10
	v_cndmask_b32_e32 v9, v13, v9, vcc
	v_addc_co_u32_e64 v13, s[0:1], -1, v11, s[0:1]
	v_cmp_ge_i64_e32 vcc, v[8:9], v[10:11]
	v_cmp_eq_u64_e64 s[0:1], v[8:9], v[12:13]
	s_or_b64 s[0:1], vcc, s[0:1]
	s_and_b64 s[0:1], exec, s[0:1]
	s_or_b64 s[38:39], s[0:1], s[38:39]
	s_andn2_b64 exec, exec, s[38:39]
	s_cbranch_execnz .LBB71_73
; %bb.74:
	s_or_b64 exec, exec, s[38:39]
.LBB71_75:
	v_lshlrev_b64 v[6:7], 3, v[10:11]
	v_mov_b32_e32 v12, s17
	v_add_co_u32_e32 v6, vcc, s16, v6
	v_addc_co_u32_e32 v7, vcc, v12, v7, vcc
	global_load_dwordx2 v[12:13], v[6:7], off
	v_lshlrev_b64 v[6:7], 3, v[4:5]
	v_mov_b32_e32 v15, s19
	v_add_co_u32_e32 v6, vcc, s18, v6
	v_addc_co_u32_e32 v7, vcc, v15, v7, vcc
	global_load_dwordx2 v[15:16], v[6:7], off
	s_lshl_b64 s[0:1], s[26:27], 3
	s_add_u32 s18, s16, s0
	s_addc_u32 s19, s17, s1
	s_waitcnt vmcnt(1)
	v_subrev_co_u32_e32 v12, vcc, s30, v12
	v_subbrev_co_u32_e32 v13, vcc, 0, v13, vcc
	v_cmp_lt_i64_e32 vcc, v[4:5], v[12:13]
	v_cndmask_b32_e32 v11, v11, v9, vcc
	v_cndmask_b32_e32 v10, v10, v8, vcc
	s_waitcnt vmcnt(0)
	v_subrev_co_u32_e32 v8, vcc, s30, v15
	v_subbrev_co_u32_e32 v9, vcc, 0, v16, vcc
	v_cmp_ne_u64_e32 vcc, v[8:9], v[10:11]
	s_and_saveexec_b64 s[38:39], vcc
	s_cbranch_execz .LBB71_83
; %bb.76:
	s_load_dwordx2 s[0:1], s[18:19], 0x0
	s_waitcnt lgkmcnt(0)
	s_sub_u32 s0, s0, s30
	s_subb_u32 s1, s1, 0
	v_cmp_gt_i64_e32 vcc, s[0:1], v[4:5]
	s_and_b64 exec, exec, vcc
	s_cbranch_execz .LBB71_83
; %bb.77:
	v_cmp_gt_i64_e32 vcc, s[8:9], v[8:9]
	v_cmp_le_i64_e64 s[0:1], s[26:27], v[8:9]
	v_lshlrev_b64 v[10:11], 1, v[10:11]
	s_or_b64 s[0:1], vcc, s[0:1]
	s_and_saveexec_b64 s[40:41], s[0:1]
	s_xor_b64 s[0:1], exec, s[40:41]
	s_cbranch_execz .LBB71_81
; %bb.78:
	v_mov_b32_e32 v15, s23
	v_add_co_u32_e32 v10, vcc, s22, v10
	v_addc_co_u32_e32 v11, vcc, v15, v11, vcc
	global_load_ushort v15, v[10:11], off
	v_lshlrev_b64 v[12:13], 2, v[8:9]
	v_mov_b32_e32 v11, s15
	v_add_co_u32_e32 v10, vcc, s14, v12
	v_addc_co_u32_e32 v11, vcc, v11, v13, vcc
	global_load_dword v13, v[10:11], off
	ds_read_b32 v12, v14
	s_mov_b64 s[40:41], 0
	s_waitcnt vmcnt(1)
	v_cvt_f32_f16_e32 v15, v15
	s_waitcnt lgkmcnt(0)
	v_mul_f32_e32 v15, v12, v15
.LBB71_79:                              ; =>This Inner Loop Header: Depth=1
	s_waitcnt vmcnt(0)
	v_add_f32_e32 v12, v13, v15
	global_atomic_cmpswap v12, v[10:11], v[12:13], off glc
	s_waitcnt vmcnt(0)
	v_cmp_eq_u32_e32 vcc, v12, v13
	s_or_b64 s[40:41], vcc, s[40:41]
	v_mov_b32_e32 v13, v12
	s_andn2_b64 exec, exec, s[40:41]
	s_cbranch_execnz .LBB71_79
; %bb.80:
	s_or_b64 exec, exec, s[40:41]
                                        ; implicit-def: $vgpr10_vgpr11
.LBB71_81:
	s_andn2_saveexec_b64 s[0:1], s[0:1]
	s_cbranch_execz .LBB71_83
; %bb.82:
	v_mov_b32_e32 v12, s23
	v_add_co_u32_e32 v10, vcc, s22, v10
	v_addc_co_u32_e32 v11, vcc, v12, v11, vcc
	global_load_ushort v10, v[10:11], off
	ds_read_b32 v11, v14
	v_subrev_u32_e32 v12, s8, v8
	v_mov_b32_e32 v13, 0x1000
	v_lshl_add_u32 v12, v12, 2, v13
	s_waitcnt vmcnt(0)
	v_cvt_f32_f16_e32 v10, v10
	s_waitcnt lgkmcnt(0)
	v_mul_f32_e32 v10, v11, v10
	ds_add_f32 v12, v10
.LBB71_83:
	s_or_b64 exec, exec, s[38:39]
	v_lshlrev_b64 v[8:9], 1, v[8:9]
	v_mov_b32_e32 v10, s23
	v_add_co_u32_e32 v8, vcc, s22, v8
	v_addc_co_u32_e32 v9, vcc, v10, v9, vcc
	global_load_ushort v9, v[8:9], off
	ds_read_b32 v12, v14
	v_add_co_u32_e32 v8, vcc, 0x100, v4
	v_cndmask_b32_e64 v13, 0, 1, s[2:3]
	v_mov_b32_e32 v10, s24
	v_cmp_ne_u32_e64 s[0:1], 1, v13
	v_mov_b32_e32 v11, s25
	s_waitcnt vmcnt(0)
	v_cvt_f32_f16_e32 v15, v9
	v_addc_co_u32_e32 v9, vcc, 0, v5, vcc
	s_andn2_b64 vcc, exec, s[2:3]
	s_waitcnt lgkmcnt(0)
	v_mul_f32_e32 v12, v12, v15
	ds_write_b32 v14, v12
	v_mov_b32_e32 v12, s20
	v_mov_b32_e32 v13, s21
	s_cbranch_vccnz .LBB71_87
; %bb.84:
	v_mov_b32_e32 v10, s24
	v_mov_b32_e32 v12, s20
	s_mov_b64 s[38:39], 0
	v_mov_b32_e32 v11, s25
	v_mov_b32_e32 v13, s21
	;; [unrolled: 1-line block ×3, first 2 shown]
.LBB71_85:                              ; =>This Inner Loop Header: Depth=1
	v_add_co_u32_e32 v16, vcc, v12, v10
	v_addc_co_u32_e32 v17, vcc, v13, v11, vcc
	v_lshrrev_b32_e32 v18, 31, v17
	v_add_co_u32_e32 v16, vcc, v16, v18
	v_addc_co_u32_e32 v17, vcc, 0, v17, vcc
	v_ashrrev_i64 v[16:17], 1, v[16:17]
	v_lshlrev_b64 v[18:19], 3, v[16:17]
	v_add_co_u32_e32 v18, vcc, s16, v18
	v_addc_co_u32_e32 v19, vcc, v15, v19, vcc
	global_load_dwordx2 v[18:19], v[18:19], off
	s_waitcnt vmcnt(0)
	v_subrev_co_u32_e32 v18, vcc, s30, v18
	v_subbrev_co_u32_e32 v19, vcc, 0, v19, vcc
	v_cmp_lt_i64_e32 vcc, v[8:9], v[18:19]
	v_cndmask_b32_e32 v12, v12, v16, vcc
	v_cndmask_b32_e32 v13, v13, v17, vcc
	;; [unrolled: 1-line block ×3, first 2 shown]
	v_add_co_u32_e64 v16, s[2:3], -1, v12
	v_cndmask_b32_e32 v11, v17, v11, vcc
	v_addc_co_u32_e64 v17, s[2:3], -1, v13, s[2:3]
	v_cmp_ge_i64_e32 vcc, v[10:11], v[12:13]
	v_cmp_eq_u64_e64 s[2:3], v[10:11], v[16:17]
	s_or_b64 s[2:3], vcc, s[2:3]
	s_and_b64 s[2:3], exec, s[2:3]
	s_or_b64 s[38:39], s[2:3], s[38:39]
	s_andn2_b64 exec, exec, s[38:39]
	s_cbranch_execnz .LBB71_85
; %bb.86:
	s_or_b64 exec, exec, s[38:39]
.LBB71_87:
	v_lshlrev_b64 v[15:16], 3, v[12:13]
	v_mov_b32_e32 v17, s17
	v_add_co_u32_e32 v15, vcc, s16, v15
	v_addc_co_u32_e32 v16, vcc, v17, v16, vcc
	global_load_dwordx2 v[17:18], v[15:16], off
	global_load_dwordx2 v[19:20], v[6:7], off offset:2048
	s_waitcnt vmcnt(1)
	v_subrev_co_u32_e32 v15, vcc, s30, v17
	v_subbrev_co_u32_e32 v16, vcc, 0, v18, vcc
	v_cmp_lt_i64_e32 vcc, v[8:9], v[15:16]
	v_cndmask_b32_e32 v13, v13, v11, vcc
	v_cndmask_b32_e32 v12, v12, v10, vcc
	s_waitcnt vmcnt(0)
	v_subrev_co_u32_e32 v10, vcc, s30, v19
	v_subbrev_co_u32_e32 v11, vcc, 0, v20, vcc
	v_cmp_ne_u64_e32 vcc, v[10:11], v[12:13]
	s_and_saveexec_b64 s[38:39], vcc
	s_cbranch_execz .LBB71_95
; %bb.88:
	s_load_dwordx2 s[2:3], s[18:19], 0x0
	s_waitcnt lgkmcnt(0)
	s_sub_u32 s2, s2, s30
	s_subb_u32 s3, s3, 0
	v_cmp_gt_i64_e32 vcc, s[2:3], v[8:9]
	s_and_b64 exec, exec, vcc
	s_cbranch_execz .LBB71_95
; %bb.89:
	v_cmp_gt_i64_e32 vcc, s[8:9], v[10:11]
	v_cmp_le_i64_e64 s[2:3], s[26:27], v[10:11]
	v_lshlrev_b64 v[8:9], 1, v[12:13]
	s_or_b64 s[2:3], vcc, s[2:3]
	s_and_saveexec_b64 s[40:41], s[2:3]
	s_xor_b64 s[2:3], exec, s[40:41]
	s_cbranch_execz .LBB71_93
; %bb.90:
	v_mov_b32_e32 v15, s23
	v_add_co_u32_e32 v8, vcc, s22, v8
	v_addc_co_u32_e32 v9, vcc, v15, v9, vcc
	global_load_ushort v15, v[8:9], off
	v_lshlrev_b64 v[12:13], 2, v[10:11]
	v_mov_b32_e32 v9, s15
	v_add_co_u32_e32 v8, vcc, s14, v12
	v_addc_co_u32_e32 v9, vcc, v9, v13, vcc
	global_load_dword v13, v[8:9], off
	ds_read_b32 v12, v14 offset:1024
	s_mov_b64 s[40:41], 0
	s_waitcnt vmcnt(1)
	v_cvt_f32_f16_e32 v15, v15
	s_waitcnt lgkmcnt(0)
	v_mul_f32_e32 v15, v12, v15
.LBB71_91:                              ; =>This Inner Loop Header: Depth=1
	s_waitcnt vmcnt(0)
	v_add_f32_e32 v12, v13, v15
	global_atomic_cmpswap v12, v[8:9], v[12:13], off glc
	s_waitcnt vmcnt(0)
	v_cmp_eq_u32_e32 vcc, v12, v13
	s_or_b64 s[40:41], vcc, s[40:41]
	v_mov_b32_e32 v13, v12
	s_andn2_b64 exec, exec, s[40:41]
	s_cbranch_execnz .LBB71_91
; %bb.92:
	s_or_b64 exec, exec, s[40:41]
                                        ; implicit-def: $vgpr8_vgpr9
.LBB71_93:
	s_andn2_saveexec_b64 s[2:3], s[2:3]
	s_cbranch_execz .LBB71_95
; %bb.94:
	v_mov_b32_e32 v12, s23
	v_add_co_u32_e32 v8, vcc, s22, v8
	v_addc_co_u32_e32 v9, vcc, v12, v9, vcc
	global_load_ushort v8, v[8:9], off
	ds_read_b32 v9, v14 offset:1024
	v_subrev_u32_e32 v12, s8, v10
	v_mov_b32_e32 v13, 0x1000
	v_lshl_add_u32 v12, v12, 2, v13
	s_waitcnt vmcnt(0)
	v_cvt_f32_f16_e32 v8, v8
	s_waitcnt lgkmcnt(0)
	v_mul_f32_e32 v8, v9, v8
	ds_add_f32 v12, v8
.LBB71_95:
	s_or_b64 exec, exec, s[38:39]
	v_lshlrev_b64 v[8:9], 1, v[10:11]
	v_mov_b32_e32 v10, s23
	v_add_co_u32_e32 v8, vcc, s22, v8
	v_addc_co_u32_e32 v9, vcc, v10, v9, vcc
	global_load_ushort v10, v[8:9], off
	ds_read_b32 v11, v14 offset:1024
	v_add_co_u32_e32 v4, vcc, 0x200, v4
	v_mov_b32_e32 v8, s24
	v_addc_co_u32_e32 v5, vcc, 0, v5, vcc
	v_mov_b32_e32 v9, s25
	s_and_b64 vcc, exec, s[0:1]
	s_waitcnt vmcnt(0)
	v_cvt_f32_f16_e32 v10, v10
	s_waitcnt lgkmcnt(0)
	v_mul_f32_e32 v10, v11, v10
	ds_write_b32 v14, v10 offset:1024
	v_mov_b32_e32 v10, s20
	v_mov_b32_e32 v11, s21
	s_cbranch_vccnz .LBB71_99
; %bb.96:
	v_mov_b32_e32 v8, s24
	v_mov_b32_e32 v10, s20
	s_mov_b64 s[38:39], 0
	v_mov_b32_e32 v9, s25
	v_mov_b32_e32 v11, s21
	;; [unrolled: 1-line block ×3, first 2 shown]
.LBB71_97:                              ; =>This Inner Loop Header: Depth=1
	v_add_co_u32_e32 v13, vcc, v10, v8
	v_addc_co_u32_e32 v16, vcc, v11, v9, vcc
	v_lshrrev_b32_e32 v15, 31, v16
	v_add_co_u32_e32 v15, vcc, v13, v15
	v_addc_co_u32_e32 v16, vcc, 0, v16, vcc
	v_ashrrev_i64 v[15:16], 1, v[15:16]
	v_lshlrev_b64 v[17:18], 3, v[15:16]
	v_add_co_u32_e32 v17, vcc, s16, v17
	v_addc_co_u32_e32 v18, vcc, v12, v18, vcc
	global_load_dwordx2 v[17:18], v[17:18], off
	s_waitcnt vmcnt(0)
	v_subrev_co_u32_e32 v17, vcc, s30, v17
	v_subbrev_co_u32_e32 v18, vcc, 0, v18, vcc
	v_cmp_lt_i64_e32 vcc, v[4:5], v[17:18]
	v_cndmask_b32_e32 v10, v10, v15, vcc
	v_cndmask_b32_e32 v11, v11, v16, vcc
	;; [unrolled: 1-line block ×3, first 2 shown]
	v_add_co_u32_e64 v15, s[2:3], -1, v10
	v_cndmask_b32_e32 v9, v16, v9, vcc
	v_addc_co_u32_e64 v16, s[2:3], -1, v11, s[2:3]
	v_cmp_ge_i64_e32 vcc, v[8:9], v[10:11]
	v_cmp_eq_u64_e64 s[2:3], v[8:9], v[15:16]
	s_or_b64 s[2:3], vcc, s[2:3]
	s_and_b64 s[2:3], exec, s[2:3]
	s_or_b64 s[38:39], s[2:3], s[38:39]
	s_andn2_b64 exec, exec, s[38:39]
	s_cbranch_execnz .LBB71_97
; %bb.98:
	s_or_b64 exec, exec, s[38:39]
.LBB71_99:
	v_lshlrev_b64 v[12:13], 3, v[10:11]
	v_mov_b32_e32 v15, s17
	v_add_co_u32_e32 v12, vcc, s16, v12
	v_addc_co_u32_e32 v13, vcc, v15, v13, vcc
	global_load_dwordx2 v[12:13], v[12:13], off
	v_add_co_u32_e32 v15, vcc, 0x1000, v6
	v_addc_co_u32_e32 v16, vcc, 0, v7, vcc
	global_load_dwordx2 v[15:16], v[15:16], off
	s_waitcnt vmcnt(1)
	v_subrev_co_u32_e32 v12, vcc, s30, v12
	v_subbrev_co_u32_e32 v13, vcc, 0, v13, vcc
	v_cmp_lt_i64_e32 vcc, v[4:5], v[12:13]
	v_cndmask_b32_e32 v11, v11, v9, vcc
	v_cndmask_b32_e32 v10, v10, v8, vcc
	s_waitcnt vmcnt(0)
	v_subrev_co_u32_e32 v8, vcc, s30, v15
	v_subbrev_co_u32_e32 v9, vcc, 0, v16, vcc
	v_cmp_ne_u64_e32 vcc, v[8:9], v[10:11]
	s_and_saveexec_b64 s[38:39], vcc
	s_cbranch_execz .LBB71_107
; %bb.100:
	s_load_dwordx2 s[2:3], s[18:19], 0x0
	s_waitcnt lgkmcnt(0)
	s_sub_u32 s2, s2, s30
	s_subb_u32 s3, s3, 0
	v_cmp_gt_i64_e32 vcc, s[2:3], v[4:5]
	s_and_b64 exec, exec, vcc
	s_cbranch_execz .LBB71_107
; %bb.101:
	v_cmp_gt_i64_e32 vcc, s[8:9], v[8:9]
	v_cmp_le_i64_e64 s[2:3], s[26:27], v[8:9]
	v_lshlrev_b64 v[4:5], 1, v[10:11]
	s_or_b64 s[2:3], vcc, s[2:3]
	s_and_saveexec_b64 s[40:41], s[2:3]
	s_xor_b64 s[2:3], exec, s[40:41]
	s_cbranch_execz .LBB71_105
; %bb.102:
	v_mov_b32_e32 v12, s23
	v_add_co_u32_e32 v4, vcc, s22, v4
	v_addc_co_u32_e32 v5, vcc, v12, v5, vcc
	global_load_ushort v12, v[4:5], off
	v_lshlrev_b64 v[10:11], 2, v[8:9]
	v_mov_b32_e32 v5, s15
	v_add_co_u32_e32 v4, vcc, s14, v10
	v_addc_co_u32_e32 v5, vcc, v5, v11, vcc
	global_load_dword v11, v[4:5], off
	ds_read_b32 v10, v14 offset:2048
	s_mov_b64 s[40:41], 0
	s_waitcnt vmcnt(1)
	v_cvt_f32_f16_e32 v12, v12
	s_waitcnt lgkmcnt(0)
	v_mul_f32_e32 v12, v10, v12
.LBB71_103:                             ; =>This Inner Loop Header: Depth=1
	s_waitcnt vmcnt(0)
	v_add_f32_e32 v10, v11, v12
	global_atomic_cmpswap v10, v[4:5], v[10:11], off glc
	s_waitcnt vmcnt(0)
	v_cmp_eq_u32_e32 vcc, v10, v11
	s_or_b64 s[40:41], vcc, s[40:41]
	v_mov_b32_e32 v11, v10
	s_andn2_b64 exec, exec, s[40:41]
	s_cbranch_execnz .LBB71_103
; %bb.104:
	s_or_b64 exec, exec, s[40:41]
                                        ; implicit-def: $vgpr4_vgpr5
.LBB71_105:
	s_andn2_saveexec_b64 s[2:3], s[2:3]
	s_cbranch_execz .LBB71_107
; %bb.106:
	v_mov_b32_e32 v10, s23
	v_add_co_u32_e32 v4, vcc, s22, v4
	v_addc_co_u32_e32 v5, vcc, v10, v5, vcc
	global_load_ushort v4, v[4:5], off
	ds_read_b32 v5, v14 offset:2048
	v_subrev_u32_e32 v10, s8, v8
	v_mov_b32_e32 v11, 0x1000
	v_lshl_add_u32 v10, v10, 2, v11
	s_waitcnt vmcnt(0)
	v_cvt_f32_f16_e32 v4, v4
	s_waitcnt lgkmcnt(0)
	v_mul_f32_e32 v4, v5, v4
	ds_add_f32 v10, v4
.LBB71_107:
	s_or_b64 exec, exec, s[38:39]
	v_lshlrev_b64 v[4:5], 1, v[8:9]
	v_mov_b32_e32 v8, s23
	v_add_co_u32_e32 v4, vcc, s22, v4
	v_addc_co_u32_e32 v5, vcc, v8, v5, vcc
	global_load_ushort v4, v[4:5], off
	ds_read_b32 v8, v14 offset:2048
	s_and_b64 vcc, exec, s[0:1]
	s_waitcnt vmcnt(0)
	v_cvt_f32_f16_e32 v9, v4
	v_mov_b32_e32 v4, s24
	v_mov_b32_e32 v5, s25
	s_waitcnt lgkmcnt(0)
	v_mul_f32_e32 v8, v8, v9
	ds_write_b32 v14, v8 offset:2048
	v_mov_b32_e32 v8, s20
	v_mov_b32_e32 v9, s21
	s_cbranch_vccnz .LBB71_111
; %bb.108:
	v_mov_b32_e32 v4, s24
	v_mov_b32_e32 v8, s20
	s_mov_b64 s[2:3], 0
	v_mov_b32_e32 v5, s25
	v_mov_b32_e32 v9, s21
	;; [unrolled: 1-line block ×3, first 2 shown]
.LBB71_109:                             ; =>This Inner Loop Header: Depth=1
	v_add_co_u32_e32 v11, vcc, v8, v4
	v_addc_co_u32_e32 v12, vcc, v9, v5, vcc
	v_lshrrev_b32_e32 v13, 31, v12
	v_add_co_u32_e32 v11, vcc, v11, v13
	v_addc_co_u32_e32 v12, vcc, 0, v12, vcc
	v_ashrrev_i64 v[11:12], 1, v[11:12]
	v_lshlrev_b64 v[15:16], 3, v[11:12]
	v_add_co_u32_e32 v15, vcc, s16, v15
	v_addc_co_u32_e32 v16, vcc, v10, v16, vcc
	global_load_dwordx2 v[15:16], v[15:16], off
	s_waitcnt vmcnt(0)
	v_subrev_co_u32_e32 v15, vcc, s30, v15
	v_subbrev_co_u32_e32 v16, vcc, 0, v16, vcc
	v_cmp_lt_i64_e32 vcc, v[2:3], v[15:16]
	v_cndmask_b32_e32 v8, v8, v11, vcc
	v_cndmask_b32_e32 v9, v9, v12, vcc
	;; [unrolled: 1-line block ×3, first 2 shown]
	v_add_co_u32_e64 v11, s[0:1], -1, v8
	v_cndmask_b32_e32 v5, v12, v5, vcc
	v_addc_co_u32_e64 v12, s[0:1], -1, v9, s[0:1]
	v_cmp_ge_i64_e32 vcc, v[4:5], v[8:9]
	v_cmp_eq_u64_e64 s[0:1], v[4:5], v[11:12]
	s_or_b64 s[0:1], vcc, s[0:1]
	s_and_b64 s[0:1], exec, s[0:1]
	s_or_b64 s[2:3], s[0:1], s[2:3]
	s_andn2_b64 exec, exec, s[2:3]
	s_cbranch_execnz .LBB71_109
; %bb.110:
	s_or_b64 exec, exec, s[2:3]
.LBB71_111:
	v_lshlrev_b64 v[10:11], 3, v[8:9]
	v_mov_b32_e32 v12, s17
	v_add_co_u32_e32 v10, vcc, s16, v10
	v_addc_co_u32_e32 v11, vcc, v12, v11, vcc
	global_load_dwordx2 v[10:11], v[10:11], off
	v_add_co_u32_e32 v6, vcc, 0x1000, v6
	v_addc_co_u32_e32 v7, vcc, 0, v7, vcc
	global_load_dwordx2 v[12:13], v[6:7], off offset:2048
	s_waitcnt vmcnt(1)
	v_subrev_co_u32_e32 v6, vcc, s30, v10
	v_subbrev_co_u32_e32 v7, vcc, 0, v11, vcc
	v_cmp_lt_i64_e32 vcc, v[2:3], v[6:7]
	v_cndmask_b32_e32 v7, v9, v5, vcc
	v_cndmask_b32_e32 v6, v8, v4, vcc
	s_waitcnt vmcnt(0)
	v_subrev_co_u32_e32 v4, vcc, s30, v12
	v_subbrev_co_u32_e32 v5, vcc, 0, v13, vcc
	v_cmp_ne_u64_e32 vcc, v[4:5], v[6:7]
	s_and_saveexec_b64 s[2:3], vcc
	s_cbranch_execz .LBB71_119
; %bb.112:
	s_load_dwordx2 s[0:1], s[18:19], 0x0
	s_waitcnt lgkmcnt(0)
	s_sub_u32 s0, s0, s30
	s_subb_u32 s1, s1, 0
	v_cmp_gt_i64_e32 vcc, s[0:1], v[2:3]
	s_and_b64 exec, exec, vcc
	s_cbranch_execz .LBB71_119
; %bb.113:
	v_cmp_gt_i64_e32 vcc, s[8:9], v[4:5]
	v_cmp_le_i64_e64 s[0:1], s[26:27], v[4:5]
	v_lshlrev_b64 v[2:3], 1, v[6:7]
	s_or_b64 s[0:1], vcc, s[0:1]
	s_and_saveexec_b64 s[18:19], s[0:1]
	s_xor_b64 s[0:1], exec, s[18:19]
	s_cbranch_execz .LBB71_117
; %bb.114:
	v_mov_b32_e32 v8, s23
	v_add_co_u32_e32 v2, vcc, s22, v2
	v_addc_co_u32_e32 v3, vcc, v8, v3, vcc
	global_load_ushort v8, v[2:3], off
	v_lshlrev_b64 v[6:7], 2, v[4:5]
	v_mov_b32_e32 v3, s15
	v_add_co_u32_e32 v2, vcc, s14, v6
	v_addc_co_u32_e32 v3, vcc, v3, v7, vcc
	global_load_dword v7, v[2:3], off
	ds_read_b32 v6, v14 offset:3072
	s_mov_b64 s[18:19], 0
	s_waitcnt vmcnt(1)
	v_cvt_f32_f16_e32 v8, v8
	s_waitcnt lgkmcnt(0)
	v_mul_f32_e32 v8, v6, v8
.LBB71_115:                             ; =>This Inner Loop Header: Depth=1
	s_waitcnt vmcnt(0)
	v_add_f32_e32 v6, v7, v8
	global_atomic_cmpswap v6, v[2:3], v[6:7], off glc
	s_waitcnt vmcnt(0)
	v_cmp_eq_u32_e32 vcc, v6, v7
	s_or_b64 s[18:19], vcc, s[18:19]
	v_mov_b32_e32 v7, v6
	s_andn2_b64 exec, exec, s[18:19]
	s_cbranch_execnz .LBB71_115
; %bb.116:
	s_or_b64 exec, exec, s[18:19]
                                        ; implicit-def: $vgpr2_vgpr3
.LBB71_117:
	s_andn2_saveexec_b64 s[0:1], s[0:1]
	s_cbranch_execz .LBB71_119
; %bb.118:
	v_mov_b32_e32 v6, s23
	v_add_co_u32_e32 v2, vcc, s22, v2
	v_addc_co_u32_e32 v3, vcc, v6, v3, vcc
	global_load_ushort v2, v[2:3], off
	ds_read_b32 v3, v14 offset:3072
	v_subrev_u32_e32 v6, s8, v4
	v_mov_b32_e32 v7, 0x1000
	v_lshl_add_u32 v6, v6, 2, v7
	s_waitcnt vmcnt(0)
	v_cvt_f32_f16_e32 v2, v2
	s_waitcnt lgkmcnt(0)
	v_mul_f32_e32 v2, v3, v2
	ds_add_f32 v6, v2
.LBB71_119:
	s_or_b64 exec, exec, s[2:3]
	v_lshlrev_b64 v[2:3], 1, v[4:5]
	v_mov_b32_e32 v4, s23
	v_add_co_u32_e32 v2, vcc, s22, v2
	v_addc_co_u32_e32 v3, vcc, v4, v3, vcc
	global_load_ushort v2, v[2:3], off
	ds_read_b32 v3, v14 offset:3072
	s_waitcnt vmcnt(0)
	v_cvt_f32_f16_e32 v2, v2
	s_waitcnt lgkmcnt(0)
	v_mul_f32_e32 v2, v3, v2
	ds_write_b32 v14, v2 offset:3072
.LBB71_120:
	s_or_b64 exec, exec, s[4:5]
	v_mov_b32_e32 v2, s10
	v_mov_b32_e32 v3, s11
	v_cmp_lt_i64_e32 vcc, s[26:27], v[2:3]
	s_waitcnt lgkmcnt(0)
	s_and_b64 s[0:1], vcc, exec
	s_cselect_b32 s10, s26, s10
	s_cselect_b32 s0, s27, s11
	s_sub_u32 s2, s10, s28
	s_subb_u32 s3, s0, s29
	v_cmp_gt_i64_e32 vcc, s[2:3], v[0:1]
	s_barrier
	s_and_saveexec_b64 s[0:1], vcc
	s_cbranch_execz .LBB71_125
; %bb.121:
	s_lshl_b64 s[4:5], s[8:9], 2
	s_add_u32 s11, s14, s4
	s_addc_u32 s8, s15, s5
	v_mov_b32_e32 v3, v1
	s_mov_b64 s[4:5], 0
	v_mov_b32_e32 v8, s8
	v_mov_b32_e32 v9, 0x1000
	;; [unrolled: 1-line block ×3, first 2 shown]
.LBB71_122:                             ; =>This Loop Header: Depth=1
                                        ;     Child Loop BB71_123 Depth 2
	v_lshlrev_b64 v[4:5], 2, v[2:3]
	v_lshl_add_u32 v6, v2, 2, v9
	v_add_co_u32_e32 v4, vcc, s11, v4
	v_addc_co_u32_e32 v5, vcc, v8, v5, vcc
	global_load_dword v7, v[4:5], off
	ds_read_b32 v10, v6
	s_mov_b64 s[8:9], 0
.LBB71_123:                             ;   Parent Loop BB71_122 Depth=1
                                        ; =>  This Inner Loop Header: Depth=2
	s_waitcnt vmcnt(0) lgkmcnt(0)
	v_add_f32_e32 v6, v7, v10
	global_atomic_cmpswap v6, v[4:5], v[6:7], off glc
	s_waitcnt vmcnt(0)
	v_cmp_eq_u32_e32 vcc, v6, v7
	s_or_b64 s[8:9], vcc, s[8:9]
	v_mov_b32_e32 v7, v6
	s_andn2_b64 exec, exec, s[8:9]
	s_cbranch_execnz .LBB71_123
; %bb.124:                              ;   in Loop: Header=BB71_122 Depth=1
	s_or_b64 exec, exec, s[8:9]
	v_add_co_u32_e32 v2, vcc, 0x100, v2
	v_addc_co_u32_e32 v3, vcc, 0, v3, vcc
	v_cmp_le_i64_e32 vcc, s[2:3], v[2:3]
	s_or_b64 s[4:5], vcc, s[4:5]
	s_andn2_b64 exec, exec, s[4:5]
	s_cbranch_execnz .LBB71_122
.LBB71_125:
	s_or_b64 exec, exec, s[0:1]
	s_add_i32 s0, s36, -1
	s_ashr_i32 s1, s0, 1
	s_or_b32 s0, s1, s0
	s_ashr_i32 s1, s0, 2
	s_or_b32 s0, s1, s0
	;; [unrolled: 2-line block ×5, first 2 shown]
	s_add_i32 s0, s0, 1
	s_ashr_i32 s3, s0, 1
	v_mov_b32_e32 v2, s25
	v_add_co_u32_e32 v6, vcc, s24, v0
	v_addc_co_u32_e32 v7, vcc, 0, v2, vcc
	s_cmp_gt_i32 s3, 1
	s_mov_b64 s[0:1], -1
	s_barrier
	s_cbranch_scc1 .LBB71_136
; %bb.126:
	v_cmp_gt_i64_e32 vcc, s[26:27], v[6:7]
	s_and_saveexec_b64 s[0:1], vcc
	s_cbranch_execz .LBB71_135
; %bb.127:
	s_sub_i32 s4, s10, s26
	s_lshl_b32 s4, s4, 2
	s_add_i32 s13, s4, 0x1000
	s_lshl_b32 s4, s6, 2
	v_mov_b32_e32 v9, v7
	s_sub_i32 s18, 0, s4
	s_mov_b64 s[4:5], 0
	v_mov_b32_e32 v12, s17
	v_mov_b32_e32 v13, s15
	;; [unrolled: 1-line block ×3, first 2 shown]
.LBB71_128:                             ; =>This Loop Header: Depth=1
                                        ;     Child Loop BB71_130 Depth 2
                                        ;     Child Loop BB71_133 Depth 2
	v_lshlrev_b64 v[2:3], 3, v[8:9]
	v_mov_b32_e32 v15, 0
	v_add_co_u32_e32 v2, vcc, s16, v2
	v_addc_co_u32_e32 v3, vcc, v12, v3, vcc
	global_load_dwordx4 v[2:5], v[2:3], off
	s_waitcnt vmcnt(0)
	v_cmp_lt_i64_e32 vcc, v[2:3], v[4:5]
	s_and_saveexec_b64 s[8:9], vcc
	s_cbranch_execz .LBB71_132
; %bb.129:                              ;   in Loop: Header=BB71_128 Depth=1
	v_mov_b32_e32 v10, s7
	v_subrev_co_u32_e32 v4, vcc, s6, v4
	v_subb_co_u32_e32 v5, vcc, v5, v10, vcc
	v_mov_b32_e32 v11, s7
	v_subrev_co_u32_e32 v10, vcc, s6, v2
	v_subb_co_u32_e32 v11, vcc, v3, v11, vcc
	v_lshl_add_u32 v2, v2, 2, s18
	v_mov_b32_e32 v15, 0
	s_mov_b64 s[10:11], 0
.LBB71_130:                             ;   Parent Loop BB71_128 Depth=1
                                        ; =>  This Inner Loop Header: Depth=2
	ds_read_b32 v3, v2
	v_add_co_u32_e32 v10, vcc, 1, v10
	v_addc_co_u32_e32 v11, vcc, 0, v11, vcc
	v_cmp_ge_i64_e32 vcc, v[10:11], v[4:5]
	v_add_u32_e32 v2, 4, v2
	s_or_b64 s[10:11], vcc, s[10:11]
	s_waitcnt lgkmcnt(0)
	v_add_f32_e32 v15, v15, v3
	s_andn2_b64 exec, exec, s[10:11]
	s_cbranch_execnz .LBB71_130
; %bb.131:                              ;   in Loop: Header=BB71_128 Depth=1
	s_or_b64 exec, exec, s[10:11]
.LBB71_132:                             ;   in Loop: Header=BB71_128 Depth=1
	s_or_b64 exec, exec, s[8:9]
	v_lshlrev_b64 v[2:3], 2, v[8:9]
	v_lshl_add_u32 v4, v8, 2, s13
	v_add_co_u32_e32 v2, vcc, s14, v2
	v_addc_co_u32_e32 v3, vcc, v13, v3, vcc
	global_load_dword v5, v[2:3], off
	ds_read_b32 v4, v4
	s_mov_b64 s[8:9], 0
	s_waitcnt lgkmcnt(0)
	v_add_f32_e32 v10, v15, v4
.LBB71_133:                             ;   Parent Loop BB71_128 Depth=1
                                        ; =>  This Inner Loop Header: Depth=2
	s_waitcnt vmcnt(0)
	v_add_f32_e32 v4, v5, v10
	global_atomic_cmpswap v4, v[2:3], v[4:5], off glc
	s_waitcnt vmcnt(0)
	v_cmp_eq_u32_e32 vcc, v4, v5
	s_or_b64 s[8:9], vcc, s[8:9]
	v_mov_b32_e32 v5, v4
	s_andn2_b64 exec, exec, s[8:9]
	s_cbranch_execnz .LBB71_133
; %bb.134:                              ;   in Loop: Header=BB71_128 Depth=1
	s_or_b64 exec, exec, s[8:9]
	v_add_co_u32_e32 v8, vcc, s12, v8
	v_addc_co_u32_e32 v9, vcc, 0, v9, vcc
	v_cmp_le_i64_e32 vcc, s[26:27], v[8:9]
	s_or_b64 s[4:5], vcc, s[4:5]
	s_andn2_b64 exec, exec, s[4:5]
	s_cbranch_execnz .LBB71_128
.LBB71_135:
	s_or_b64 exec, exec, s[0:1]
	s_mov_b64 s[0:1], 0
.LBB71_136:
	s_andn2_b64 vcc, exec, s[0:1]
	s_cbranch_vccnz .LBB71_154
; %bb.137:
	v_cvt_f32_u32_e32 v2, s3
	s_sub_i32 s8, 0, s3
	v_mov_b32_e32 v5, 0
	v_mov_b32_e32 v8, s35
	v_rcp_iflag_f32_e32 v2, v2
	v_mov_b32_e32 v13, s7
	v_mul_f32_e32 v2, 0x4f7ffffe, v2
	v_cvt_u32_f32_e32 v2, v2
	v_mul_lo_u32 v3, s8, v2
	v_mul_hi_u32 v3, v2, v3
	v_add_u32_e32 v2, v2, v3
	v_mul_hi_u32 v2, v0, v2
	v_mul_lo_u32 v3, v2, s3
	v_add_u32_e32 v4, 1, v2
	v_sub_u32_e32 v3, v0, v3
	v_cmp_le_u32_e32 vcc, s3, v3
	v_cndmask_b32_e32 v2, v2, v4, vcc
	v_subrev_u32_e32 v4, s3, v3
	v_cndmask_b32_e32 v3, v3, v4, vcc
	v_add_u32_e32 v4, 1, v2
	v_cmp_le_u32_e32 vcc, s3, v3
	v_cndmask_b32_e32 v4, v2, v4, vcc
	v_lshlrev_b64 v[2:3], 3, v[4:5]
	v_add_co_u32_e32 v2, vcc, s34, v2
	v_addc_co_u32_e32 v3, vcc, v8, v3, vcc
	global_load_dwordx4 v[8:11], v[2:3], off
	v_mov_b32_e32 v3, s7
	s_waitcnt vmcnt(0)
	v_subrev_co_u32_e32 v2, vcc, s6, v8
	v_subb_co_u32_e32 v3, vcc, v9, v3, vcc
	v_subrev_co_u32_e32 v12, vcc, s6, v10
	v_subb_co_u32_e32 v13, vcc, v11, v13, vcc
	v_sub_co_u32_e32 v11, vcc, v12, v2
	v_subb_co_u32_e32 v10, vcc, v13, v3, vcc
	v_mov_b32_e32 v9, v5
	v_cmp_ne_u64_e32 vcc, 0, v[9:10]
                                        ; implicit-def: $vgpr8_vgpr9
	s_and_saveexec_b64 s[0:1], vcc
	s_xor_b64 s[4:5], exec, s[0:1]
	s_cbranch_execz .LBB71_139
; %bb.138:
	s_add_u32 s0, s3, 0
	s_addc_u32 s1, 0, 0
	s_xor_b64 s[6:7], s[0:1], 0
	v_cvt_f32_u32_e32 v8, s6
	v_cvt_f32_u32_e32 v9, s7
	s_sub_u32 s9, 0, s6
	s_subb_u32 s10, 0, s7
	v_ashrrev_i32_e32 v15, 31, v10
	v_madmk_f32 v8, v9, 0x4f800000, v8
	v_rcp_f32_e32 v8, v8
	v_mul_f32_e32 v8, 0x5f7ffffc, v8
	v_mul_f32_e32 v9, 0x2f800000, v8
	v_trunc_f32_e32 v9, v9
	v_madmk_f32 v8, v9, 0xcf800000, v8
	v_cvt_u32_f32_e32 v9, v9
	v_cvt_u32_f32_e32 v8, v8
	v_readfirstlane_b32 s11, v9
	v_readfirstlane_b32 s0, v8
	s_mul_i32 s1, s9, s11
	s_mul_hi_u32 s13, s9, s0
	s_mul_i32 s12, s10, s0
	s_add_i32 s1, s13, s1
	s_mul_i32 s16, s9, s0
	s_add_i32 s1, s1, s12
	s_mul_i32 s13, s0, s1
	s_mul_hi_u32 s17, s0, s16
	s_mul_hi_u32 s12, s0, s1
	s_add_u32 s13, s17, s13
	s_addc_u32 s12, 0, s12
	s_mul_hi_u32 s18, s11, s16
	s_mul_i32 s16, s11, s16
	s_add_u32 s13, s13, s16
	s_mul_hi_u32 s17, s11, s1
	s_addc_u32 s12, s12, s18
	s_addc_u32 s13, s17, 0
	s_mul_i32 s1, s11, s1
	s_add_u32 s1, s12, s1
	s_addc_u32 s12, 0, s13
	s_add_u32 s13, s0, s1
	s_cselect_b64 s[0:1], -1, 0
	s_cmp_lg_u64 s[0:1], 0
	s_addc_u32 s11, s11, s12
	s_mul_i32 s0, s9, s11
	s_mul_hi_u32 s1, s9, s13
	s_add_i32 s0, s1, s0
	s_mul_i32 s10, s10, s13
	s_add_i32 s0, s0, s10
	s_mul_i32 s9, s9, s13
	s_mul_hi_u32 s10, s11, s9
	s_mul_i32 s12, s11, s9
	s_mul_i32 s17, s13, s0
	s_mul_hi_u32 s9, s13, s9
	s_mul_hi_u32 s16, s13, s0
	s_add_u32 s9, s9, s17
	s_addc_u32 s16, 0, s16
	s_add_u32 s9, s9, s12
	s_mul_hi_u32 s1, s11, s0
	s_addc_u32 s9, s16, s10
	s_addc_u32 s1, s1, 0
	s_mul_i32 s0, s11, s0
	s_add_u32 s0, s9, s0
	s_addc_u32 s9, 0, s1
	s_add_u32 s10, s13, s0
	s_cselect_b64 s[0:1], -1, 0
	s_cmp_lg_u64 s[0:1], 0
	v_add_co_u32_e32 v8, vcc, v11, v15
	s_addc_u32 s9, s11, s9
	v_xor_b32_e32 v16, v8, v15
	v_mad_u64_u32 v[8:9], s[0:1], v16, s9, 0
	v_mul_hi_u32 v11, v16, s10
	v_addc_co_u32_e32 v10, vcc, v10, v15, vcc
	v_xor_b32_e32 v17, v10, v15
	v_add_co_u32_e32 v18, vcc, v11, v8
	v_addc_co_u32_e32 v19, vcc, 0, v9, vcc
	v_mad_u64_u32 v[8:9], s[0:1], v17, s10, 0
	v_mad_u64_u32 v[10:11], s[0:1], v17, s9, 0
	v_add_co_u32_e32 v8, vcc, v18, v8
	v_addc_co_u32_e32 v8, vcc, v19, v9, vcc
	v_addc_co_u32_e32 v9, vcc, 0, v11, vcc
	v_add_co_u32_e32 v10, vcc, v8, v10
	v_addc_co_u32_e32 v11, vcc, 0, v9, vcc
	v_mul_lo_u32 v18, s7, v10
	v_mul_lo_u32 v19, s6, v11
	v_mad_u64_u32 v[8:9], s[0:1], s6, v10, 0
	v_add3_u32 v9, v9, v19, v18
	v_sub_u32_e32 v18, v17, v9
	v_mov_b32_e32 v19, s7
	v_sub_co_u32_e32 v8, vcc, v16, v8
	v_subb_co_u32_e64 v16, s[0:1], v18, v19, vcc
	v_subrev_co_u32_e64 v18, s[0:1], s6, v8
	v_subbrev_co_u32_e64 v16, s[0:1], 0, v16, s[0:1]
	v_cmp_le_u32_e64 s[0:1], s7, v16
	v_cndmask_b32_e64 v19, 0, -1, s[0:1]
	v_cmp_le_u32_e64 s[0:1], s6, v18
	v_cndmask_b32_e64 v18, 0, -1, s[0:1]
	v_cmp_eq_u32_e64 s[0:1], s7, v16
	v_cndmask_b32_e64 v16, v19, v18, s[0:1]
	v_add_co_u32_e64 v18, s[0:1], 2, v10
	v_subb_co_u32_e32 v9, vcc, v17, v9, vcc
	v_addc_co_u32_e64 v19, s[0:1], 0, v11, s[0:1]
	v_cmp_le_u32_e32 vcc, s7, v9
	v_add_co_u32_e64 v20, s[0:1], 1, v10
	v_cndmask_b32_e64 v17, 0, -1, vcc
	v_cmp_le_u32_e32 vcc, s6, v8
	v_addc_co_u32_e64 v21, s[0:1], 0, v11, s[0:1]
	v_cndmask_b32_e64 v8, 0, -1, vcc
	v_cmp_eq_u32_e32 vcc, s7, v9
	v_cmp_ne_u32_e64 s[0:1], 0, v16
	v_cndmask_b32_e32 v8, v17, v8, vcc
	v_cndmask_b32_e64 v16, v21, v19, s[0:1]
	v_cmp_ne_u32_e32 vcc, 0, v8
	v_cndmask_b32_e64 v9, v20, v18, s[0:1]
	v_cndmask_b32_e32 v8, v11, v16, vcc
	v_cndmask_b32_e32 v9, v10, v9, vcc
	v_xor_b32_e32 v10, v8, v15
	v_xor_b32_e32 v8, v9, v15
	v_sub_co_u32_e32 v8, vcc, v8, v15
	v_subb_co_u32_e32 v9, vcc, v10, v15, vcc
                                        ; implicit-def: $vgpr11
.LBB71_139:
	s_andn2_saveexec_b64 s[0:1], s[4:5]
	s_cbranch_execz .LBB71_141
; %bb.140:
	v_cvt_f32_u32_e32 v8, s3
	v_rcp_iflag_f32_e32 v8, v8
	v_mul_f32_e32 v8, 0x4f7ffffe, v8
	v_cvt_u32_f32_e32 v8, v8
	v_mul_lo_u32 v9, s8, v8
	v_mul_hi_u32 v9, v8, v9
	v_add_u32_e32 v8, v8, v9
	v_mul_hi_u32 v8, v11, v8
	v_mul_lo_u32 v9, v8, s3
	v_add_u32_e32 v10, 1, v8
	v_sub_u32_e32 v9, v11, v9
	v_subrev_u32_e32 v11, s3, v9
	v_cmp_le_u32_e32 vcc, s3, v9
	v_cndmask_b32_e32 v9, v9, v11, vcc
	v_cndmask_b32_e32 v8, v8, v10, vcc
	v_add_u32_e32 v10, 1, v8
	v_cmp_le_u32_e32 vcc, s3, v9
	v_cndmask_b32_e32 v8, v8, v10, vcc
	v_mov_b32_e32 v9, 0
.LBB71_141:
	s_or_b64 exec, exec, s[0:1]
	v_cmp_gt_i64_e32 vcc, s[28:29], v[4:5]
	v_mov_b32_e32 v15, 0
	s_and_saveexec_b64 s[0:1], vcc
	s_cbranch_execz .LBB71_149
; %bb.142:
	s_add_i32 s4, s3, -1
	v_and_b32_e32 v4, s4, v0
	v_cmp_lt_i64_e32 vcc, 0, v[8:9]
	s_mov_b64 s[4:5], 0
	v_mov_b32_e32 v15, 0
	v_lshlrev_b32_e32 v16, 2, v4
	s_and_saveexec_b64 s[6:7], vcc
	s_cbranch_execz .LBB71_146
; %bb.143:
	v_mov_b32_e32 v11, v9
	v_lshl_add_u32 v5, v2, 2, v16
	s_lshl_b32 s8, s3, 2
	v_mov_b32_e32 v15, 0
	v_mov_b32_e32 v10, v8
.LBB71_144:                             ; =>This Inner Loop Header: Depth=1
	ds_read_b32 v17, v5
	v_add_co_u32_e32 v10, vcc, -1, v10
	v_addc_co_u32_e32 v11, vcc, -1, v11, vcc
	v_cmp_eq_u64_e32 vcc, 0, v[10:11]
	v_add_u32_e32 v5, s8, v5
	s_or_b64 s[4:5], vcc, s[4:5]
	s_waitcnt lgkmcnt(0)
	v_add_f32_e32 v15, v15, v17
	s_andn2_b64 exec, exec, s[4:5]
	s_cbranch_execnz .LBB71_144
; %bb.145:
	s_or_b64 exec, exec, s[4:5]
.LBB71_146:
	s_or_b64 exec, exec, s[6:7]
	v_mad_u64_u32 v[2:3], s[4:5], v8, s3, v[2:3]
	v_mov_b32_e32 v5, 0
	v_mad_u64_u32 v[8:9], s[4:5], v9, s3, v[3:4]
	v_sub_co_u32_e32 v9, vcc, v12, v2
	v_subb_co_u32_e32 v10, vcc, v13, v8, vcc
	v_cmp_gt_i64_e32 vcc, v[9:10], v[4:5]
	s_and_saveexec_b64 s[4:5], vcc
	s_cbranch_execz .LBB71_148
; %bb.147:
	v_lshl_add_u32 v2, v2, 2, v16
	ds_read_b32 v2, v2
	s_waitcnt lgkmcnt(0)
	v_add_f32_e32 v15, v15, v2
.LBB71_148:
	s_or_b64 exec, exec, s[4:5]
.LBB71_149:
	s_or_b64 exec, exec, s[0:1]
	v_cmp_gt_i64_e32 vcc, s[28:29], v[0:1]
	s_barrier
	ds_write_b32 v14, v15
	s_waitcnt lgkmcnt(0)
	s_barrier
	s_and_saveexec_b64 s[0:1], vcc
	s_cbranch_execz .LBB71_154
; %bb.150:
	v_mul_lo_u32 v1, s3, v0
	v_mov_b32_e32 v3, 0
	v_lshlrev_b32_e32 v1, 2, v1
.LBB71_151:                             ; =>This Inner Loop Header: Depth=1
	ds_read_b32 v2, v1
	s_add_i32 s3, s3, -1
	v_add_u32_e32 v1, 4, v1
	s_cmp_eq_u32 s3, 0
	s_waitcnt lgkmcnt(0)
	v_add_f32_e32 v3, v3, v2
	s_cbranch_scc0 .LBB71_151
; %bb.152:
	v_lshlrev_b64 v[1:2], 2, v[6:7]
	v_mov_b32_e32 v4, s15
	v_add_co_u32_e32 v1, vcc, s14, v1
	v_addc_co_u32_e32 v2, vcc, v4, v2, vcc
	global_load_dword v4, v[1:2], off
	s_lshl_b32 s0, s2, 2
	s_addk_i32 s0, 0x1000
	v_lshl_add_u32 v0, v0, 2, s0
	ds_read_b32 v0, v0
	s_mov_b64 s[0:1], 0
	s_waitcnt lgkmcnt(0)
	v_add_f32_e32 v0, v3, v0
.LBB71_153:                             ; =>This Inner Loop Header: Depth=1
	s_waitcnt vmcnt(0)
	v_add_f32_e32 v3, v4, v0
	global_atomic_cmpswap v3, v[1:2], v[3:4], off glc
	s_waitcnt vmcnt(0)
	v_cmp_eq_u32_e32 vcc, v3, v4
	s_or_b64 s[0:1], vcc, s[0:1]
	v_mov_b32_e32 v4, v3
	s_andn2_b64 exec, exec, s[0:1]
	s_cbranch_execnz .LBB71_153
.LBB71_154:
	s_endpgm
	.section	.rodata,"a",@progbits
	.p2align	6, 0x0
	.amdhsa_kernel _ZN9rocsparseL27csrmvn_symm_adaptive_kernelIllDF16_DF16_ffEEvbT_S1_PKS1_NS_24const_host_device_scalarIT4_EES3_PKT0_PKT1_PKT2_S6_PT3_21rocsparse_index_base_b
		.amdhsa_group_segment_fixed_size 4096
		.amdhsa_private_segment_fixed_size 0
		.amdhsa_kernarg_size 352
		.amdhsa_user_sgpr_count 6
		.amdhsa_user_sgpr_private_segment_buffer 1
		.amdhsa_user_sgpr_dispatch_ptr 0
		.amdhsa_user_sgpr_queue_ptr 0
		.amdhsa_user_sgpr_kernarg_segment_ptr 1
		.amdhsa_user_sgpr_dispatch_id 0
		.amdhsa_user_sgpr_flat_scratch_init 0
		.amdhsa_user_sgpr_private_segment_size 0
		.amdhsa_uses_dynamic_stack 0
		.amdhsa_system_sgpr_private_segment_wavefront_offset 0
		.amdhsa_system_sgpr_workgroup_id_x 1
		.amdhsa_system_sgpr_workgroup_id_y 0
		.amdhsa_system_sgpr_workgroup_id_z 0
		.amdhsa_system_sgpr_workgroup_info 0
		.amdhsa_system_vgpr_workitem_id 0
		.amdhsa_next_free_vgpr 22
		.amdhsa_next_free_sgpr 52
		.amdhsa_reserve_vcc 1
		.amdhsa_reserve_flat_scratch 0
		.amdhsa_float_round_mode_32 0
		.amdhsa_float_round_mode_16_64 0
		.amdhsa_float_denorm_mode_32 3
		.amdhsa_float_denorm_mode_16_64 3
		.amdhsa_dx10_clamp 1
		.amdhsa_ieee_mode 1
		.amdhsa_fp16_overflow 0
		.amdhsa_exception_fp_ieee_invalid_op 0
		.amdhsa_exception_fp_denorm_src 0
		.amdhsa_exception_fp_ieee_div_zero 0
		.amdhsa_exception_fp_ieee_overflow 0
		.amdhsa_exception_fp_ieee_underflow 0
		.amdhsa_exception_fp_ieee_inexact 0
		.amdhsa_exception_int_div_zero 0
	.end_amdhsa_kernel
	.section	.text._ZN9rocsparseL27csrmvn_symm_adaptive_kernelIllDF16_DF16_ffEEvbT_S1_PKS1_NS_24const_host_device_scalarIT4_EES3_PKT0_PKT1_PKT2_S6_PT3_21rocsparse_index_base_b,"axG",@progbits,_ZN9rocsparseL27csrmvn_symm_adaptive_kernelIllDF16_DF16_ffEEvbT_S1_PKS1_NS_24const_host_device_scalarIT4_EES3_PKT0_PKT1_PKT2_S6_PT3_21rocsparse_index_base_b,comdat
.Lfunc_end71:
	.size	_ZN9rocsparseL27csrmvn_symm_adaptive_kernelIllDF16_DF16_ffEEvbT_S1_PKS1_NS_24const_host_device_scalarIT4_EES3_PKT0_PKT1_PKT2_S6_PT3_21rocsparse_index_base_b, .Lfunc_end71-_ZN9rocsparseL27csrmvn_symm_adaptive_kernelIllDF16_DF16_ffEEvbT_S1_PKS1_NS_24const_host_device_scalarIT4_EES3_PKT0_PKT1_PKT2_S6_PT3_21rocsparse_index_base_b
                                        ; -- End function
	.set _ZN9rocsparseL27csrmvn_symm_adaptive_kernelIllDF16_DF16_ffEEvbT_S1_PKS1_NS_24const_host_device_scalarIT4_EES3_PKT0_PKT1_PKT2_S6_PT3_21rocsparse_index_base_b.num_vgpr, 22
	.set _ZN9rocsparseL27csrmvn_symm_adaptive_kernelIllDF16_DF16_ffEEvbT_S1_PKS1_NS_24const_host_device_scalarIT4_EES3_PKT0_PKT1_PKT2_S6_PT3_21rocsparse_index_base_b.num_agpr, 0
	.set _ZN9rocsparseL27csrmvn_symm_adaptive_kernelIllDF16_DF16_ffEEvbT_S1_PKS1_NS_24const_host_device_scalarIT4_EES3_PKT0_PKT1_PKT2_S6_PT3_21rocsparse_index_base_b.numbered_sgpr, 52
	.set _ZN9rocsparseL27csrmvn_symm_adaptive_kernelIllDF16_DF16_ffEEvbT_S1_PKS1_NS_24const_host_device_scalarIT4_EES3_PKT0_PKT1_PKT2_S6_PT3_21rocsparse_index_base_b.num_named_barrier, 0
	.set _ZN9rocsparseL27csrmvn_symm_adaptive_kernelIllDF16_DF16_ffEEvbT_S1_PKS1_NS_24const_host_device_scalarIT4_EES3_PKT0_PKT1_PKT2_S6_PT3_21rocsparse_index_base_b.private_seg_size, 0
	.set _ZN9rocsparseL27csrmvn_symm_adaptive_kernelIllDF16_DF16_ffEEvbT_S1_PKS1_NS_24const_host_device_scalarIT4_EES3_PKT0_PKT1_PKT2_S6_PT3_21rocsparse_index_base_b.uses_vcc, 1
	.set _ZN9rocsparseL27csrmvn_symm_adaptive_kernelIllDF16_DF16_ffEEvbT_S1_PKS1_NS_24const_host_device_scalarIT4_EES3_PKT0_PKT1_PKT2_S6_PT3_21rocsparse_index_base_b.uses_flat_scratch, 0
	.set _ZN9rocsparseL27csrmvn_symm_adaptive_kernelIllDF16_DF16_ffEEvbT_S1_PKS1_NS_24const_host_device_scalarIT4_EES3_PKT0_PKT1_PKT2_S6_PT3_21rocsparse_index_base_b.has_dyn_sized_stack, 0
	.set _ZN9rocsparseL27csrmvn_symm_adaptive_kernelIllDF16_DF16_ffEEvbT_S1_PKS1_NS_24const_host_device_scalarIT4_EES3_PKT0_PKT1_PKT2_S6_PT3_21rocsparse_index_base_b.has_recursion, 0
	.set _ZN9rocsparseL27csrmvn_symm_adaptive_kernelIllDF16_DF16_ffEEvbT_S1_PKS1_NS_24const_host_device_scalarIT4_EES3_PKT0_PKT1_PKT2_S6_PT3_21rocsparse_index_base_b.has_indirect_call, 0
	.section	.AMDGPU.csdata,"",@progbits
; Kernel info:
; codeLenInByte = 7608
; TotalNumSgprs: 56
; NumVgprs: 22
; ScratchSize: 0
; MemoryBound: 0
; FloatMode: 240
; IeeeMode: 1
; LDSByteSize: 4096 bytes/workgroup (compile time only)
; SGPRBlocks: 6
; VGPRBlocks: 5
; NumSGPRsForWavesPerEU: 56
; NumVGPRsForWavesPerEU: 22
; Occupancy: 10
; WaveLimiterHint : 1
; COMPUTE_PGM_RSRC2:SCRATCH_EN: 0
; COMPUTE_PGM_RSRC2:USER_SGPR: 6
; COMPUTE_PGM_RSRC2:TRAP_HANDLER: 0
; COMPUTE_PGM_RSRC2:TGID_X_EN: 1
; COMPUTE_PGM_RSRC2:TGID_Y_EN: 0
; COMPUTE_PGM_RSRC2:TGID_Z_EN: 0
; COMPUTE_PGM_RSRC2:TIDIG_COMP_CNT: 0
	.section	.text._ZL33csrmvn_symm_large_adaptive_kernelIllDF16_DF16_ffEvbT_PKS0_N9rocsparse24const_host_device_scalarIT4_EES2_PKT0_PKT1_PKT2_S6_PT3_21rocsparse_index_base_b,"axG",@progbits,_ZL33csrmvn_symm_large_adaptive_kernelIllDF16_DF16_ffEvbT_PKS0_N9rocsparse24const_host_device_scalarIT4_EES2_PKT0_PKT1_PKT2_S6_PT3_21rocsparse_index_base_b,comdat
	.globl	_ZL33csrmvn_symm_large_adaptive_kernelIllDF16_DF16_ffEvbT_PKS0_N9rocsparse24const_host_device_scalarIT4_EES2_PKT0_PKT1_PKT2_S6_PT3_21rocsparse_index_base_b ; -- Begin function _ZL33csrmvn_symm_large_adaptive_kernelIllDF16_DF16_ffEvbT_PKS0_N9rocsparse24const_host_device_scalarIT4_EES2_PKT0_PKT1_PKT2_S6_PT3_21rocsparse_index_base_b
	.p2align	8
	.type	_ZL33csrmvn_symm_large_adaptive_kernelIllDF16_DF16_ffEvbT_PKS0_N9rocsparse24const_host_device_scalarIT4_EES2_PKT0_PKT1_PKT2_S6_PT3_21rocsparse_index_base_b,@function
_ZL33csrmvn_symm_large_adaptive_kernelIllDF16_DF16_ffEvbT_PKS0_N9rocsparse24const_host_device_scalarIT4_EES2_PKT0_PKT1_PKT2_S6_PT3_21rocsparse_index_base_b: ; @_ZL33csrmvn_symm_large_adaptive_kernelIllDF16_DF16_ffEvbT_PKS0_N9rocsparse24const_host_device_scalarIT4_EES2_PKT0_PKT1_PKT2_S6_PT3_21rocsparse_index_base_b
; %bb.0:
	s_load_dwordx2 s[24:25], s[4:5], 0x50
	s_load_dwordx2 s[26:27], s[4:5], 0x18
	s_load_dwordx2 s[0:1], s[4:5], 0x40
	s_waitcnt lgkmcnt(0)
	s_bitcmp1_b32 s25, 0
	s_cselect_b64 s[8:9], -1, 0
	s_xor_b64 s[2:3], s[8:9], -1
	s_and_b64 vcc, exec, s[8:9]
	s_cbranch_vccnz .LBB72_2
; %bb.1:
	s_load_dword s26, s[26:27], 0x0
.LBB72_2:
	s_andn2_b64 vcc, exec, s[2:3]
	s_cbranch_vccnz .LBB72_4
; %bb.3:
	s_load_dword s0, s[0:1], 0x0
.LBB72_4:
	s_waitcnt lgkmcnt(0)
	v_cmp_neq_f32_e64 s[2:3], s26, 0
	v_cmp_neq_f32_e64 s[0:1], s0, 1.0
	s_or_b64 s[0:1], s[2:3], s[0:1]
	s_andn2_b64 vcc, exec, s[0:1]
	s_cbranch_vccnz .LBB72_36
; %bb.5:
	s_load_dwordx2 s[0:1], s[4:5], 0x10
	s_ashr_i32 s7, s6, 31
	s_lshl_b64 s[2:3], s[6:7], 3
	v_lshlrev_b32_e32 v8, 2, v0
	v_mov_b32_e32 v9, 0
	s_waitcnt lgkmcnt(0)
	s_add_u32 s0, s0, s2
	s_addc_u32 s1, s1, s3
	ds_write2st64_b32 v8, v9, v9 offset1:4
	ds_write2st64_b32 v8, v9, v9 offset0:8 offset1:12
	s_waitcnt lgkmcnt(0)
	s_barrier
	s_load_dwordx4 s[20:23], s[0:1], 0x0
	s_load_dwordx8 s[12:19], s[4:5], 0x20
	s_load_dwordx2 s[28:29], s[4:5], 0x48
	v_subrev_co_u32_e64 v10, s[0:1], s24, v0
	s_waitcnt lgkmcnt(0)
	v_mov_b32_e32 v1, s22
	v_mov_b32_e32 v2, s23
	v_cmp_ge_i64_e32 vcc, s[20:21], v[1:2]
	v_subb_co_u32_e64 v11, s[0:1], 0, 0, s[0:1]
	s_cbranch_vccnz .LBB72_26
; %bb.6:
	s_movk_i32 s25, 0x100
	v_cmp_gt_u32_e64 s[0:1], s25, v0
	v_cmp_gt_u32_e64 s[2:3], 64, v0
	;; [unrolled: 1-line block ×4, first 2 shown]
	v_cmp_eq_u32_e64 s[8:9], 0, v0
	v_mov_b32_e32 v0, s22
	v_mov_b32_e32 v1, s23
	s_mov_b64 s[30:31], s[20:21]
	s_branch .LBB72_8
.LBB72_7:                               ;   in Loop: Header=BB72_8 Depth=1
	s_or_b64 exec, exec, s[10:11]
	s_add_u32 s30, s30, 1
	s_addc_u32 s31, s31, 0
	v_cmp_ge_i64_e32 vcc, s[30:31], v[0:1]
	s_cbranch_vccnz .LBB72_26
.LBB72_8:                               ; =>This Loop Header: Depth=1
                                        ;     Child Loop BB72_10 Depth 2
                                        ;     Child Loop BB72_25 Depth 2
	s_lshl_b64 s[10:11], s[30:31], 3
	s_add_u32 s10, s12, s10
	s_addc_u32 s11, s13, s11
	s_load_dwordx4 s[36:39], s[10:11], 0x0
	v_mov_b32_e32 v12, 0
	s_waitcnt lgkmcnt(0)
	s_sub_u32 s34, s38, s24
	v_mov_b32_e32 v3, s37
	v_add_co_u32_e32 v2, vcc, s36, v10
	s_subb_u32 s35, s39, 0
	v_addc_co_u32_e32 v3, vcc, v3, v11, vcc
	v_cmp_gt_i64_e32 vcc, s[34:35], v[2:3]
	s_and_saveexec_b64 s[36:37], vcc
	s_cbranch_execz .LBB72_12
; %bb.9:                                ;   in Loop: Header=BB72_8 Depth=1
	v_lshlrev_b64 v[4:5], 3, v[2:3]
	v_mov_b32_e32 v6, s15
	v_add_co_u32_e32 v4, vcc, s14, v4
	v_addc_co_u32_e32 v5, vcc, v6, v5, vcc
	v_lshlrev_b64 v[6:7], 1, v[2:3]
	v_mov_b32_e32 v12, s17
	v_add_co_u32_e32 v6, vcc, s16, v6
	v_addc_co_u32_e32 v7, vcc, v12, v7, vcc
	v_mov_b32_e32 v12, 0
	s_mov_b64 s[38:39], 0
.LBB72_10:                              ;   Parent Loop BB72_8 Depth=1
                                        ; =>  This Inner Loop Header: Depth=2
	global_load_dwordx2 v[13:14], v[4:5], off
	global_load_ushort v15, v[6:7], off
	v_mov_b32_e32 v16, s19
	s_waitcnt vmcnt(1)
	v_subrev_co_u32_e32 v13, vcc, s24, v13
	v_subbrev_co_u32_e32 v14, vcc, 0, v14, vcc
	v_lshlrev_b64 v[13:14], 1, v[13:14]
	v_add_co_u32_e32 v13, vcc, s18, v13
	v_addc_co_u32_e32 v14, vcc, v16, v14, vcc
	global_load_ushort v13, v[13:14], off
	v_add_co_u32_e32 v2, vcc, s25, v2
	v_addc_co_u32_e32 v3, vcc, 0, v3, vcc
	v_add_co_u32_e32 v4, vcc, 0x800, v4
	v_addc_co_u32_e32 v5, vcc, 0, v5, vcc
	v_cmp_le_i64_e64 s[10:11], s[34:35], v[2:3]
	v_add_co_u32_e32 v6, vcc, 0x200, v6
	v_addc_co_u32_e32 v7, vcc, 0, v7, vcc
	s_or_b64 s[38:39], s[10:11], s[38:39]
	s_waitcnt vmcnt(0)
	v_fma_mix_f32 v12, v15, v13, v12 op_sel_hi:[1,1,0]
	s_andn2_b64 exec, exec, s[38:39]
	s_cbranch_execnz .LBB72_10
; %bb.11:                               ;   in Loop: Header=BB72_8 Depth=1
	s_or_b64 exec, exec, s[38:39]
.LBB72_12:                              ;   in Loop: Header=BB72_8 Depth=1
	s_or_b64 exec, exec, s[36:37]
	ds_write_b32 v8, v12
	s_waitcnt lgkmcnt(0)
	s_barrier
	s_and_saveexec_b64 s[10:11], s[0:1]
	s_cbranch_execz .LBB72_14
; %bb.13:                               ;   in Loop: Header=BB72_8 Depth=1
	ds_read2st64_b32 v[2:3], v8 offset1:4
	ds_read2st64_b32 v[4:5], v8 offset0:8 offset1:12
	s_waitcnt lgkmcnt(0)
	v_add_f32_e32 v3, v3, v4
	v_add_f32_e32 v3, v3, v5
	;; [unrolled: 1-line block ×3, first 2 shown]
	ds_write_b32 v8, v2
.LBB72_14:                              ;   in Loop: Header=BB72_8 Depth=1
	s_or_b64 exec, exec, s[10:11]
	s_waitcnt lgkmcnt(0)
	s_barrier
	s_and_saveexec_b64 s[10:11], s[2:3]
	s_cbranch_execz .LBB72_16
; %bb.15:                               ;   in Loop: Header=BB72_8 Depth=1
	ds_read2st64_b32 v[2:3], v8 offset1:1
	ds_read2st64_b32 v[4:5], v8 offset0:2 offset1:3
	s_waitcnt lgkmcnt(0)
	v_add_f32_e32 v3, v3, v4
	v_add_f32_e32 v3, v3, v5
	;; [unrolled: 1-line block ×3, first 2 shown]
	ds_write_b32 v8, v2
.LBB72_16:                              ;   in Loop: Header=BB72_8 Depth=1
	s_or_b64 exec, exec, s[10:11]
	s_waitcnt lgkmcnt(0)
	s_barrier
	s_and_saveexec_b64 s[10:11], s[4:5]
	s_cbranch_execz .LBB72_18
; %bb.17:                               ;   in Loop: Header=BB72_8 Depth=1
	ds_read2_b32 v[2:3], v8 offset1:16
	ds_read2_b32 v[4:5], v8 offset0:32 offset1:48
	s_waitcnt lgkmcnt(0)
	v_add_f32_e32 v3, v3, v4
	v_add_f32_e32 v3, v3, v5
	;; [unrolled: 1-line block ×3, first 2 shown]
	ds_write_b32 v8, v2
.LBB72_18:                              ;   in Loop: Header=BB72_8 Depth=1
	s_or_b64 exec, exec, s[10:11]
	s_waitcnt lgkmcnt(0)
	s_barrier
	s_and_saveexec_b64 s[10:11], s[6:7]
	s_cbranch_execz .LBB72_20
; %bb.19:                               ;   in Loop: Header=BB72_8 Depth=1
	ds_read2_b32 v[2:3], v8 offset1:4
	ds_read2_b32 v[4:5], v8 offset0:8 offset1:12
	s_waitcnt lgkmcnt(0)
	v_add_f32_e32 v3, v3, v4
	v_add_f32_e32 v3, v3, v5
	;; [unrolled: 1-line block ×3, first 2 shown]
	ds_write_b32 v8, v2
.LBB72_20:                              ;   in Loop: Header=BB72_8 Depth=1
	s_or_b64 exec, exec, s[10:11]
	s_waitcnt lgkmcnt(0)
	s_barrier
	s_and_saveexec_b64 s[10:11], s[8:9]
	s_cbranch_execz .LBB72_22
; %bb.21:                               ;   in Loop: Header=BB72_8 Depth=1
	ds_read2_b32 v[2:3], v9 offset0:1 offset1:2
	ds_read_b32 v4, v9 offset:12
	ds_read_b32 v5, v8
	s_waitcnt lgkmcnt(2)
	v_add_f32_e32 v2, v2, v3
	s_waitcnt lgkmcnt(1)
	v_add_f32_e32 v2, v2, v4
	;; [unrolled: 2-line block ×3, first 2 shown]
	ds_write_b32 v8, v2
.LBB72_22:                              ;   in Loop: Header=BB72_8 Depth=1
	s_or_b64 exec, exec, s[10:11]
	s_waitcnt lgkmcnt(0)
	s_barrier
	s_and_saveexec_b64 s[10:11], s[8:9]
	s_cbranch_execz .LBB72_7
; %bb.23:                               ;   in Loop: Header=BB72_8 Depth=1
	s_mov_b64 s[36:37], exec
	v_mbcnt_lo_u32_b32 v2, s36, 0
	v_mbcnt_hi_u32_b32 v2, s37, v2
	v_cmp_eq_u32_e32 vcc, 0, v2
	s_and_b64 s[34:35], exec, vcc
	s_mov_b64 exec, s[34:35]
	s_cbranch_execz .LBB72_7
; %bb.24:                               ;   in Loop: Header=BB72_8 Depth=1
	s_lshl_b64 s[34:35], s[30:31], 2
	s_add_u32 s34, s28, s34
	s_addc_u32 s35, s29, s35
	global_load_dword v3, v9, s[34:35]
	ds_read_b32 v2, v9
	s_bcnt1_i32_b64 s27, s[36:37]
	v_cvt_f32_ubyte0_e32 v4, s27
	s_mov_b64 s[36:37], 0
	s_waitcnt lgkmcnt(0)
	v_mul_f32_e32 v2, s26, v2
	v_mul_f32_e32 v4, v2, v4
.LBB72_25:                              ;   Parent Loop BB72_8 Depth=1
                                        ; =>  This Inner Loop Header: Depth=2
	s_waitcnt vmcnt(0)
	v_add_f32_e32 v2, v3, v4
	global_atomic_cmpswap v2, v9, v[2:3], s[34:35] glc
	s_waitcnt vmcnt(0)
	v_cmp_eq_u32_e32 vcc, v2, v3
	s_or_b64 s[36:37], vcc, s[36:37]
	v_mov_b32_e32 v3, v2
	s_andn2_b64 exec, exec, s[36:37]
	s_cbranch_execnz .LBB72_25
	s_branch .LBB72_7
.LBB72_26:
	s_lshl_b64 s[0:1], s[20:21], 3
	s_add_u32 s0, s12, s0
	s_addc_u32 s1, s13, s1
	s_lshl_b64 s[2:3], s[22:23], 3
	s_add_u32 s2, s12, s2
	s_addc_u32 s3, s13, s3
	s_load_dwordx2 s[6:7], s[0:1], 0x0
	s_load_dwordx2 s[4:5], s[2:3], 0x0
	s_waitcnt lgkmcnt(0)
	v_mov_b32_e32 v1, s7
	s_sub_u32 s4, s4, s24
	v_add_co_u32_e32 v0, vcc, s6, v10
	s_subb_u32 s5, s5, 0
	v_addc_co_u32_e32 v1, vcc, v1, v11, vcc
	v_cmp_gt_i64_e32 vcc, s[4:5], v[0:1]
	s_and_saveexec_b64 s[0:1], vcc
	s_cbranch_execz .LBB72_36
; %bb.27:
	s_add_u32 s6, s22, -1
	s_addc_u32 s7, s23, -1
	v_mov_b32_e32 v2, s6
	s_add_u32 s0, s22, -2
	v_mov_b32_e32 v3, s7
	s_addc_u32 s1, s23, -1
	v_cmp_lt_i64_e32 vcc, s[20:21], v[2:3]
	s_cmp_lg_u64 s[20:21], s[0:1]
	s_cselect_b64 s[0:1], -1, 0
	s_and_b64 s[0:1], vcc, s[0:1]
	v_cndmask_b32_e64 v2, 0, 1, s[0:1]
	s_mov_b64 s[8:9], 0
	v_cmp_ne_u32_e64 s[0:1], 1, v2
	v_mov_b32_e32 v6, s13
	v_mov_b32_e32 v7, s15
	s_branch .LBB72_29
.LBB72_28:                              ;   in Loop: Header=BB72_29 Depth=1
	s_or_b64 exec, exec, s[2:3]
	v_add_co_u32_e32 v0, vcc, 0x100, v0
	v_addc_co_u32_e32 v1, vcc, 0, v1, vcc
	v_cmp_le_i64_e32 vcc, s[4:5], v[0:1]
	s_or_b64 s[8:9], vcc, s[8:9]
	s_andn2_b64 exec, exec, s[8:9]
	s_cbranch_execz .LBB72_36
.LBB72_29:                              ; =>This Loop Header: Depth=1
                                        ;     Child Loop BB72_31 Depth 2
                                        ;     Child Loop BB72_35 Depth 2
	v_mov_b32_e32 v2, s20
	v_mov_b32_e32 v4, s6
	s_and_b64 vcc, exec, s[0:1]
	v_mov_b32_e32 v3, s21
	v_mov_b32_e32 v5, s7
	s_cbranch_vccnz .LBB72_33
; %bb.30:                               ;   in Loop: Header=BB72_29 Depth=1
	v_mov_b32_e32 v2, s20
	v_mov_b32_e32 v4, s6
	s_mov_b64 s[10:11], 0
	v_mov_b32_e32 v3, s21
	v_mov_b32_e32 v5, s7
.LBB72_31:                              ;   Parent Loop BB72_29 Depth=1
                                        ; =>  This Inner Loop Header: Depth=2
	v_add_co_u32_e32 v8, vcc, v4, v2
	v_addc_co_u32_e32 v9, vcc, v5, v3, vcc
	v_lshrrev_b32_e32 v10, 31, v9
	v_add_co_u32_e32 v8, vcc, v8, v10
	v_addc_co_u32_e32 v9, vcc, 0, v9, vcc
	v_ashrrev_i64 v[8:9], 1, v[8:9]
	v_mov_b32_e32 v12, s13
	v_lshlrev_b64 v[10:11], 3, v[8:9]
	v_add_co_u32_e32 v10, vcc, s12, v10
	v_addc_co_u32_e32 v11, vcc, v12, v11, vcc
	global_load_dwordx2 v[10:11], v[10:11], off
	s_waitcnt vmcnt(0)
	v_subrev_co_u32_e32 v10, vcc, s24, v10
	v_subbrev_co_u32_e32 v11, vcc, 0, v11, vcc
	v_cmp_lt_i64_e32 vcc, v[0:1], v[10:11]
	v_cndmask_b32_e32 v4, v4, v8, vcc
	v_cndmask_b32_e32 v5, v5, v9, vcc
	;; [unrolled: 1-line block ×3, first 2 shown]
	v_add_co_u32_e64 v8, s[2:3], -1, v4
	v_cndmask_b32_e32 v3, v9, v3, vcc
	v_addc_co_u32_e64 v9, s[2:3], -1, v5, s[2:3]
	v_cmp_ge_i64_e32 vcc, v[2:3], v[4:5]
	v_cmp_eq_u64_e64 s[2:3], v[2:3], v[8:9]
	s_or_b64 s[2:3], vcc, s[2:3]
	s_and_b64 s[2:3], exec, s[2:3]
	s_or_b64 s[10:11], s[2:3], s[10:11]
	s_andn2_b64 exec, exec, s[10:11]
	s_cbranch_execnz .LBB72_31
; %bb.32:                               ;   in Loop: Header=BB72_29 Depth=1
	s_or_b64 exec, exec, s[10:11]
.LBB72_33:                              ;   in Loop: Header=BB72_29 Depth=1
	v_lshlrev_b64 v[8:9], 3, v[4:5]
	v_lshlrev_b64 v[10:11], 3, v[0:1]
	v_add_co_u32_e32 v8, vcc, s12, v8
	v_addc_co_u32_e32 v9, vcc, v6, v9, vcc
	global_load_dwordx2 v[8:9], v[8:9], off
	v_add_co_u32_e32 v10, vcc, s14, v10
	v_addc_co_u32_e32 v11, vcc, v7, v11, vcc
	global_load_dwordx2 v[10:11], v[10:11], off
	s_waitcnt vmcnt(1)
	v_subrev_co_u32_e32 v8, vcc, s24, v8
	v_subbrev_co_u32_e32 v9, vcc, 0, v9, vcc
	v_cmp_lt_i64_e32 vcc, v[0:1], v[8:9]
	v_cndmask_b32_e32 v3, v5, v3, vcc
	v_cndmask_b32_e32 v2, v4, v2, vcc
	s_waitcnt vmcnt(0)
	v_subrev_co_u32_e32 v4, vcc, s24, v10
	v_subbrev_co_u32_e32 v5, vcc, 0, v11, vcc
	v_cmp_ne_u64_e32 vcc, v[4:5], v[2:3]
	s_and_saveexec_b64 s[2:3], vcc
	s_cbranch_execz .LBB72_28
; %bb.34:                               ;   in Loop: Header=BB72_29 Depth=1
	v_lshlrev_b64 v[8:9], 1, v[0:1]
	v_mov_b32_e32 v10, s17
	v_add_co_u32_e32 v8, vcc, s16, v8
	v_lshlrev_b64 v[2:3], 1, v[2:3]
	v_addc_co_u32_e32 v9, vcc, v10, v9, vcc
	global_load_ushort v8, v[8:9], off
	v_mov_b32_e32 v9, s19
	v_add_co_u32_e32 v2, vcc, s18, v2
	v_addc_co_u32_e32 v3, vcc, v9, v3, vcc
	global_load_ushort v9, v[2:3], off
	v_lshlrev_b64 v[4:5], 2, v[4:5]
	v_mov_b32_e32 v3, s29
	v_add_co_u32_e32 v2, vcc, s28, v4
	v_addc_co_u32_e32 v3, vcc, v3, v5, vcc
	global_load_dword v5, v[2:3], off
	s_mov_b64 s[10:11], 0
	s_waitcnt vmcnt(2)
	v_cvt_f32_f16_e32 v4, v8
	v_mul_f32_e32 v4, s26, v4
	s_waitcnt vmcnt(1)
	v_cvt_f32_f16_e32 v8, v9
	v_mul_f32_e32 v8, v4, v8
.LBB72_35:                              ;   Parent Loop BB72_29 Depth=1
                                        ; =>  This Inner Loop Header: Depth=2
	s_waitcnt vmcnt(0)
	v_add_f32_e32 v4, v5, v8
	global_atomic_cmpswap v4, v[2:3], v[4:5], off glc
	s_waitcnt vmcnt(0)
	v_cmp_eq_u32_e32 vcc, v4, v5
	s_or_b64 s[10:11], vcc, s[10:11]
	v_mov_b32_e32 v5, v4
	s_andn2_b64 exec, exec, s[10:11]
	s_cbranch_execnz .LBB72_35
	s_branch .LBB72_28
.LBB72_36:
	s_endpgm
	.section	.rodata,"a",@progbits
	.p2align	6, 0x0
	.amdhsa_kernel _ZL33csrmvn_symm_large_adaptive_kernelIllDF16_DF16_ffEvbT_PKS0_N9rocsparse24const_host_device_scalarIT4_EES2_PKT0_PKT1_PKT2_S6_PT3_21rocsparse_index_base_b
		.amdhsa_group_segment_fixed_size 4096
		.amdhsa_private_segment_fixed_size 0
		.amdhsa_kernarg_size 88
		.amdhsa_user_sgpr_count 6
		.amdhsa_user_sgpr_private_segment_buffer 1
		.amdhsa_user_sgpr_dispatch_ptr 0
		.amdhsa_user_sgpr_queue_ptr 0
		.amdhsa_user_sgpr_kernarg_segment_ptr 1
		.amdhsa_user_sgpr_dispatch_id 0
		.amdhsa_user_sgpr_flat_scratch_init 0
		.amdhsa_user_sgpr_private_segment_size 0
		.amdhsa_uses_dynamic_stack 0
		.amdhsa_system_sgpr_private_segment_wavefront_offset 0
		.amdhsa_system_sgpr_workgroup_id_x 1
		.amdhsa_system_sgpr_workgroup_id_y 0
		.amdhsa_system_sgpr_workgroup_id_z 0
		.amdhsa_system_sgpr_workgroup_info 0
		.amdhsa_system_vgpr_workitem_id 0
		.amdhsa_next_free_vgpr 17
		.amdhsa_next_free_sgpr 40
		.amdhsa_reserve_vcc 1
		.amdhsa_reserve_flat_scratch 0
		.amdhsa_float_round_mode_32 0
		.amdhsa_float_round_mode_16_64 0
		.amdhsa_float_denorm_mode_32 3
		.amdhsa_float_denorm_mode_16_64 3
		.amdhsa_dx10_clamp 1
		.amdhsa_ieee_mode 1
		.amdhsa_fp16_overflow 0
		.amdhsa_exception_fp_ieee_invalid_op 0
		.amdhsa_exception_fp_denorm_src 0
		.amdhsa_exception_fp_ieee_div_zero 0
		.amdhsa_exception_fp_ieee_overflow 0
		.amdhsa_exception_fp_ieee_underflow 0
		.amdhsa_exception_fp_ieee_inexact 0
		.amdhsa_exception_int_div_zero 0
	.end_amdhsa_kernel
	.section	.text._ZL33csrmvn_symm_large_adaptive_kernelIllDF16_DF16_ffEvbT_PKS0_N9rocsparse24const_host_device_scalarIT4_EES2_PKT0_PKT1_PKT2_S6_PT3_21rocsparse_index_base_b,"axG",@progbits,_ZL33csrmvn_symm_large_adaptive_kernelIllDF16_DF16_ffEvbT_PKS0_N9rocsparse24const_host_device_scalarIT4_EES2_PKT0_PKT1_PKT2_S6_PT3_21rocsparse_index_base_b,comdat
.Lfunc_end72:
	.size	_ZL33csrmvn_symm_large_adaptive_kernelIllDF16_DF16_ffEvbT_PKS0_N9rocsparse24const_host_device_scalarIT4_EES2_PKT0_PKT1_PKT2_S6_PT3_21rocsparse_index_base_b, .Lfunc_end72-_ZL33csrmvn_symm_large_adaptive_kernelIllDF16_DF16_ffEvbT_PKS0_N9rocsparse24const_host_device_scalarIT4_EES2_PKT0_PKT1_PKT2_S6_PT3_21rocsparse_index_base_b
                                        ; -- End function
	.set _ZL33csrmvn_symm_large_adaptive_kernelIllDF16_DF16_ffEvbT_PKS0_N9rocsparse24const_host_device_scalarIT4_EES2_PKT0_PKT1_PKT2_S6_PT3_21rocsparse_index_base_b.num_vgpr, 17
	.set _ZL33csrmvn_symm_large_adaptive_kernelIllDF16_DF16_ffEvbT_PKS0_N9rocsparse24const_host_device_scalarIT4_EES2_PKT0_PKT1_PKT2_S6_PT3_21rocsparse_index_base_b.num_agpr, 0
	.set _ZL33csrmvn_symm_large_adaptive_kernelIllDF16_DF16_ffEvbT_PKS0_N9rocsparse24const_host_device_scalarIT4_EES2_PKT0_PKT1_PKT2_S6_PT3_21rocsparse_index_base_b.numbered_sgpr, 40
	.set _ZL33csrmvn_symm_large_adaptive_kernelIllDF16_DF16_ffEvbT_PKS0_N9rocsparse24const_host_device_scalarIT4_EES2_PKT0_PKT1_PKT2_S6_PT3_21rocsparse_index_base_b.num_named_barrier, 0
	.set _ZL33csrmvn_symm_large_adaptive_kernelIllDF16_DF16_ffEvbT_PKS0_N9rocsparse24const_host_device_scalarIT4_EES2_PKT0_PKT1_PKT2_S6_PT3_21rocsparse_index_base_b.private_seg_size, 0
	.set _ZL33csrmvn_symm_large_adaptive_kernelIllDF16_DF16_ffEvbT_PKS0_N9rocsparse24const_host_device_scalarIT4_EES2_PKT0_PKT1_PKT2_S6_PT3_21rocsparse_index_base_b.uses_vcc, 1
	.set _ZL33csrmvn_symm_large_adaptive_kernelIllDF16_DF16_ffEvbT_PKS0_N9rocsparse24const_host_device_scalarIT4_EES2_PKT0_PKT1_PKT2_S6_PT3_21rocsparse_index_base_b.uses_flat_scratch, 0
	.set _ZL33csrmvn_symm_large_adaptive_kernelIllDF16_DF16_ffEvbT_PKS0_N9rocsparse24const_host_device_scalarIT4_EES2_PKT0_PKT1_PKT2_S6_PT3_21rocsparse_index_base_b.has_dyn_sized_stack, 0
	.set _ZL33csrmvn_symm_large_adaptive_kernelIllDF16_DF16_ffEvbT_PKS0_N9rocsparse24const_host_device_scalarIT4_EES2_PKT0_PKT1_PKT2_S6_PT3_21rocsparse_index_base_b.has_recursion, 0
	.set _ZL33csrmvn_symm_large_adaptive_kernelIllDF16_DF16_ffEvbT_PKS0_N9rocsparse24const_host_device_scalarIT4_EES2_PKT0_PKT1_PKT2_S6_PT3_21rocsparse_index_base_b.has_indirect_call, 0
	.section	.AMDGPU.csdata,"",@progbits
; Kernel info:
; codeLenInByte = 1632
; TotalNumSgprs: 44
; NumVgprs: 17
; ScratchSize: 0
; MemoryBound: 0
; FloatMode: 240
; IeeeMode: 1
; LDSByteSize: 4096 bytes/workgroup (compile time only)
; SGPRBlocks: 5
; VGPRBlocks: 4
; NumSGPRsForWavesPerEU: 44
; NumVGPRsForWavesPerEU: 17
; Occupancy: 10
; WaveLimiterHint : 1
; COMPUTE_PGM_RSRC2:SCRATCH_EN: 0
; COMPUTE_PGM_RSRC2:USER_SGPR: 6
; COMPUTE_PGM_RSRC2:TRAP_HANDLER: 0
; COMPUTE_PGM_RSRC2:TGID_X_EN: 1
; COMPUTE_PGM_RSRC2:TGID_Y_EN: 0
; COMPUTE_PGM_RSRC2:TGID_Z_EN: 0
; COMPUTE_PGM_RSRC2:TIDIG_COMP_CNT: 0
	.section	.text._ZN9rocsparseL22csrmvn_adaptive_kernelIii18rocsparse_bfloat16S1_ffEEvbT_PKS2_PjPKT0_NS_24const_host_device_scalarIT4_EES4_S8_PKT1_PKT2_SB_PT3_21rocsparse_index_base_b,"axG",@progbits,_ZN9rocsparseL22csrmvn_adaptive_kernelIii18rocsparse_bfloat16S1_ffEEvbT_PKS2_PjPKT0_NS_24const_host_device_scalarIT4_EES4_S8_PKT1_PKT2_SB_PT3_21rocsparse_index_base_b,comdat
	.globl	_ZN9rocsparseL22csrmvn_adaptive_kernelIii18rocsparse_bfloat16S1_ffEEvbT_PKS2_PjPKT0_NS_24const_host_device_scalarIT4_EES4_S8_PKT1_PKT2_SB_PT3_21rocsparse_index_base_b ; -- Begin function _ZN9rocsparseL22csrmvn_adaptive_kernelIii18rocsparse_bfloat16S1_ffEEvbT_PKS2_PjPKT0_NS_24const_host_device_scalarIT4_EES4_S8_PKT1_PKT2_SB_PT3_21rocsparse_index_base_b
	.p2align	8
	.type	_ZN9rocsparseL22csrmvn_adaptive_kernelIii18rocsparse_bfloat16S1_ffEEvbT_PKS2_PjPKT0_NS_24const_host_device_scalarIT4_EES4_S8_PKT1_PKT2_SB_PT3_21rocsparse_index_base_b,@function
_ZN9rocsparseL22csrmvn_adaptive_kernelIii18rocsparse_bfloat16S1_ffEEvbT_PKS2_PjPKT0_NS_24const_host_device_scalarIT4_EES4_S8_PKT1_PKT2_SB_PT3_21rocsparse_index_base_b: ; @_ZN9rocsparseL22csrmvn_adaptive_kernelIii18rocsparse_bfloat16S1_ffEEvbT_PKS2_PjPKT0_NS_24const_host_device_scalarIT4_EES4_S8_PKT1_PKT2_SB_PT3_21rocsparse_index_base_b
; %bb.0:
	s_load_dwordx2 s[44:45], s[4:5], 0x58
	s_load_dwordx2 s[42:43], s[4:5], 0x20
	;; [unrolled: 1-line block ×3, first 2 shown]
	s_waitcnt lgkmcnt(0)
	s_bitcmp1_b32 s45, 0
	s_cselect_b64 s[2:3], -1, 0
	s_xor_b64 s[0:1], s[2:3], -1
	s_and_b64 vcc, exec, s[2:3]
	s_cbranch_vccnz .LBB73_2
; %bb.1:
	s_load_dword s42, s[42:43], 0x0
.LBB73_2:
	s_andn2_b64 vcc, exec, s[0:1]
	s_cbranch_vccnz .LBB73_4
; %bb.3:
	s_load_dword s34, s[34:35], 0x0
.LBB73_4:
	s_waitcnt lgkmcnt(0)
	v_cmp_neq_f32_e64 s[0:1], s42, 0
	v_cmp_neq_f32_e64 s[2:3], s34, 1.0
	s_or_b64 s[0:1], s[0:1], s[2:3]
	s_andn2_b64 vcc, exec, s[0:1]
	s_cbranch_vccnz .LBB73_115
; %bb.5:
	s_load_dwordx2 s[0:1], s[4:5], 0x8
	s_load_dwordx2 s[8:9], s[4:5], 0x18
	s_ashr_i32 s7, s6, 31
	s_lshl_b64 s[48:49], s[6:7], 2
	s_waitcnt lgkmcnt(0)
	s_add_u32 s0, s0, s48
	s_addc_u32 s1, s1, s49
	s_load_dwordx2 s[38:39], s[0:1], 0x0
	s_load_dwordx2 s[36:37], s[4:5], 0x50
	s_load_dwordx8 s[24:31], s[4:5], 0x28
	s_waitcnt lgkmcnt(0)
	s_sub_i32 s2, s39, s38
	s_add_u32 s8, s8, s48
	s_mov_b32 s0, s38
	s_addc_u32 s9, s9, s49
	s_ashr_i32 s1, s38, 31
	s_lshl_b64 s[46:47], s[0:1], 2
	s_add_u32 s40, s24, s46
	s_addc_u32 s41, s25, s47
	s_load_dword s33, s[8:9], 0x0
	s_load_dword s35, s[40:41], 0x0
	s_cmp_lt_i32 s2, 2
	s_mov_b64 s[0:1], -1
	s_cbranch_scc0 .LBB73_71
; %bb.6:
	s_cmp_lg_u32 s2, 1
	s_cselect_b64 s[0:1], -1, 0
	s_waitcnt lgkmcnt(0)
	s_cmp_lg_u32 s33, 0
	s_cselect_b64 s[2:3], -1, 0
	s_or_b64 s[0:1], s[0:1], s[2:3]
	s_mov_b64 s[18:19], -1
	s_and_b64 vcc, exec, s[0:1]
	v_cmp_gt_u32_e64 s[0:1], 64, v0
	v_cmp_gt_u32_e64 s[2:3], 32, v0
	;; [unrolled: 1-line block ×6, first 2 shown]
	v_cmp_eq_u32_e64 s[16:17], 0, v0
	s_cbranch_vccnz .LBB73_34
; %bb.7:
	v_cmp_neq_f32_e64 s[20:21], s34, 0
	s_movk_i32 s7, 0x80
	v_cndmask_b32_e64 v1, 0, 1, s[20:21]
	v_subrev_u32_e32 v7, s44, v0
	v_lshlrev_b32_e32 v8, 2, v0
	v_cmp_gt_u32_e64 s[18:19], s7, v0
	v_mov_b32_e32 v9, 0
	v_cmp_ne_u32_e64 s[20:21], 1, v1
	s_mov_b32 s50, s38
	s_branch .LBB73_10
.LBB73_8:                               ;   in Loop: Header=BB73_10 Depth=1
	s_add_u32 s52, s36, s52
	s_addc_u32 s53, s37, s53
	s_waitcnt lgkmcnt(0)
	global_store_dword v9, v1, s[52:53]
.LBB73_9:                               ;   in Loop: Header=BB73_10 Depth=1
	s_or_b64 exec, exec, s[22:23]
	s_add_i32 s50, s50, 1
	s_cmp_ge_i32 s50, s39
	s_cbranch_scc1 .LBB73_33
.LBB73_10:                              ; =>This Loop Header: Depth=1
                                        ;     Child Loop BB73_12 Depth 2
	s_ashr_i32 s51, s50, 31
	s_lshl_b64 s[52:53], s[50:51], 2
	s_add_u32 s22, s24, s52
	s_addc_u32 s23, s25, s53
	s_load_dwordx2 s[54:55], s[22:23], 0x0
	v_mov_b32_e32 v2, 0
	s_waitcnt lgkmcnt(0)
	s_sub_i32 s7, s55, s44
	v_add_u32_e32 v1, s54, v7
	v_cmp_gt_i32_e32 vcc, s7, v1
	s_and_saveexec_b64 s[54:55], vcc
	s_cbranch_execz .LBB73_14
; %bb.11:                               ;   in Loop: Header=BB73_10 Depth=1
	v_ashrrev_i32_e32 v2, 31, v1
	v_lshlrev_b64 v[3:4], 1, v[1:2]
	v_mov_b32_e32 v5, s29
	v_add_co_u32_e32 v3, vcc, s28, v3
	v_addc_co_u32_e32 v4, vcc, v5, v4, vcc
	v_lshlrev_b64 v[5:6], 2, v[1:2]
	v_mov_b32_e32 v2, s27
	v_add_co_u32_e32 v5, vcc, s26, v5
	v_addc_co_u32_e32 v6, vcc, v2, v6, vcc
	v_mov_b32_e32 v2, 0
	s_mov_b64 s[56:57], 0
.LBB73_12:                              ;   Parent Loop BB73_10 Depth=1
                                        ; =>  This Inner Loop Header: Depth=2
	global_load_dword v10, v[5:6], off
	global_load_ushort v12, v[3:4], off
	v_mov_b32_e32 v13, s31
	v_add_u32_e32 v1, 0x100, v1
	v_cmp_le_i32_e64 s[22:23], s7, v1
	s_or_b64 s[56:57], s[22:23], s[56:57]
	s_waitcnt vmcnt(1)
	v_subrev_u32_e32 v10, s44, v10
	v_ashrrev_i32_e32 v11, 31, v10
	v_lshlrev_b64 v[10:11], 1, v[10:11]
	v_add_co_u32_e32 v10, vcc, s30, v10
	v_addc_co_u32_e32 v11, vcc, v13, v11, vcc
	global_load_ushort v10, v[10:11], off
	v_add_co_u32_e32 v3, vcc, 0x200, v3
	v_addc_co_u32_e32 v4, vcc, 0, v4, vcc
	s_waitcnt vmcnt(1)
	v_lshlrev_b32_e32 v11, 16, v12
	v_add_co_u32_e32 v5, vcc, 0x400, v5
	v_mul_f32_e32 v11, s42, v11
	v_addc_co_u32_e32 v6, vcc, 0, v6, vcc
	s_waitcnt vmcnt(0)
	v_lshlrev_b32_e32 v10, 16, v10
	v_fmac_f32_e32 v2, v11, v10
	s_andn2_b64 exec, exec, s[56:57]
	s_cbranch_execnz .LBB73_12
; %bb.13:                               ;   in Loop: Header=BB73_10 Depth=1
	s_or_b64 exec, exec, s[56:57]
.LBB73_14:                              ;   in Loop: Header=BB73_10 Depth=1
	s_or_b64 exec, exec, s[54:55]
	ds_write_b32 v8, v2
	s_waitcnt vmcnt(0) lgkmcnt(0)
	s_barrier
	s_and_saveexec_b64 s[22:23], s[18:19]
	s_cbranch_execz .LBB73_16
; %bb.15:                               ;   in Loop: Header=BB73_10 Depth=1
	ds_read2st64_b32 v[1:2], v8 offset1:2
	s_waitcnt lgkmcnt(0)
	v_add_f32_e32 v1, v1, v2
	ds_write_b32 v8, v1
.LBB73_16:                              ;   in Loop: Header=BB73_10 Depth=1
	s_or_b64 exec, exec, s[22:23]
	s_waitcnt lgkmcnt(0)
	s_barrier
	s_and_saveexec_b64 s[22:23], s[0:1]
	s_cbranch_execz .LBB73_18
; %bb.17:                               ;   in Loop: Header=BB73_10 Depth=1
	ds_read2st64_b32 v[1:2], v8 offset1:1
	s_waitcnt lgkmcnt(0)
	v_add_f32_e32 v1, v1, v2
	ds_write_b32 v8, v1
.LBB73_18:                              ;   in Loop: Header=BB73_10 Depth=1
	s_or_b64 exec, exec, s[22:23]
	s_waitcnt lgkmcnt(0)
	s_barrier
	s_and_saveexec_b64 s[22:23], s[2:3]
	s_cbranch_execz .LBB73_20
; %bb.19:                               ;   in Loop: Header=BB73_10 Depth=1
	ds_read2_b32 v[1:2], v8 offset1:32
	s_waitcnt lgkmcnt(0)
	v_add_f32_e32 v1, v1, v2
	ds_write_b32 v8, v1
.LBB73_20:                              ;   in Loop: Header=BB73_10 Depth=1
	s_or_b64 exec, exec, s[22:23]
	s_waitcnt lgkmcnt(0)
	s_barrier
	s_and_saveexec_b64 s[22:23], s[8:9]
	s_cbranch_execz .LBB73_22
; %bb.21:                               ;   in Loop: Header=BB73_10 Depth=1
	ds_read2_b32 v[1:2], v8 offset1:16
	s_waitcnt lgkmcnt(0)
	v_add_f32_e32 v1, v1, v2
	ds_write_b32 v8, v1
.LBB73_22:                              ;   in Loop: Header=BB73_10 Depth=1
	;; [unrolled: 11-line block ×5, first 2 shown]
	s_or_b64 exec, exec, s[22:23]
	s_waitcnt lgkmcnt(0)
	s_barrier
	s_and_saveexec_b64 s[22:23], s[16:17]
	s_cbranch_execz .LBB73_30
; %bb.29:                               ;   in Loop: Header=BB73_10 Depth=1
	ds_read_b64 v[1:2], v9
	s_waitcnt lgkmcnt(0)
	v_add_f32_e32 v1, v1, v2
	ds_write_b32 v9, v1
.LBB73_30:                              ;   in Loop: Header=BB73_10 Depth=1
	s_or_b64 exec, exec, s[22:23]
	s_waitcnt lgkmcnt(0)
	s_barrier
	s_and_saveexec_b64 s[22:23], s[16:17]
	s_cbranch_execz .LBB73_9
; %bb.31:                               ;   in Loop: Header=BB73_10 Depth=1
	ds_read_b32 v1, v9
	s_and_b64 vcc, exec, s[20:21]
	s_cbranch_vccnz .LBB73_8
; %bb.32:                               ;   in Loop: Header=BB73_10 Depth=1
	s_add_u32 s54, s36, s52
	s_addc_u32 s55, s37, s53
	global_load_dword v2, v9, s[54:55]
	s_waitcnt vmcnt(0) lgkmcnt(0)
	v_fmac_f32_e32 v1, s34, v2
	s_branch .LBB73_8
.LBB73_33:
	s_mov_b64 s[18:19], 0
.LBB73_34:
	s_and_b64 vcc, exec, s[18:19]
	s_cbranch_vccz .LBB73_70
; %bb.35:
	s_load_dwordx2 s[8:9], s[4:5], 0x10
	s_sub_i32 s6, s6, s33
	v_mov_b32_e32 v8, 0
	v_or_b32_e32 v1, s33, v0
	v_cmp_eq_u32_e32 vcc, 0, v1
	s_waitcnt lgkmcnt(0)
	s_add_u32 s2, s8, s48
	s_addc_u32 s3, s9, s49
	global_load_dword v7, v8, s[2:3]
	s_and_saveexec_b64 s[0:1], vcc
	s_cbranch_execz .LBB73_39
; %bb.36:
	s_add_u32 s12, s36, s46
	s_addc_u32 s13, s37, s47
	v_mov_b32_e32 v3, 0
	global_load_dword v1, v3, s[12:13]
	s_mov_b64 s[10:11], exec
	v_mbcnt_lo_u32_b32 v4, s10, 0
	v_mbcnt_hi_u32_b32 v4, s11, v4
	v_add_f32_e64 v2, s34, -1.0
	v_cmp_eq_u32_e32 vcc, 0, v4
	s_waitcnt vmcnt(0) expcnt(0) lgkmcnt(0)
	s_and_saveexec_b64 s[12:13], vcc
	s_cbranch_execz .LBB73_38
; %bb.37:
	s_ashr_i32 s7, s6, 31
	s_lshl_b64 s[14:15], s[6:7], 2
	s_add_u32 s14, s8, s14
	s_addc_u32 s15, s9, s15
	s_bcnt1_i32_b64 s7, s[10:11]
	s_and_b32 s7, s7, 1
	v_mov_b32_e32 v4, s7
	global_atomic_xor v3, v4, s[14:15]
.LBB73_38:
	s_or_b64 exec, exec, s[12:13]
	v_mul_f32_e32 v8, v2, v1
.LBB73_39:
	s_or_b64 exec, exec, s[0:1]
	s_load_dword s1, s[40:41], 0x4
	s_mul_i32 s0, s33, 0xc00
	s_sub_i32 s7, s35, s44
	s_add_i32 s0, s7, s0
	v_add_u32_e32 v1, s0, v0
	s_waitcnt lgkmcnt(0)
	s_sub_i32 s1, s1, s44
	v_cmp_gt_i32_e32 vcc, s1, v1
	s_and_saveexec_b64 s[10:11], vcc
	s_cbranch_execz .LBB73_43
; %bb.40:
	v_ashrrev_i32_e32 v2, 31, v1
	v_lshlrev_b64 v[3:4], 1, v[1:2]
	v_mov_b32_e32 v5, s29
	v_add_co_u32_e32 v3, vcc, s28, v3
	v_addc_co_u32_e32 v4, vcc, v5, v4, vcc
	v_lshlrev_b64 v[5:6], 2, v[1:2]
	s_addk_i32 s0, 0xc00
	v_mov_b32_e32 v2, s27
	v_add_co_u32_e32 v5, vcc, s26, v5
	s_min_i32 s7, s0, s1
	v_addc_co_u32_e32 v6, vcc, v2, v6, vcc
	s_mov_b64 s[12:13], 0
	v_mov_b32_e32 v2, s31
.LBB73_41:                              ; =>This Inner Loop Header: Depth=1
	global_load_dword v9, v[5:6], off
	global_load_ushort v11, v[3:4], off
	v_add_u32_e32 v1, 0x100, v1
	v_cmp_le_i32_e64 s[0:1], s7, v1
	s_or_b64 s[12:13], s[0:1], s[12:13]
	s_waitcnt vmcnt(1)
	v_subrev_u32_e32 v9, s44, v9
	v_ashrrev_i32_e32 v10, 31, v9
	v_lshlrev_b64 v[9:10], 1, v[9:10]
	v_add_co_u32_e32 v9, vcc, s30, v9
	v_addc_co_u32_e32 v10, vcc, v2, v10, vcc
	global_load_ushort v9, v[9:10], off
	v_add_co_u32_e32 v3, vcc, 0x200, v3
	v_addc_co_u32_e32 v4, vcc, 0, v4, vcc
	s_waitcnt vmcnt(1)
	v_lshlrev_b32_e32 v10, 16, v11
	v_add_co_u32_e32 v5, vcc, 0x400, v5
	v_mul_f32_e32 v10, s42, v10
	v_addc_co_u32_e32 v6, vcc, 0, v6, vcc
	s_waitcnt vmcnt(0)
	v_lshlrev_b32_e32 v9, 16, v9
	v_fmac_f32_e32 v8, v10, v9
	s_andn2_b64 exec, exec, s[12:13]
	s_cbranch_execnz .LBB73_41
; %bb.42:
	s_or_b64 exec, exec, s[12:13]
.LBB73_43:
	s_or_b64 exec, exec, s[10:11]
	s_movk_i32 s0, 0x80
	v_lshlrev_b32_e32 v1, 2, v0
	v_cmp_gt_u32_e32 vcc, s0, v0
	ds_write_b32 v1, v8
	s_waitcnt vmcnt(0) lgkmcnt(0)
	s_barrier
	s_and_saveexec_b64 s[0:1], vcc
	s_cbranch_execz .LBB73_45
; %bb.44:
	ds_read2st64_b32 v[2:3], v1 offset1:2
	s_waitcnt lgkmcnt(0)
	v_add_f32_e32 v2, v2, v3
	ds_write_b32 v1, v2
.LBB73_45:
	s_or_b64 exec, exec, s[0:1]
	v_cmp_gt_u32_e32 vcc, 64, v0
	s_waitcnt lgkmcnt(0)
	s_barrier
	s_and_saveexec_b64 s[0:1], vcc
	s_cbranch_execz .LBB73_47
; %bb.46:
	ds_read2st64_b32 v[2:3], v1 offset1:1
	s_waitcnt lgkmcnt(0)
	v_add_f32_e32 v2, v2, v3
	ds_write_b32 v1, v2
.LBB73_47:
	s_or_b64 exec, exec, s[0:1]
	v_cmp_gt_u32_e32 vcc, 32, v0
	s_waitcnt lgkmcnt(0)
	s_barrier
	s_and_saveexec_b64 s[0:1], vcc
	s_cbranch_execz .LBB73_49
; %bb.48:
	ds_read2_b32 v[2:3], v1 offset1:32
	s_waitcnt lgkmcnt(0)
	v_add_f32_e32 v2, v2, v3
	ds_write_b32 v1, v2
.LBB73_49:
	s_or_b64 exec, exec, s[0:1]
	v_cmp_gt_u32_e32 vcc, 16, v0
	s_waitcnt lgkmcnt(0)
	s_barrier
	s_and_saveexec_b64 s[0:1], vcc
	s_cbranch_execz .LBB73_51
; %bb.50:
	ds_read2_b32 v[2:3], v1 offset1:16
	s_waitcnt lgkmcnt(0)
	v_add_f32_e32 v2, v2, v3
	ds_write_b32 v1, v2
.LBB73_51:
	;; [unrolled: 12-line block ×5, first 2 shown]
	s_or_b64 exec, exec, s[0:1]
	v_cmp_eq_u32_e32 vcc, 0, v0
	s_waitcnt lgkmcnt(0)
	s_barrier
	s_and_saveexec_b64 s[0:1], vcc
	s_cbranch_execz .LBB73_59
; %bb.58:
	v_mov_b32_e32 v3, 0
	ds_read_b64 v[1:2], v3
	s_waitcnt lgkmcnt(0)
	v_add_f32_e32 v1, v1, v2
	ds_write_b32 v3, v1
.LBB73_59:
	s_or_b64 exec, exec, s[0:1]
	s_waitcnt lgkmcnt(0)
	s_barrier
	s_and_saveexec_b64 s[0:1], vcc
	s_cbranch_execz .LBB73_69
; %bb.60:
	s_cmp_eq_u32 s33, 0
	s_cbranch_scc1 .LBB73_66
; %bb.61:
	s_ashr_i32 s7, s6, 31
	s_lshl_b64 s[6:7], s[6:7], 2
	s_add_u32 s6, s8, s6
	s_addc_u32 s7, s9, s7
	v_mov_b32_e32 v1, 0
	s_branch .LBB73_63
.LBB73_62:                              ;   in Loop: Header=BB73_63 Depth=1
	s_or_b64 exec, exec, s[8:9]
	s_waitcnt vmcnt(0)
	v_readfirstlane_b32 s8, v2
	v_cmp_eq_u32_e32 vcc, s8, v7
	s_cbranch_vccz .LBB73_65
.LBB73_63:                              ; =>This Inner Loop Header: Depth=1
	v_mbcnt_lo_u32_b32 v2, exec_lo, 0
	v_mbcnt_hi_u32_b32 v2, exec_hi, v2
	v_cmp_eq_u32_e32 vcc, 0, v2
                                        ; implicit-def: $vgpr2
	s_and_saveexec_b64 s[8:9], vcc
	s_cbranch_execz .LBB73_62
; %bb.64:                               ;   in Loop: Header=BB73_63 Depth=1
	global_load_dword v2, v1, s[6:7] glc
	s_branch .LBB73_62
.LBB73_65:
	v_mov_b32_e32 v1, 0
	global_load_ushort v2, v1, s[2:3]
	s_waitcnt vmcnt(0)
	v_xor_b32_e32 v2, 1, v2
	global_store_short v1, v2, s[2:3]
.LBB73_66:
	s_mov_b64 s[6:7], exec
	v_mbcnt_lo_u32_b32 v1, s6, 0
	v_mbcnt_hi_u32_b32 v1, s7, v1
	v_cmp_eq_u32_e32 vcc, 0, v1
	s_and_b64 s[2:3], exec, vcc
	s_mov_b64 exec, s[2:3]
	s_cbranch_execz .LBB73_69
; %bb.67:
	s_add_u32 s2, s36, s46
	s_addc_u32 s3, s37, s47
	v_mov_b32_e32 v3, 0
	global_load_dword v2, v3, s[2:3]
	ds_read_b32 v1, v3
	s_bcnt1_i32_b64 s6, s[6:7]
	v_cvt_f32_ubyte0_e32 v4, s6
	s_mov_b64 s[6:7], 0
	s_waitcnt lgkmcnt(0)
	v_mul_f32_e32 v4, v1, v4
.LBB73_68:                              ; =>This Inner Loop Header: Depth=1
	s_waitcnt vmcnt(0)
	v_add_f32_e32 v1, v2, v4
	global_atomic_cmpswap v1, v3, v[1:2], s[2:3] glc
	s_waitcnt vmcnt(0)
	v_cmp_eq_u32_e32 vcc, v1, v2
	s_or_b64 s[6:7], vcc, s[6:7]
	v_mov_b32_e32 v2, v1
	s_andn2_b64 exec, exec, s[6:7]
	s_cbranch_execnz .LBB73_68
.LBB73_69:
	s_or_b64 exec, exec, s[0:1]
.LBB73_70:
	s_mov_b64 s[0:1], 0
.LBB73_71:
	s_andn2_b64 vcc, exec, s[0:1]
	s_cbranch_vccnz .LBB73_115
; %bb.72:
	s_load_dword s0, s[4:5], 0x4
	v_subrev_u32_e32 v1, s44, v0
	s_waitcnt lgkmcnt(0)
	v_add_u32_e32 v1, s35, v1
	v_add_u32_e32 v2, 0x300, v1
	v_cmp_le_i32_e32 vcc, s0, v2
	s_and_saveexec_b64 s[0:1], vcc
	s_xor_b64 s[0:1], exec, s[0:1]
	s_cbranch_execz .LBB73_77
; %bb.73:
	s_ashr_i32 s3, s39, 31
	s_mov_b32 s2, s39
	s_lshl_b64 s[2:3], s[2:3], 2
	s_add_u32 s2, s24, s2
	s_addc_u32 s3, s25, s3
	s_load_dword s2, s[2:3], 0x0
	s_waitcnt lgkmcnt(0)
	s_sub_i32 s6, s2, s44
	v_cmp_gt_i32_e32 vcc, s6, v1
	s_and_saveexec_b64 s[2:3], vcc
	s_cbranch_execz .LBB73_76
; %bb.74:
	v_lshlrev_b32_e32 v3, 2, v0
	s_mov_b64 s[4:5], 0
	v_mov_b32_e32 v4, s29
	v_mov_b32_e32 v5, s27
	;; [unrolled: 1-line block ×3, first 2 shown]
.LBB73_75:                              ; =>This Inner Loop Header: Depth=1
	v_ashrrev_i32_e32 v2, 31, v1
	v_lshlrev_b64 v[7:8], 2, v[1:2]
	v_add_co_u32_e32 v7, vcc, s26, v7
	v_addc_co_u32_e32 v8, vcc, v5, v8, vcc
	global_load_dword v9, v[7:8], off
	v_lshlrev_b64 v[7:8], 1, v[1:2]
	v_add_u32_e32 v1, 0x100, v1
	v_add_co_u32_e32 v7, vcc, s28, v7
	v_addc_co_u32_e32 v8, vcc, v4, v8, vcc
	global_load_ushort v2, v[7:8], off
	s_waitcnt vmcnt(1)
	v_subrev_u32_e32 v7, s44, v9
	v_ashrrev_i32_e32 v8, 31, v7
	v_lshlrev_b64 v[7:8], 1, v[7:8]
	v_add_co_u32_e32 v7, vcc, s30, v7
	v_addc_co_u32_e32 v8, vcc, v6, v8, vcc
	global_load_ushort v7, v[7:8], off
	s_waitcnt vmcnt(1)
	v_lshlrev_b32_e32 v2, 16, v2
	v_mul_f32_e32 v2, s42, v2
	v_cmp_le_i32_e32 vcc, s6, v1
	s_or_b64 s[4:5], vcc, s[4:5]
	s_waitcnt vmcnt(0)
	v_lshlrev_b32_e32 v7, 16, v7
	v_mul_f32_e32 v2, v2, v7
	ds_write_b32 v3, v2
	v_add_u32_e32 v3, 0x400, v3
	s_andn2_b64 exec, exec, s[4:5]
	s_cbranch_execnz .LBB73_75
.LBB73_76:
	s_or_b64 exec, exec, s[2:3]
                                        ; implicit-def: $vgpr1
.LBB73_77:
	s_or_saveexec_b64 s[0:1], s[0:1]
	v_lshlrev_b32_e32 v6, 2, v0
	s_xor_b64 exec, exec, s[0:1]
	s_cbranch_execz .LBB73_79
; %bb.78:
	v_ashrrev_i32_e32 v2, 31, v1
	v_lshlrev_b64 v[3:4], 2, v[1:2]
	v_mov_b32_e32 v5, s27
	v_add_co_u32_e32 v3, vcc, s26, v3
	v_addc_co_u32_e32 v4, vcc, v5, v4, vcc
	global_load_dword v5, v[3:4], off
	global_load_dword v7, v[3:4], off offset:1024
	global_load_dword v8, v[3:4], off offset:2048
	;; [unrolled: 1-line block ×3, first 2 shown]
	v_lshlrev_b64 v[1:2], 1, v[1:2]
	v_mov_b32_e32 v3, s29
	v_add_co_u32_e32 v1, vcc, s28, v1
	v_addc_co_u32_e32 v2, vcc, v3, v2, vcc
	global_load_ushort v15, v[1:2], off
	global_load_ushort v16, v[1:2], off offset:512
	global_load_ushort v17, v[1:2], off offset:1024
	;; [unrolled: 1-line block ×3, first 2 shown]
	v_mov_b32_e32 v11, s31
	v_mov_b32_e32 v12, s31
	;; [unrolled: 1-line block ×4, first 2 shown]
	s_waitcnt vmcnt(7)
	v_subrev_u32_e32 v1, s44, v5
	v_ashrrev_i32_e32 v2, 31, v1
	s_waitcnt vmcnt(6)
	v_subrev_u32_e32 v3, s44, v7
	v_lshlrev_b64 v[1:2], 1, v[1:2]
	v_ashrrev_i32_e32 v4, 31, v3
	s_waitcnt vmcnt(5)
	v_subrev_u32_e32 v7, s44, v8
	v_lshlrev_b64 v[3:4], 1, v[3:4]
	v_add_co_u32_e32 v1, vcc, s30, v1
	v_ashrrev_i32_e32 v8, 31, v7
	v_addc_co_u32_e32 v2, vcc, v11, v2, vcc
	s_waitcnt vmcnt(4)
	v_subrev_u32_e32 v9, s44, v9
	v_lshlrev_b64 v[7:8], 1, v[7:8]
	v_add_co_u32_e32 v3, vcc, s30, v3
	v_ashrrev_i32_e32 v10, 31, v9
	v_addc_co_u32_e32 v4, vcc, v12, v4, vcc
	v_lshlrev_b64 v[9:10], 1, v[9:10]
	v_add_co_u32_e32 v7, vcc, s30, v7
	v_addc_co_u32_e32 v8, vcc, v13, v8, vcc
	v_add_co_u32_e32 v9, vcc, s30, v9
	v_addc_co_u32_e32 v10, vcc, v14, v10, vcc
	global_load_ushort v5, v[1:2], off
	global_load_ushort v11, v[3:4], off
	;; [unrolled: 1-line block ×4, first 2 shown]
	s_waitcnt vmcnt(7)
	v_lshlrev_b32_e32 v1, 16, v15
	s_waitcnt vmcnt(6)
	v_lshlrev_b32_e32 v2, 16, v16
	;; [unrolled: 2-line block ×4, first 2 shown]
	v_mul_f32_e32 v1, s42, v1
	v_mul_f32_e32 v2, s42, v2
	;; [unrolled: 1-line block ×4, first 2 shown]
	s_waitcnt vmcnt(3)
	v_lshlrev_b32_e32 v5, 16, v5
	s_waitcnt vmcnt(2)
	v_lshlrev_b32_e32 v7, 16, v11
	;; [unrolled: 2-line block ×4, first 2 shown]
	v_mul_f32_e32 v1, v1, v5
	v_mul_f32_e32 v2, v2, v7
	;; [unrolled: 1-line block ×4, first 2 shown]
	ds_write2st64_b32 v6, v1, v2 offset1:4
	ds_write2st64_b32 v6, v3, v4 offset0:8 offset1:12
.LBB73_79:
	s_or_b64 exec, exec, s[0:1]
	s_cmp_lt_i32 s33, 2
	s_mov_b64 s[0:1], -1
	s_waitcnt vmcnt(0) lgkmcnt(0)
	s_barrier
	s_cbranch_scc0 .LBB73_90
; %bb.80:
	v_add_u32_e32 v1, s38, v0
	v_cmp_gt_i32_e32 vcc, s39, v1
	s_and_saveexec_b64 s[0:1], vcc
	s_cbranch_execz .LBB73_89
; %bb.81:
	s_lshl_b32 s4, s35, 2
	v_cmp_neq_f32_e64 s[2:3], s34, 0
	s_sub_i32 s10, 0, s4
	s_mov_b64 s[4:5], 0
	v_mov_b32_e32 v7, s25
	v_mov_b32_e32 v8, s37
	s_branch .LBB73_83
.LBB73_82:                              ;   in Loop: Header=BB73_83 Depth=1
	v_add_co_u32_e32 v2, vcc, s36, v2
	v_addc_co_u32_e32 v3, vcc, v8, v3, vcc
	v_add_u32_e32 v1, 0x100, v1
	v_cmp_le_i32_e32 vcc, s39, v1
	s_or_b64 s[4:5], vcc, s[4:5]
	global_store_dword v[2:3], v9, off
	s_andn2_b64 exec, exec, s[4:5]
	s_cbranch_execz .LBB73_89
.LBB73_83:                              ; =>This Loop Header: Depth=1
                                        ;     Child Loop BB73_85 Depth 2
	v_ashrrev_i32_e32 v2, 31, v1
	v_lshlrev_b64 v[2:3], 2, v[1:2]
	v_mov_b32_e32 v9, 0
	v_add_co_u32_e32 v4, vcc, s24, v2
	v_addc_co_u32_e32 v5, vcc, v7, v3, vcc
	global_load_dwordx2 v[4:5], v[4:5], off
	s_waitcnt vmcnt(0)
	v_cmp_lt_i32_e32 vcc, v4, v5
	s_and_saveexec_b64 s[6:7], vcc
	s_cbranch_execz .LBB73_87
; %bb.84:                               ;   in Loop: Header=BB73_83 Depth=1
	v_subrev_u32_e32 v5, s35, v5
	v_subrev_u32_e32 v10, s35, v4
	v_lshl_add_u32 v4, v4, 2, s10
	v_mov_b32_e32 v9, 0
	s_mov_b64 s[8:9], 0
.LBB73_85:                              ;   Parent Loop BB73_83 Depth=1
                                        ; =>  This Inner Loop Header: Depth=2
	ds_read_b32 v11, v4
	v_add_u32_e32 v10, 1, v10
	v_cmp_ge_i32_e32 vcc, v10, v5
	v_add_u32_e32 v4, 4, v4
	s_or_b64 s[8:9], vcc, s[8:9]
	s_waitcnt lgkmcnt(0)
	v_add_f32_e32 v9, v9, v11
	s_andn2_b64 exec, exec, s[8:9]
	s_cbranch_execnz .LBB73_85
; %bb.86:                               ;   in Loop: Header=BB73_83 Depth=1
	s_or_b64 exec, exec, s[8:9]
.LBB73_87:                              ;   in Loop: Header=BB73_83 Depth=1
	s_or_b64 exec, exec, s[6:7]
	s_and_b64 vcc, exec, s[2:3]
	s_cbranch_vccz .LBB73_82
; %bb.88:                               ;   in Loop: Header=BB73_83 Depth=1
	v_mov_b32_e32 v5, s37
	v_add_co_u32_e32 v4, vcc, s36, v2
	v_addc_co_u32_e32 v5, vcc, v5, v3, vcc
	global_load_dword v4, v[4:5], off
	s_waitcnt vmcnt(0)
	v_fmac_f32_e32 v9, s34, v4
	s_branch .LBB73_82
.LBB73_89:
	s_or_b64 exec, exec, s[0:1]
	s_mov_b64 s[0:1], 0
.LBB73_90:
	s_andn2_b64 vcc, exec, s[0:1]
	s_cbranch_vccnz .LBB73_115
; %bb.91:
	s_flbit_i32_b32 s0, s33
	s_xor_b32 s0, s0, 31
	v_lshrrev_b32_e32 v3, s0, v0
	v_add_u32_e32 v1, s38, v3
	s_add_i32 s0, s33, -1
	v_and_b32_e32 v0, s0, v0
	v_cmp_le_i32_e32 vcc, s39, v1
	v_cmp_gt_i32_e64 s[0:1], s39, v1
	v_mov_b32_e32 v2, 0
	s_and_saveexec_b64 s[2:3], s[0:1]
	s_cbranch_execz .LBB73_97
; %bb.92:
	v_lshlrev_b32_e32 v2, 2, v3
	global_load_dwordx2 v[2:3], v2, s[40:41]
	v_subrev_u32_e32 v4, s35, v0
	s_waitcnt vmcnt(0)
	v_subrev_u32_e32 v3, s35, v3
	v_add_u32_e32 v4, v2, v4
	v_cmp_lt_i32_e64 s[0:1], v4, v3
	v_mov_b32_e32 v2, 0
	s_and_saveexec_b64 s[4:5], s[0:1]
	s_cbranch_execz .LBB73_96
; %bb.93:
	v_lshlrev_b32_e32 v5, 2, v4
	s_lshl_b32 s8, s33, 2
	v_mov_b32_e32 v2, 0
	s_mov_b64 s[6:7], 0
.LBB73_94:                              ; =>This Inner Loop Header: Depth=1
	ds_read_b32 v7, v5
	v_add_u32_e32 v4, s33, v4
	v_cmp_ge_i32_e64 s[0:1], v4, v3
	v_add_u32_e32 v5, s8, v5
	s_or_b64 s[6:7], s[0:1], s[6:7]
	s_waitcnt lgkmcnt(0)
	v_add_f32_e32 v2, v2, v7
	s_andn2_b64 exec, exec, s[6:7]
	s_cbranch_execnz .LBB73_94
; %bb.95:
	s_or_b64 exec, exec, s[6:7]
.LBB73_96:
	s_or_b64 exec, exec, s[4:5]
.LBB73_97:
	s_or_b64 exec, exec, s[2:3]
	s_cmpk_lt_u32 s33, 0x81
	s_waitcnt vmcnt(0)
	s_barrier
	ds_write_b32 v6, v2
	s_waitcnt lgkmcnt(0)
	s_barrier
	s_cbranch_scc1 .LBB73_99
; %bb.98:
	ds_read_b32 v3, v6 offset:512
	s_waitcnt lgkmcnt(0)
	s_barrier
	v_add_f32_e32 v2, v2, v3
	ds_write_b32 v6, v2
.LBB73_99:
	s_cmpk_lt_u32 s33, 0x41
	s_waitcnt lgkmcnt(0)
	s_barrier
	s_cbranch_scc1 .LBB73_101
; %bb.100:
	ds_read_b32 v3, v6 offset:256
	s_waitcnt lgkmcnt(0)
	s_barrier
	v_add_f32_e32 v2, v2, v3
	ds_write_b32 v6, v2
.LBB73_101:
	s_cmp_lt_u32 s33, 33
	s_waitcnt lgkmcnt(0)
	s_barrier
	s_cbranch_scc1 .LBB73_103
; %bb.102:
	ds_read_b32 v3, v6 offset:128
	s_waitcnt lgkmcnt(0)
	s_barrier
	v_add_f32_e32 v2, v2, v3
	ds_write_b32 v6, v2
.LBB73_103:
	s_cmp_lt_u32 s33, 17
	s_waitcnt lgkmcnt(0)
	s_barrier
	s_cbranch_scc1 .LBB73_105
; %bb.104:
	ds_read_b32 v3, v6 offset:64
	s_waitcnt lgkmcnt(0)
	s_barrier
	v_add_f32_e32 v2, v2, v3
	ds_write_b32 v6, v2
.LBB73_105:
	s_cmp_lt_u32 s33, 9
	s_waitcnt lgkmcnt(0)
	s_barrier
	s_cbranch_scc1 .LBB73_107
; %bb.106:
	ds_read_b32 v3, v6 offset:32
	s_waitcnt lgkmcnt(0)
	s_barrier
	v_add_f32_e32 v2, v2, v3
	ds_write_b32 v6, v2
.LBB73_107:
	s_cmp_lt_u32 s33, 5
	s_waitcnt lgkmcnt(0)
	s_barrier
	s_cbranch_scc1 .LBB73_109
; %bb.108:
	ds_read_b32 v3, v6 offset:16
	s_waitcnt lgkmcnt(0)
	s_barrier
	v_add_f32_e32 v2, v2, v3
	ds_write_b32 v6, v2
.LBB73_109:
	s_cmp_eq_u32 s33, 2
	s_waitcnt lgkmcnt(0)
	s_barrier
	s_cbranch_scc1 .LBB73_111
; %bb.110:
	ds_read_b32 v3, v6 offset:8
	s_waitcnt lgkmcnt(0)
	s_barrier
	v_add_f32_e32 v2, v2, v3
	ds_write_b32 v6, v2
.LBB73_111:
	s_waitcnt lgkmcnt(0)
	s_barrier
	ds_read_b32 v3, v6 offset:4
	v_cmp_eq_u32_e64 s[0:1], 0, v0
	s_xor_b64 s[2:3], vcc, -1
	s_and_b64 s[0:1], s[0:1], s[2:3]
	s_waitcnt lgkmcnt(0)
	v_add_f32_e32 v3, v2, v3
	s_barrier
	ds_write_b32 v6, v3
	s_and_saveexec_b64 s[2:3], s[0:1]
	s_cbranch_execz .LBB73_115
; %bb.112:
	v_ashrrev_i32_e32 v2, 31, v1
	v_cmp_eq_f32_e64 s[0:1], s34, 0
	v_lshlrev_b64 v[0:1], 2, v[1:2]
	s_and_b64 vcc, exec, s[0:1]
	s_cbranch_vccnz .LBB73_114
; %bb.113:
	v_mov_b32_e32 v2, s37
	v_add_co_u32_e32 v4, vcc, s36, v0
	v_addc_co_u32_e32 v5, vcc, v2, v1, vcc
	global_load_dword v2, v[4:5], off
	s_waitcnt vmcnt(0)
	v_fmac_f32_e32 v3, s34, v2
.LBB73_114:
	v_mov_b32_e32 v2, s37
	v_add_co_u32_e32 v0, vcc, s36, v0
	v_addc_co_u32_e32 v1, vcc, v2, v1, vcc
	global_store_dword v[0:1], v3, off
.LBB73_115:
	s_endpgm
	.section	.rodata,"a",@progbits
	.p2align	6, 0x0
	.amdhsa_kernel _ZN9rocsparseL22csrmvn_adaptive_kernelIii18rocsparse_bfloat16S1_ffEEvbT_PKS2_PjPKT0_NS_24const_host_device_scalarIT4_EES4_S8_PKT1_PKT2_SB_PT3_21rocsparse_index_base_b
		.amdhsa_group_segment_fixed_size 4096
		.amdhsa_private_segment_fixed_size 0
		.amdhsa_kernarg_size 96
		.amdhsa_user_sgpr_count 6
		.amdhsa_user_sgpr_private_segment_buffer 1
		.amdhsa_user_sgpr_dispatch_ptr 0
		.amdhsa_user_sgpr_queue_ptr 0
		.amdhsa_user_sgpr_kernarg_segment_ptr 1
		.amdhsa_user_sgpr_dispatch_id 0
		.amdhsa_user_sgpr_flat_scratch_init 0
		.amdhsa_user_sgpr_private_segment_size 0
		.amdhsa_uses_dynamic_stack 0
		.amdhsa_system_sgpr_private_segment_wavefront_offset 0
		.amdhsa_system_sgpr_workgroup_id_x 1
		.amdhsa_system_sgpr_workgroup_id_y 0
		.amdhsa_system_sgpr_workgroup_id_z 0
		.amdhsa_system_sgpr_workgroup_info 0
		.amdhsa_system_vgpr_workitem_id 0
		.amdhsa_next_free_vgpr 19
		.amdhsa_next_free_sgpr 58
		.amdhsa_reserve_vcc 1
		.amdhsa_reserve_flat_scratch 0
		.amdhsa_float_round_mode_32 0
		.amdhsa_float_round_mode_16_64 0
		.amdhsa_float_denorm_mode_32 3
		.amdhsa_float_denorm_mode_16_64 3
		.amdhsa_dx10_clamp 1
		.amdhsa_ieee_mode 1
		.amdhsa_fp16_overflow 0
		.amdhsa_exception_fp_ieee_invalid_op 0
		.amdhsa_exception_fp_denorm_src 0
		.amdhsa_exception_fp_ieee_div_zero 0
		.amdhsa_exception_fp_ieee_overflow 0
		.amdhsa_exception_fp_ieee_underflow 0
		.amdhsa_exception_fp_ieee_inexact 0
		.amdhsa_exception_int_div_zero 0
	.end_amdhsa_kernel
	.section	.text._ZN9rocsparseL22csrmvn_adaptive_kernelIii18rocsparse_bfloat16S1_ffEEvbT_PKS2_PjPKT0_NS_24const_host_device_scalarIT4_EES4_S8_PKT1_PKT2_SB_PT3_21rocsparse_index_base_b,"axG",@progbits,_ZN9rocsparseL22csrmvn_adaptive_kernelIii18rocsparse_bfloat16S1_ffEEvbT_PKS2_PjPKT0_NS_24const_host_device_scalarIT4_EES4_S8_PKT1_PKT2_SB_PT3_21rocsparse_index_base_b,comdat
.Lfunc_end73:
	.size	_ZN9rocsparseL22csrmvn_adaptive_kernelIii18rocsparse_bfloat16S1_ffEEvbT_PKS2_PjPKT0_NS_24const_host_device_scalarIT4_EES4_S8_PKT1_PKT2_SB_PT3_21rocsparse_index_base_b, .Lfunc_end73-_ZN9rocsparseL22csrmvn_adaptive_kernelIii18rocsparse_bfloat16S1_ffEEvbT_PKS2_PjPKT0_NS_24const_host_device_scalarIT4_EES4_S8_PKT1_PKT2_SB_PT3_21rocsparse_index_base_b
                                        ; -- End function
	.set _ZN9rocsparseL22csrmvn_adaptive_kernelIii18rocsparse_bfloat16S1_ffEEvbT_PKS2_PjPKT0_NS_24const_host_device_scalarIT4_EES4_S8_PKT1_PKT2_SB_PT3_21rocsparse_index_base_b.num_vgpr, 19
	.set _ZN9rocsparseL22csrmvn_adaptive_kernelIii18rocsparse_bfloat16S1_ffEEvbT_PKS2_PjPKT0_NS_24const_host_device_scalarIT4_EES4_S8_PKT1_PKT2_SB_PT3_21rocsparse_index_base_b.num_agpr, 0
	.set _ZN9rocsparseL22csrmvn_adaptive_kernelIii18rocsparse_bfloat16S1_ffEEvbT_PKS2_PjPKT0_NS_24const_host_device_scalarIT4_EES4_S8_PKT1_PKT2_SB_PT3_21rocsparse_index_base_b.numbered_sgpr, 58
	.set _ZN9rocsparseL22csrmvn_adaptive_kernelIii18rocsparse_bfloat16S1_ffEEvbT_PKS2_PjPKT0_NS_24const_host_device_scalarIT4_EES4_S8_PKT1_PKT2_SB_PT3_21rocsparse_index_base_b.num_named_barrier, 0
	.set _ZN9rocsparseL22csrmvn_adaptive_kernelIii18rocsparse_bfloat16S1_ffEEvbT_PKS2_PjPKT0_NS_24const_host_device_scalarIT4_EES4_S8_PKT1_PKT2_SB_PT3_21rocsparse_index_base_b.private_seg_size, 0
	.set _ZN9rocsparseL22csrmvn_adaptive_kernelIii18rocsparse_bfloat16S1_ffEEvbT_PKS2_PjPKT0_NS_24const_host_device_scalarIT4_EES4_S8_PKT1_PKT2_SB_PT3_21rocsparse_index_base_b.uses_vcc, 1
	.set _ZN9rocsparseL22csrmvn_adaptive_kernelIii18rocsparse_bfloat16S1_ffEEvbT_PKS2_PjPKT0_NS_24const_host_device_scalarIT4_EES4_S8_PKT1_PKT2_SB_PT3_21rocsparse_index_base_b.uses_flat_scratch, 0
	.set _ZN9rocsparseL22csrmvn_adaptive_kernelIii18rocsparse_bfloat16S1_ffEEvbT_PKS2_PjPKT0_NS_24const_host_device_scalarIT4_EES4_S8_PKT1_PKT2_SB_PT3_21rocsparse_index_base_b.has_dyn_sized_stack, 0
	.set _ZN9rocsparseL22csrmvn_adaptive_kernelIii18rocsparse_bfloat16S1_ffEEvbT_PKS2_PjPKT0_NS_24const_host_device_scalarIT4_EES4_S8_PKT1_PKT2_SB_PT3_21rocsparse_index_base_b.has_recursion, 0
	.set _ZN9rocsparseL22csrmvn_adaptive_kernelIii18rocsparse_bfloat16S1_ffEEvbT_PKS2_PjPKT0_NS_24const_host_device_scalarIT4_EES4_S8_PKT1_PKT2_SB_PT3_21rocsparse_index_base_b.has_indirect_call, 0
	.section	.AMDGPU.csdata,"",@progbits
; Kernel info:
; codeLenInByte = 3760
; TotalNumSgprs: 62
; NumVgprs: 19
; ScratchSize: 0
; MemoryBound: 0
; FloatMode: 240
; IeeeMode: 1
; LDSByteSize: 4096 bytes/workgroup (compile time only)
; SGPRBlocks: 7
; VGPRBlocks: 4
; NumSGPRsForWavesPerEU: 62
; NumVGPRsForWavesPerEU: 19
; Occupancy: 10
; WaveLimiterHint : 1
; COMPUTE_PGM_RSRC2:SCRATCH_EN: 0
; COMPUTE_PGM_RSRC2:USER_SGPR: 6
; COMPUTE_PGM_RSRC2:TRAP_HANDLER: 0
; COMPUTE_PGM_RSRC2:TGID_X_EN: 1
; COMPUTE_PGM_RSRC2:TGID_Y_EN: 0
; COMPUTE_PGM_RSRC2:TGID_Z_EN: 0
; COMPUTE_PGM_RSRC2:TIDIG_COMP_CNT: 0
	.section	.text._ZN9rocsparseL27csrmvn_symm_adaptive_kernelIii18rocsparse_bfloat16S1_ffEEvbT_S2_PKS2_NS_24const_host_device_scalarIT4_EES4_PKT0_PKT1_PKT2_S7_PT3_21rocsparse_index_base_b,"axG",@progbits,_ZN9rocsparseL27csrmvn_symm_adaptive_kernelIii18rocsparse_bfloat16S1_ffEEvbT_S2_PKS2_NS_24const_host_device_scalarIT4_EES4_PKT0_PKT1_PKT2_S7_PT3_21rocsparse_index_base_b,comdat
	.globl	_ZN9rocsparseL27csrmvn_symm_adaptive_kernelIii18rocsparse_bfloat16S1_ffEEvbT_S2_PKS2_NS_24const_host_device_scalarIT4_EES4_PKT0_PKT1_PKT2_S7_PT3_21rocsparse_index_base_b ; -- Begin function _ZN9rocsparseL27csrmvn_symm_adaptive_kernelIii18rocsparse_bfloat16S1_ffEEvbT_S2_PKS2_NS_24const_host_device_scalarIT4_EES4_PKT0_PKT1_PKT2_S7_PT3_21rocsparse_index_base_b
	.p2align	8
	.type	_ZN9rocsparseL27csrmvn_symm_adaptive_kernelIii18rocsparse_bfloat16S1_ffEEvbT_S2_PKS2_NS_24const_host_device_scalarIT4_EES4_PKT0_PKT1_PKT2_S7_PT3_21rocsparse_index_base_b,@function
_ZN9rocsparseL27csrmvn_symm_adaptive_kernelIii18rocsparse_bfloat16S1_ffEEvbT_S2_PKS2_NS_24const_host_device_scalarIT4_EES4_PKT0_PKT1_PKT2_S7_PT3_21rocsparse_index_base_b: ; @_ZN9rocsparseL27csrmvn_symm_adaptive_kernelIii18rocsparse_bfloat16S1_ffEEvbT_S2_PKS2_NS_24const_host_device_scalarIT4_EES4_PKT0_PKT1_PKT2_S7_PT3_21rocsparse_index_base_b
; %bb.0:
	s_load_dwordx2 s[24:25], s[4:5], 0x50
	s_load_dwordx2 s[26:27], s[4:5], 0x18
	;; [unrolled: 1-line block ×3, first 2 shown]
	s_waitcnt lgkmcnt(0)
	s_bitcmp1_b32 s25, 0
	s_cselect_b64 s[8:9], -1, 0
	s_xor_b64 s[2:3], s[8:9], -1
	s_and_b64 vcc, exec, s[8:9]
	s_cbranch_vccnz .LBB74_2
; %bb.1:
	s_load_dword s26, s[26:27], 0x0
.LBB74_2:
	s_andn2_b64 vcc, exec, s[2:3]
	s_cbranch_vccnz .LBB74_4
; %bb.3:
	s_load_dword s0, s[0:1], 0x0
.LBB74_4:
	s_waitcnt lgkmcnt(0)
	v_cmp_neq_f32_e64 s[2:3], s26, 0
	v_cmp_neq_f32_e64 s[0:1], s0, 1.0
	s_or_b64 s[0:1], s[2:3], s[0:1]
	s_andn2_b64 vcc, exec, s[0:1]
	s_cbranch_vccnz .LBB74_143
; %bb.5:
	s_load_dwordx2 s[0:1], s[4:5], 0x10
	s_ashr_i32 s7, s6, 31
	s_lshl_b64 s[2:3], s[6:7], 2
	v_lshlrev_b32_e32 v8, 2, v0
	v_mov_b32_e32 v1, 0
	s_waitcnt lgkmcnt(0)
	s_add_u32 s0, s0, s2
	s_addc_u32 s1, s1, s3
	ds_write2st64_b32 v8, v1, v1 offset1:4
	ds_write2st64_b32 v8, v1, v1 offset0:8 offset1:12
	s_waitcnt lgkmcnt(0)
	s_barrier
	s_load_dwordx2 s[22:23], s[0:1], 0x0
	s_load_dwordx8 s[12:19], s[4:5], 0x20
	s_load_dwordx2 s[20:21], s[4:5], 0x48
	s_mov_b64 s[0:1], -1
	v_subrev_u32_e32 v7, s24, v0
	s_waitcnt lgkmcnt(0)
	s_sub_i32 s25, s23, s22
	s_cmp_gt_i32 s25, 2
	s_cbranch_scc1 .LBB74_36
; %bb.6:
	s_cmp_le_i32 s23, s22
	s_cbranch_scc1 .LBB74_25
; %bb.7:
	v_cmp_gt_u32_e64 s[0:1], 64, v0
	v_cmp_gt_u32_e64 s[2:3], 16, v0
	;; [unrolled: 1-line block ×3, first 2 shown]
	v_cmp_eq_u32_e64 s[8:9], 0, v0
	v_mov_b32_e32 v9, 0
	s_mov_b32 s28, s22
	s_branch .LBB74_9
.LBB74_8:                               ;   in Loop: Header=BB74_9 Depth=1
	s_or_b64 exec, exec, s[10:11]
	s_add_i32 s28, s28, 1
	s_cmp_ge_i32 s28, s23
	s_cbranch_scc1 .LBB74_25
.LBB74_9:                               ; =>This Loop Header: Depth=1
                                        ;     Child Loop BB74_11 Depth 2
                                        ;     Child Loop BB74_24 Depth 2
	s_ashr_i32 s29, s28, 31
	s_lshl_b64 s[30:31], s[28:29], 2
	s_add_u32 s10, s12, s30
	s_addc_u32 s11, s13, s31
	s_load_dwordx2 s[34:35], s[10:11], 0x0
	v_mov_b32_e32 v2, 0
	s_waitcnt lgkmcnt(0)
	s_sub_i32 s27, s35, s24
	v_add_u32_e32 v1, s34, v7
	v_cmp_gt_i32_e32 vcc, s27, v1
	s_and_saveexec_b64 s[34:35], vcc
	s_cbranch_execz .LBB74_13
; %bb.10:                               ;   in Loop: Header=BB74_9 Depth=1
	v_ashrrev_i32_e32 v2, 31, v1
	v_lshlrev_b64 v[3:4], 2, v[1:2]
	v_mov_b32_e32 v5, s15
	v_add_co_u32_e32 v3, vcc, s14, v3
	v_addc_co_u32_e32 v4, vcc, v5, v4, vcc
	v_lshlrev_b64 v[5:6], 1, v[1:2]
	v_mov_b32_e32 v2, s17
	v_add_co_u32_e32 v5, vcc, s16, v5
	v_addc_co_u32_e32 v6, vcc, v2, v6, vcc
	v_mov_b32_e32 v2, 0
	s_mov_b64 s[36:37], 0
.LBB74_11:                              ;   Parent Loop BB74_9 Depth=1
                                        ; =>  This Inner Loop Header: Depth=2
	global_load_dword v10, v[3:4], off
	global_load_ushort v12, v[5:6], off
	v_mov_b32_e32 v13, s19
	v_add_u32_e32 v1, 0x100, v1
	v_cmp_le_i32_e64 s[10:11], s27, v1
	s_or_b64 s[36:37], s[10:11], s[36:37]
	s_waitcnt vmcnt(1)
	v_subrev_u32_e32 v10, s24, v10
	v_ashrrev_i32_e32 v11, 31, v10
	v_lshlrev_b64 v[10:11], 1, v[10:11]
	v_add_co_u32_e32 v10, vcc, s18, v10
	v_addc_co_u32_e32 v11, vcc, v13, v11, vcc
	global_load_ushort v10, v[10:11], off
	v_add_co_u32_e32 v3, vcc, 0x400, v3
	v_addc_co_u32_e32 v4, vcc, 0, v4, vcc
	v_add_co_u32_e32 v5, vcc, 0x200, v5
	s_waitcnt vmcnt(1)
	v_lshlrev_b32_e32 v11, 16, v12
	v_addc_co_u32_e32 v6, vcc, 0, v6, vcc
	s_waitcnt vmcnt(0)
	v_lshlrev_b32_e32 v10, 16, v10
	v_fmac_f32_e32 v2, v11, v10
	s_andn2_b64 exec, exec, s[36:37]
	s_cbranch_execnz .LBB74_11
; %bb.12:                               ;   in Loop: Header=BB74_9 Depth=1
	s_or_b64 exec, exec, s[36:37]
.LBB74_13:                              ;   in Loop: Header=BB74_9 Depth=1
	s_or_b64 exec, exec, s[34:35]
	ds_write_b32 v8, v2
	s_waitcnt lgkmcnt(0)
	s_barrier
	ds_read2st64_b32 v[1:2], v8 offset1:4
	ds_read2st64_b32 v[3:4], v8 offset0:8 offset1:12
	s_waitcnt lgkmcnt(0)
	v_add_f32_e32 v2, v2, v3
	v_add_f32_e32 v2, v2, v4
	;; [unrolled: 1-line block ×3, first 2 shown]
	ds_write_b32 v8, v1
	s_waitcnt lgkmcnt(0)
	s_barrier
	s_and_saveexec_b64 s[10:11], s[0:1]
	s_cbranch_execz .LBB74_15
; %bb.14:                               ;   in Loop: Header=BB74_9 Depth=1
	ds_read2st64_b32 v[1:2], v8 offset1:1
	ds_read2st64_b32 v[3:4], v8 offset0:2 offset1:3
	s_waitcnt lgkmcnt(0)
	v_add_f32_e32 v2, v2, v3
	v_add_f32_e32 v2, v2, v4
	;; [unrolled: 1-line block ×3, first 2 shown]
	ds_write_b32 v8, v1
.LBB74_15:                              ;   in Loop: Header=BB74_9 Depth=1
	s_or_b64 exec, exec, s[10:11]
	s_waitcnt lgkmcnt(0)
	s_barrier
	s_and_saveexec_b64 s[10:11], s[2:3]
	s_cbranch_execz .LBB74_17
; %bb.16:                               ;   in Loop: Header=BB74_9 Depth=1
	ds_read2_b32 v[1:2], v8 offset1:16
	ds_read2_b32 v[3:4], v8 offset0:32 offset1:48
	s_waitcnt lgkmcnt(0)
	v_add_f32_e32 v2, v2, v3
	v_add_f32_e32 v2, v2, v4
	v_add_f32_e32 v1, v1, v2
	ds_write_b32 v8, v1
.LBB74_17:                              ;   in Loop: Header=BB74_9 Depth=1
	s_or_b64 exec, exec, s[10:11]
	s_waitcnt lgkmcnt(0)
	s_barrier
	s_and_saveexec_b64 s[10:11], s[6:7]
	s_cbranch_execz .LBB74_19
; %bb.18:                               ;   in Loop: Header=BB74_9 Depth=1
	ds_read2_b32 v[1:2], v8 offset1:4
	ds_read2_b32 v[3:4], v8 offset0:8 offset1:12
	s_waitcnt lgkmcnt(0)
	v_add_f32_e32 v2, v2, v3
	v_add_f32_e32 v2, v2, v4
	;; [unrolled: 1-line block ×3, first 2 shown]
	ds_write_b32 v8, v1
.LBB74_19:                              ;   in Loop: Header=BB74_9 Depth=1
	s_or_b64 exec, exec, s[10:11]
	s_waitcnt lgkmcnt(0)
	s_barrier
	s_and_saveexec_b64 s[10:11], s[8:9]
	s_cbranch_execz .LBB74_21
; %bb.20:                               ;   in Loop: Header=BB74_9 Depth=1
	ds_read2_b32 v[1:2], v9 offset0:1 offset1:2
	ds_read_b32 v3, v9 offset:12
	ds_read_b32 v4, v8
	s_waitcnt lgkmcnt(2)
	v_add_f32_e32 v1, v1, v2
	s_waitcnt lgkmcnt(1)
	v_add_f32_e32 v1, v1, v3
	;; [unrolled: 2-line block ×3, first 2 shown]
	ds_write_b32 v8, v1
.LBB74_21:                              ;   in Loop: Header=BB74_9 Depth=1
	s_or_b64 exec, exec, s[10:11]
	s_waitcnt lgkmcnt(0)
	s_barrier
	s_and_saveexec_b64 s[10:11], s[8:9]
	s_cbranch_execz .LBB74_8
; %bb.22:                               ;   in Loop: Header=BB74_9 Depth=1
	s_mov_b64 s[34:35], exec
	v_mbcnt_lo_u32_b32 v1, s34, 0
	v_mbcnt_hi_u32_b32 v1, s35, v1
	v_cmp_eq_u32_e32 vcc, 0, v1
	s_and_b64 s[36:37], exec, vcc
	s_mov_b64 exec, s[36:37]
	s_cbranch_execz .LBB74_8
; %bb.23:                               ;   in Loop: Header=BB74_9 Depth=1
	s_add_u32 s30, s20, s30
	s_addc_u32 s31, s21, s31
	global_load_dword v2, v9, s[30:31]
	ds_read_b32 v1, v9
	s_bcnt1_i32_b64 s27, s[34:35]
	v_cvt_f32_ubyte0_e32 v3, s27
	s_mov_b64 s[34:35], 0
	s_waitcnt lgkmcnt(0)
	v_mul_f32_e32 v1, s26, v1
	v_mul_f32_e32 v3, v1, v3
.LBB74_24:                              ;   Parent Loop BB74_9 Depth=1
                                        ; =>  This Inner Loop Header: Depth=2
	s_waitcnt vmcnt(0)
	v_add_f32_e32 v1, v2, v3
	global_atomic_cmpswap v1, v9, v[1:2], s[30:31] glc
	s_waitcnt vmcnt(0)
	v_cmp_eq_u32_e32 vcc, v1, v2
	s_or_b64 s[34:35], vcc, s[34:35]
	v_mov_b32_e32 v2, v1
	s_andn2_b64 exec, exec, s[34:35]
	s_cbranch_execnz .LBB74_24
	s_branch .LBB74_8
.LBB74_25:
	s_ashr_i32 s1, s22, 31
	s_mov_b32 s0, s22
	s_lshl_b64 s[0:1], s[0:1], 2
	s_add_u32 s0, s12, s0
	s_addc_u32 s1, s13, s1
	s_ashr_i32 s3, s23, 31
	s_mov_b32 s2, s23
	s_lshl_b64 s[2:3], s[2:3], 2
	s_add_u32 s2, s12, s2
	s_addc_u32 s3, s13, s3
	s_load_dword s6, s[2:3], 0x0
	s_load_dword s7, s[0:1], 0x0
	s_waitcnt lgkmcnt(0)
	s_sub_i32 s27, s6, s24
	v_add_u32_e32 v1, s7, v7
	v_cmp_gt_i32_e32 vcc, s27, v1
	s_and_saveexec_b64 s[6:7], vcc
	s_cbranch_execz .LBB74_35
; %bb.26:
	s_add_i32 s28, s23, -1
	s_cmp_lt_i32 s22, s28
	s_cselect_b64 s[0:1], -1, 0
	s_add_i32 s2, s23, -2
	s_cmp_lg_u32 s22, s2
	s_cselect_b64 s[2:3], -1, 0
	s_and_b64 s[0:1], s[0:1], s[2:3]
	v_cndmask_b32_e64 v2, 0, 1, s[0:1]
	s_mov_b64 s[8:9], 0
	v_cmp_ne_u32_e64 s[0:1], 1, v2
	v_mov_b32_e32 v6, s13
	v_mov_b32_e32 v9, s15
	s_branch .LBB74_28
.LBB74_27:                              ;   in Loop: Header=BB74_28 Depth=1
	s_or_b64 exec, exec, s[2:3]
	v_add_u32_e32 v1, 0x100, v1
	v_cmp_le_i32_e32 vcc, s27, v1
	s_or_b64 s[8:9], vcc, s[8:9]
	s_andn2_b64 exec, exec, s[8:9]
	s_cbranch_execz .LBB74_35
.LBB74_28:                              ; =>This Loop Header: Depth=1
                                        ;     Child Loop BB74_30 Depth 2
                                        ;     Child Loop BB74_34 Depth 2
	s_and_b64 vcc, exec, s[0:1]
	v_mov_b32_e32 v5, s22
	v_mov_b32_e32 v3, s28
	s_cbranch_vccnz .LBB74_32
; %bb.29:                               ;   in Loop: Header=BB74_28 Depth=1
	s_mov_b64 s[10:11], 0
	v_mov_b32_e32 v5, s22
	v_mov_b32_e32 v3, s28
.LBB74_30:                              ;   Parent Loop BB74_28 Depth=1
                                        ; =>  This Inner Loop Header: Depth=2
	v_add_u32_e32 v2, v3, v5
	v_lshrrev_b32_e32 v10, 31, v2
	v_add_u32_e32 v2, v2, v10
	v_ashrrev_i32_e32 v10, 1, v2
	v_ashrrev_i32_e32 v11, 31, v10
	v_lshlrev_b64 v[11:12], 2, v[10:11]
	v_mov_b32_e32 v4, s13
	v_add_co_u32_e32 v11, vcc, s12, v11
	v_addc_co_u32_e32 v12, vcc, v4, v12, vcc
	global_load_dword v2, v[11:12], off
	s_waitcnt vmcnt(0)
	v_subrev_u32_e32 v2, s24, v2
	v_cmp_lt_i32_e32 vcc, v1, v2
	v_cndmask_b32_e32 v3, v3, v10, vcc
	v_cndmask_b32_e32 v5, v10, v5, vcc
	v_add_u32_e32 v2, -1, v3
	v_cmp_ge_i32_e32 vcc, v5, v3
	v_cmp_eq_u32_e64 s[2:3], v5, v2
	s_or_b64 s[2:3], vcc, s[2:3]
	s_and_b64 s[2:3], exec, s[2:3]
	s_or_b64 s[10:11], s[2:3], s[10:11]
	s_andn2_b64 exec, exec, s[10:11]
	s_cbranch_execnz .LBB74_30
; %bb.31:                               ;   in Loop: Header=BB74_28 Depth=1
	s_or_b64 exec, exec, s[10:11]
.LBB74_32:                              ;   in Loop: Header=BB74_28 Depth=1
	v_ashrrev_i32_e32 v4, 31, v3
	v_lshlrev_b64 v[10:11], 2, v[3:4]
	v_ashrrev_i32_e32 v2, 31, v1
	v_add_co_u32_e32 v10, vcc, s12, v10
	v_addc_co_u32_e32 v11, vcc, v6, v11, vcc
	global_load_dword v4, v[10:11], off
	v_lshlrev_b64 v[10:11], 2, v[1:2]
	v_add_co_u32_e32 v10, vcc, s14, v10
	v_addc_co_u32_e32 v11, vcc, v9, v11, vcc
	global_load_dword v10, v[10:11], off
	s_waitcnt vmcnt(1)
	v_subrev_u32_e32 v4, s24, v4
	v_cmp_lt_i32_e32 vcc, v1, v4
	v_cndmask_b32_e32 v3, v3, v5, vcc
	s_waitcnt vmcnt(0)
	v_subrev_u32_e32 v4, s24, v10
	v_cmp_ne_u32_e32 vcc, v4, v3
	s_and_saveexec_b64 s[2:3], vcc
	s_cbranch_execz .LBB74_27
; %bb.33:                               ;   in Loop: Header=BB74_28 Depth=1
	v_ashrrev_i32_e32 v5, 31, v4
	v_lshlrev_b64 v[10:11], 2, v[4:5]
	v_lshlrev_b64 v[4:5], 1, v[1:2]
	v_mov_b32_e32 v2, s17
	v_add_co_u32_e32 v4, vcc, s16, v4
	v_addc_co_u32_e32 v5, vcc, v2, v5, vcc
	global_load_ushort v13, v[4:5], off
	v_ashrrev_i32_e32 v4, 31, v3
	v_lshlrev_b64 v[2:3], 1, v[3:4]
	v_mov_b32_e32 v4, s19
	v_add_co_u32_e32 v2, vcc, s18, v2
	v_addc_co_u32_e32 v3, vcc, v4, v3, vcc
	v_mov_b32_e32 v12, s21
	global_load_ushort v4, v[2:3], off
	v_add_co_u32_e32 v2, vcc, s20, v10
	v_addc_co_u32_e32 v3, vcc, v12, v11, vcc
	global_load_dword v5, v[2:3], off
	s_mov_b64 s[10:11], 0
	s_waitcnt vmcnt(2)
	v_lshlrev_b32_e32 v10, 16, v13
	v_mul_f32_e32 v10, s26, v10
	s_waitcnt vmcnt(1)
	v_lshlrev_b32_e32 v4, 16, v4
	v_mul_f32_e32 v10, v10, v4
.LBB74_34:                              ;   Parent Loop BB74_28 Depth=1
                                        ; =>  This Inner Loop Header: Depth=2
	s_waitcnt vmcnt(0)
	v_add_f32_e32 v4, v5, v10
	global_atomic_cmpswap v4, v[2:3], v[4:5], off glc
	s_waitcnt vmcnt(0)
	v_cmp_eq_u32_e32 vcc, v4, v5
	s_or_b64 s[10:11], vcc, s[10:11]
	v_mov_b32_e32 v5, v4
	s_andn2_b64 exec, exec, s[10:11]
	s_cbranch_execnz .LBB74_34
	s_branch .LBB74_27
.LBB74_35:
	s_or_b64 exec, exec, s[6:7]
	s_mov_b64 s[0:1], 0
.LBB74_36:
	s_and_b64 vcc, exec, s[0:1]
	s_cbranch_vccz .LBB74_143
; %bb.37:
	v_cvt_f32_u32_e32 v1, s25
	s_ashr_i32 s1, s22, 31
	s_mov_b32 s0, s22
	s_sub_i32 s2, 0, s25
	v_rcp_iflag_f32_e32 v1, v1
	s_lshl_b64 s[0:1], s[0:1], 2
	s_add_u32 s6, s12, s0
	s_addc_u32 s7, s13, s1
	v_mul_f32_e32 v1, 0x4f7ffffe, v1
	v_cvt_u32_f32_e32 v1, v1
	s_load_dword s30, s[6:7], 0x0
	s_load_dwordx2 s[8:9], s[4:5], 0x4
	s_load_dword s27, s[4:5], 0x64
	v_readfirstlane_b32 s28, v1
	s_waitcnt lgkmcnt(0)
	v_add_u32_e32 v1, s30, v7
	s_mul_i32 s2, s2, s28
	v_add_u32_e32 v9, 0x300, v1
	s_mul_hi_u32 s29, s28, s2
	v_cmp_le_i32_e32 vcc, s8, v9
	s_and_saveexec_b64 s[0:1], vcc
	s_xor_b64 s[2:3], exec, s[0:1]
	s_cbranch_execz .LBB74_42
; %bb.38:
	s_ashr_i32 s1, s23, 31
	s_mov_b32 s0, s23
	s_lshl_b64 s[0:1], s[0:1], 2
	s_add_u32 s0, s12, s0
	s_addc_u32 s1, s13, s1
	s_load_dword s0, s[0:1], 0x0
	s_waitcnt lgkmcnt(0)
	s_sub_i32 s8, s0, s30
	v_cmp_gt_i32_e64 s[0:1], s8, v0
	s_and_saveexec_b64 s[4:5], s[0:1]
	s_cbranch_execz .LBB74_41
; %bb.39:
	s_sub_i32 s31, s30, s24
	s_mov_b64 s[10:11], 0
	v_mov_b32_e32 v2, s17
	v_mov_b32_e32 v3, v8
	;; [unrolled: 1-line block ×3, first 2 shown]
.LBB74_40:                              ; =>This Inner Loop Header: Depth=1
	v_add_u32_e32 v5, s31, v4
	v_ashrrev_i32_e32 v6, 31, v5
	v_lshlrev_b64 v[5:6], 1, v[5:6]
	v_add_u32_e32 v4, 0x100, v4
	v_add_co_u32_e64 v5, s[0:1], s16, v5
	v_addc_co_u32_e64 v6, s[0:1], v2, v6, s[0:1]
	global_load_ushort v5, v[5:6], off
	v_cmp_le_i32_e64 s[0:1], s8, v4
	s_or_b64 s[10:11], s[0:1], s[10:11]
	s_waitcnt vmcnt(0)
	v_lshlrev_b32_e32 v5, 16, v5
	v_mul_f32_e32 v5, s26, v5
	ds_write_b32 v3, v5
	v_add_u32_e32 v3, 0x400, v3
	s_andn2_b64 exec, exec, s[10:11]
	s_cbranch_execnz .LBB74_40
.LBB74_41:
	s_or_b64 exec, exec, s[4:5]
.LBB74_42:
	s_or_saveexec_b64 s[2:3], s[2:3]
	s_and_b32 s31, s27, 0xffff
	s_add_i32 s28, s28, s29
	v_ashrrev_i32_e32 v2, 31, v1
	s_xor_b64 exec, exec, s[2:3]
	s_cbranch_execz .LBB74_44
; %bb.43:
	v_lshlrev_b64 v[3:4], 1, v[1:2]
	v_mov_b32_e32 v5, s17
	v_add_co_u32_e64 v3, s[0:1], s16, v3
	v_addc_co_u32_e64 v4, s[0:1], v5, v4, s[0:1]
	global_load_ushort v5, v[3:4], off
	global_load_ushort v6, v[3:4], off offset:512
	global_load_ushort v7, v[3:4], off offset:1024
	;; [unrolled: 1-line block ×3, first 2 shown]
	s_waitcnt vmcnt(3)
	v_lshlrev_b32_e32 v3, 16, v5
	s_waitcnt vmcnt(2)
	v_lshlrev_b32_e32 v4, 16, v6
	;; [unrolled: 2-line block ×4, first 2 shown]
	v_mul_f32_e32 v3, s26, v3
	v_mul_f32_e32 v4, s26, v4
	;; [unrolled: 1-line block ×4, first 2 shown]
	ds_write2st64_b32 v8, v3, v4 offset1:4
	ds_write2st64_b32 v8, v5, v6 offset0:8 offset1:12
.LBB74_44:
	s_or_b64 exec, exec, s[2:3]
	s_mul_hi_u32 s8, s31, s28
	v_cmp_gt_i32_e64 s[0:1], s9, v0
	s_and_saveexec_b64 s[2:3], s[0:1]
	s_cbranch_execz .LBB74_47
; %bb.45:
	v_mov_b32_e32 v3, 0x1000
	v_lshl_add_u32 v3, v0, 2, v3
	s_mov_b64 s[4:5], 0
	v_mov_b32_e32 v4, 0
	v_mov_b32_e32 v5, v0
.LBB74_46:                              ; =>This Inner Loop Header: Depth=1
	v_add_u32_e32 v5, 0x100, v5
	v_cmp_le_i32_e64 s[0:1], s9, v5
	ds_write_b32 v3, v4
	s_or_b64 s[4:5], s[0:1], s[4:5]
	v_add_u32_e32 v3, 0x400, v3
	s_andn2_b64 exec, exec, s[4:5]
	s_cbranch_execnz .LBB74_46
.LBB74_47:
	s_or_b64 exec, exec, s[2:3]
	s_sub_i32 s0, s23, s9
	s_cmp_ge_i32 s23, s9
	s_cselect_b32 s33, s0, 0
	s_waitcnt lgkmcnt(0)
	s_barrier
	s_and_saveexec_b64 s[0:1], vcc
	s_xor_b64 s[4:5], exec, s[0:1]
	s_cbranch_execz .LBB74_63
; %bb.48:
	s_ashr_i32 s1, s23, 31
	s_mov_b32 s0, s23
	s_lshl_b64 s[0:1], s[0:1], 2
	s_add_u32 s0, s12, s0
	s_addc_u32 s1, s13, s1
	s_load_dword s0, s[0:1], 0x0
	s_waitcnt lgkmcnt(0)
	s_sub_i32 s34, s0, s30
	v_cmp_gt_i32_e32 vcc, s34, v0
	s_and_saveexec_b64 s[10:11], vcc
	s_cbranch_execz .LBB74_62
; %bb.49:
	s_add_i32 s35, s23, -1
	s_add_i32 s1, s23, -2
	s_cmp_lg_u32 s22, s1
	s_cselect_b64 s[2:3], -1, 0
	v_cndmask_b32_e64 v2, 0, 1, s[2:3]
	s_sub_i32 s36, s0, s24
	s_mov_b32 s37, 0
	s_mov_b64 s[16:17], 0
	v_cmp_ne_u32_e64 s[0:1], 1, v2
	v_mov_b32_e32 v6, s13
	v_mov_b32_e32 v7, s15
	;; [unrolled: 1-line block ×3, first 2 shown]
	s_branch .LBB74_51
.LBB74_50:                              ;   in Loop: Header=BB74_51 Depth=1
	s_or_b64 exec, exec, s[26:27]
	s_addk_i32 s37, 0x100
	v_add_u32_e32 v2, s37, v0
	v_cmp_le_i32_e32 vcc, s34, v2
	s_or_b64 s[16:17], vcc, s[16:17]
	s_andn2_b64 exec, exec, s[16:17]
	s_cbranch_execz .LBB74_62
.LBB74_51:                              ; =>This Loop Header: Depth=1
                                        ;     Child Loop BB74_53 Depth 2
                                        ;     Child Loop BB74_58 Depth 2
	v_add_u32_e32 v2, s37, v1
	s_and_b64 vcc, exec, s[0:1]
	v_mov_b32_e32 v10, s22
	v_mov_b32_e32 v4, s35
	s_cbranch_vccnz .LBB74_55
; %bb.52:                               ;   in Loop: Header=BB74_51 Depth=1
	s_mov_b64 s[26:27], 0
	v_mov_b32_e32 v10, s22
	v_mov_b32_e32 v4, s35
.LBB74_53:                              ;   Parent Loop BB74_51 Depth=1
                                        ; =>  This Inner Loop Header: Depth=2
	v_add_u32_e32 v3, v4, v10
	v_lshrrev_b32_e32 v11, 31, v3
	v_add_u32_e32 v3, v3, v11
	v_ashrrev_i32_e32 v11, 1, v3
	v_ashrrev_i32_e32 v12, 31, v11
	v_lshlrev_b64 v[12:13], 2, v[11:12]
	v_mov_b32_e32 v5, s13
	v_add_co_u32_e32 v12, vcc, s12, v12
	v_addc_co_u32_e32 v13, vcc, v5, v13, vcc
	global_load_dword v3, v[12:13], off
	s_waitcnt vmcnt(0)
	v_subrev_u32_e32 v3, s24, v3
	v_cmp_lt_i32_e32 vcc, v2, v3
	v_cndmask_b32_e32 v4, v4, v11, vcc
	v_cndmask_b32_e32 v10, v11, v10, vcc
	v_add_u32_e32 v3, -1, v4
	v_cmp_ge_i32_e32 vcc, v10, v4
	v_cmp_eq_u32_e64 s[2:3], v10, v3
	s_or_b64 s[2:3], vcc, s[2:3]
	s_and_b64 s[2:3], exec, s[2:3]
	s_or_b64 s[26:27], s[2:3], s[26:27]
	s_andn2_b64 exec, exec, s[26:27]
	s_cbranch_execnz .LBB74_53
; %bb.54:                               ;   in Loop: Header=BB74_51 Depth=1
	s_or_b64 exec, exec, s[26:27]
.LBB74_55:                              ;   in Loop: Header=BB74_51 Depth=1
	v_ashrrev_i32_e32 v5, 31, v4
	v_lshlrev_b64 v[11:12], 2, v[4:5]
	v_ashrrev_i32_e32 v3, 31, v2
	v_add_co_u32_e32 v11, vcc, s12, v11
	v_addc_co_u32_e32 v12, vcc, v6, v12, vcc
	global_load_dword v5, v[11:12], off
	v_lshlrev_b64 v[11:12], 2, v[2:3]
	v_cmp_gt_i32_e64 s[2:3], s36, v2
	v_add_co_u32_e32 v11, vcc, s14, v11
	v_addc_co_u32_e32 v12, vcc, v7, v12, vcc
	global_load_dword v3, v[11:12], off
	s_waitcnt vmcnt(1)
	v_subrev_u32_e32 v5, s24, v5
	v_cmp_lt_i32_e32 vcc, v2, v5
	v_cndmask_b32_e32 v4, v4, v10, vcc
	s_waitcnt vmcnt(0)
	v_subrev_u32_e32 v3, s24, v3
	v_cmp_ne_u32_e32 vcc, v3, v4
	s_and_b64 s[2:3], vcc, s[2:3]
	s_and_saveexec_b64 s[26:27], s[2:3]
	s_cbranch_execz .LBB74_50
; %bb.56:                               ;   in Loop: Header=BB74_51 Depth=1
	v_ashrrev_i32_e32 v5, 31, v4
	v_lshlrev_b64 v[4:5], 1, v[4:5]
	v_mov_b32_e32 v2, s19
	v_add_co_u32_e32 v4, vcc, s18, v4
	v_addc_co_u32_e32 v5, vcc, v2, v5, vcc
	global_load_ushort v2, v[4:5], off
	v_lshl_add_u32 v4, s37, 2, v8
	ds_read_b32 v4, v4
	v_cmp_gt_i32_e32 vcc, s33, v3
	v_cmp_le_i32_e64 s[2:3], s23, v3
	s_or_b64 s[2:3], vcc, s[2:3]
	s_waitcnt vmcnt(0)
	v_lshlrev_b32_e32 v2, 16, v2
	s_waitcnt lgkmcnt(0)
	v_mul_f32_e32 v10, v4, v2
	s_and_saveexec_b64 s[28:29], s[2:3]
	s_xor_b64 s[2:3], exec, s[28:29]
	s_cbranch_execz .LBB74_60
; %bb.57:                               ;   in Loop: Header=BB74_51 Depth=1
	v_ashrrev_i32_e32 v4, 31, v3
	v_lshlrev_b64 v[2:3], 2, v[3:4]
	v_mov_b32_e32 v4, s21
	v_add_co_u32_e32 v2, vcc, s20, v2
	v_addc_co_u32_e32 v3, vcc, v4, v3, vcc
	global_load_dword v5, v[2:3], off
	s_mov_b64 s[28:29], 0
.LBB74_58:                              ;   Parent Loop BB74_51 Depth=1
                                        ; =>  This Inner Loop Header: Depth=2
	s_waitcnt vmcnt(0)
	v_add_f32_e32 v4, v5, v10
	global_atomic_cmpswap v4, v[2:3], v[4:5], off glc
	s_waitcnt vmcnt(0)
	v_cmp_eq_u32_e32 vcc, v4, v5
	s_or_b64 s[28:29], vcc, s[28:29]
	v_mov_b32_e32 v5, v4
	s_andn2_b64 exec, exec, s[28:29]
	s_cbranch_execnz .LBB74_58
; %bb.59:                               ;   in Loop: Header=BB74_51 Depth=1
	s_or_b64 exec, exec, s[28:29]
                                        ; implicit-def: $vgpr3
                                        ; implicit-def: $vgpr10
.LBB74_60:                              ;   in Loop: Header=BB74_51 Depth=1
	s_andn2_saveexec_b64 s[2:3], s[2:3]
	s_cbranch_execz .LBB74_50
; %bb.61:                               ;   in Loop: Header=BB74_51 Depth=1
	v_subrev_u32_e32 v2, s33, v3
	v_lshl_add_u32 v2, v2, 2, v9
	ds_add_f32 v2, v10
	s_branch .LBB74_50
.LBB74_62:
	s_or_b64 exec, exec, s[10:11]
                                        ; implicit-def: $vgpr9
                                        ; implicit-def: $vgpr1
.LBB74_63:
	s_andn2_saveexec_b64 s[4:5], s[4:5]
	s_cbranch_execz .LBB74_113
; %bb.64:
	s_add_i32 s26, s23, -1
	s_add_i32 s0, s23, -2
	s_cmp_lg_u32 s22, s0
	s_cselect_b64 s[2:3], -1, 0
	s_cmp_eq_u32 s22, s0
	v_mov_b32_e32 v6, s22
	v_mov_b32_e32 v4, s26
	s_cbranch_scc1 .LBB74_68
; %bb.65:
	s_mov_b64 s[10:11], 0
	v_mov_b32_e32 v6, s22
	v_mov_b32_e32 v4, s26
	v_mov_b32_e32 v3, s13
.LBB74_66:                              ; =>This Inner Loop Header: Depth=1
	v_add_u32_e32 v5, v4, v6
	v_lshrrev_b32_e32 v7, 31, v5
	v_add_u32_e32 v5, v5, v7
	v_ashrrev_i32_e32 v10, 1, v5
	v_ashrrev_i32_e32 v11, 31, v10
	v_lshlrev_b64 v[11:12], 2, v[10:11]
	v_add_co_u32_e32 v11, vcc, s12, v11
	v_addc_co_u32_e32 v12, vcc, v3, v12, vcc
	global_load_dword v5, v[11:12], off
	s_waitcnt vmcnt(0)
	v_subrev_u32_e32 v5, s24, v5
	v_cmp_lt_i32_e32 vcc, v1, v5
	v_cndmask_b32_e32 v4, v4, v10, vcc
	v_cndmask_b32_e32 v6, v10, v6, vcc
	v_add_u32_e32 v5, -1, v4
	v_cmp_ge_i32_e32 vcc, v6, v4
	v_cmp_eq_u32_e64 s[0:1], v6, v5
	s_or_b64 s[0:1], vcc, s[0:1]
	s_and_b64 s[0:1], exec, s[0:1]
	s_or_b64 s[10:11], s[0:1], s[10:11]
	s_andn2_b64 exec, exec, s[10:11]
	s_cbranch_execnz .LBB74_66
; %bb.67:
	s_or_b64 exec, exec, s[10:11]
.LBB74_68:
	v_ashrrev_i32_e32 v5, 31, v4
	v_lshlrev_b64 v[10:11], 2, v[4:5]
	v_mov_b32_e32 v3, s13
	v_add_co_u32_e32 v10, vcc, s12, v10
	v_addc_co_u32_e32 v11, vcc, v3, v11, vcc
	v_lshlrev_b64 v[2:3], 2, v[1:2]
	global_load_dword v5, v[10:11], off
	v_mov_b32_e32 v7, s15
	v_add_co_u32_e32 v2, vcc, s14, v2
	v_addc_co_u32_e32 v3, vcc, v7, v3, vcc
	global_load_dword v7, v[2:3], off
	s_ashr_i32 s1, s23, 31
	s_mov_b32 s0, s23
	s_lshl_b64 s[0:1], s[0:1], 2
	s_add_u32 s10, s12, s0
	s_addc_u32 s11, s13, s1
	s_waitcnt vmcnt(1)
	v_subrev_u32_e32 v5, s24, v5
	v_cmp_lt_i32_e32 vcc, v1, v5
	v_cndmask_b32_e32 v5, v4, v6, vcc
	s_waitcnt vmcnt(0)
	v_subrev_u32_e32 v4, s24, v7
	v_cmp_ne_u32_e32 vcc, v4, v5
	s_and_saveexec_b64 s[14:15], vcc
	s_cbranch_execz .LBB74_76
; %bb.69:
	s_load_dword s0, s[10:11], 0x0
	s_waitcnt lgkmcnt(0)
	s_sub_i32 s0, s0, s24
	v_cmp_gt_i32_e32 vcc, s0, v1
	s_and_b64 exec, exec, vcc
	s_cbranch_execz .LBB74_76
; %bb.70:
	v_ashrrev_i32_e32 v6, 31, v5
	v_lshlrev_b64 v[5:6], 1, v[5:6]
	v_mov_b32_e32 v7, s19
	v_add_co_u32_e32 v5, vcc, s18, v5
	v_addc_co_u32_e32 v6, vcc, v7, v6, vcc
	global_load_ushort v5, v[5:6], off
	ds_read_b32 v6, v8
	v_cmp_gt_i32_e32 vcc, s33, v4
	v_cmp_le_i32_e64 s[0:1], s23, v4
	s_or_b64 s[0:1], vcc, s[0:1]
	s_waitcnt vmcnt(0)
	v_lshlrev_b32_e32 v5, 16, v5
	s_waitcnt lgkmcnt(0)
	v_mul_f32_e32 v10, v6, v5
	s_and_saveexec_b64 s[16:17], s[0:1]
	s_xor_b64 s[0:1], exec, s[16:17]
	s_cbranch_execz .LBB74_74
; %bb.71:
	v_ashrrev_i32_e32 v5, 31, v4
	v_lshlrev_b64 v[4:5], 2, v[4:5]
	v_mov_b32_e32 v6, s21
	v_add_co_u32_e32 v4, vcc, s20, v4
	v_addc_co_u32_e32 v5, vcc, v6, v5, vcc
	global_load_dword v7, v[4:5], off
	s_mov_b64 s[16:17], 0
.LBB74_72:                              ; =>This Inner Loop Header: Depth=1
	s_waitcnt vmcnt(0)
	v_add_f32_e32 v6, v7, v10
	global_atomic_cmpswap v6, v[4:5], v[6:7], off glc
	s_waitcnt vmcnt(0)
	v_cmp_eq_u32_e32 vcc, v6, v7
	s_or_b64 s[16:17], vcc, s[16:17]
	v_mov_b32_e32 v7, v6
	s_andn2_b64 exec, exec, s[16:17]
	s_cbranch_execnz .LBB74_72
; %bb.73:
	s_or_b64 exec, exec, s[16:17]
                                        ; implicit-def: $vgpr4
                                        ; implicit-def: $vgpr10
.LBB74_74:
	s_andn2_saveexec_b64 s[0:1], s[0:1]
; %bb.75:
	v_subrev_u32_e32 v4, s33, v4
	v_mov_b32_e32 v5, 0x1000
	v_lshl_add_u32 v4, v4, 2, v5
	ds_add_f32 v4, v10
.LBB74_76:
	s_or_b64 exec, exec, s[14:15]
	v_cndmask_b32_e64 v4, 0, 1, s[2:3]
	v_add_u32_e32 v6, 0x100, v1
	v_cmp_ne_u32_e64 s[0:1], 1, v4
	s_andn2_b64 vcc, exec, s[2:3]
	v_mov_b32_e32 v7, s22
	v_mov_b32_e32 v4, s26
	s_cbranch_vccnz .LBB74_80
; %bb.77:
	s_mov_b64 s[14:15], 0
	v_mov_b32_e32 v7, s22
	v_mov_b32_e32 v4, s26
	;; [unrolled: 1-line block ×3, first 2 shown]
.LBB74_78:                              ; =>This Inner Loop Header: Depth=1
	v_add_u32_e32 v10, v4, v7
	v_lshrrev_b32_e32 v11, 31, v10
	v_add_u32_e32 v10, v10, v11
	v_ashrrev_i32_e32 v10, 1, v10
	v_ashrrev_i32_e32 v11, 31, v10
	v_lshlrev_b64 v[11:12], 2, v[10:11]
	v_add_co_u32_e32 v11, vcc, s12, v11
	v_addc_co_u32_e32 v12, vcc, v5, v12, vcc
	global_load_dword v11, v[11:12], off
	s_waitcnt vmcnt(0)
	v_subrev_u32_e32 v11, s24, v11
	v_cmp_lt_i32_e32 vcc, v6, v11
	v_cndmask_b32_e32 v4, v4, v10, vcc
	v_cndmask_b32_e32 v7, v10, v7, vcc
	v_add_u32_e32 v10, -1, v4
	v_cmp_ge_i32_e32 vcc, v7, v4
	v_cmp_eq_u32_e64 s[2:3], v7, v10
	s_or_b64 s[2:3], vcc, s[2:3]
	s_and_b64 s[2:3], exec, s[2:3]
	s_or_b64 s[14:15], s[2:3], s[14:15]
	s_andn2_b64 exec, exec, s[14:15]
	s_cbranch_execnz .LBB74_78
; %bb.79:
	s_or_b64 exec, exec, s[14:15]
.LBB74_80:
	v_ashrrev_i32_e32 v5, 31, v4
	v_lshlrev_b64 v[10:11], 2, v[4:5]
	v_mov_b32_e32 v5, s13
	v_add_co_u32_e32 v10, vcc, s12, v10
	v_addc_co_u32_e32 v11, vcc, v5, v11, vcc
	global_load_dword v5, v[10:11], off
	global_load_dword v12, v[2:3], off offset:1024
	s_waitcnt vmcnt(1)
	v_subrev_u32_e32 v5, s24, v5
	v_cmp_lt_i32_e32 vcc, v6, v5
	v_cndmask_b32_e32 v5, v4, v7, vcc
	s_waitcnt vmcnt(0)
	v_subrev_u32_e32 v4, s24, v12
	v_cmp_ne_u32_e32 vcc, v4, v5
	s_and_saveexec_b64 s[14:15], vcc
	s_cbranch_execz .LBB74_88
; %bb.81:
	s_load_dword s2, s[10:11], 0x0
	s_waitcnt lgkmcnt(0)
	s_sub_i32 s2, s2, s24
	v_cmp_gt_i32_e32 vcc, s2, v6
	s_and_b64 exec, exec, vcc
	s_cbranch_execz .LBB74_88
; %bb.82:
	v_ashrrev_i32_e32 v6, 31, v5
	v_lshlrev_b64 v[5:6], 1, v[5:6]
	v_mov_b32_e32 v7, s19
	v_add_co_u32_e32 v5, vcc, s18, v5
	v_addc_co_u32_e32 v6, vcc, v7, v6, vcc
	global_load_ushort v5, v[5:6], off
	ds_read_b32 v6, v8 offset:1024
	v_cmp_gt_i32_e32 vcc, s33, v4
	v_cmp_le_i32_e64 s[2:3], s23, v4
	s_or_b64 s[2:3], vcc, s[2:3]
	s_waitcnt vmcnt(0)
	v_lshlrev_b32_e32 v5, 16, v5
	s_waitcnt lgkmcnt(0)
	v_mul_f32_e32 v10, v6, v5
	s_and_saveexec_b64 s[16:17], s[2:3]
	s_xor_b64 s[2:3], exec, s[16:17]
	s_cbranch_execz .LBB74_86
; %bb.83:
	v_ashrrev_i32_e32 v5, 31, v4
	v_lshlrev_b64 v[4:5], 2, v[4:5]
	v_mov_b32_e32 v6, s21
	v_add_co_u32_e32 v4, vcc, s20, v4
	v_addc_co_u32_e32 v5, vcc, v6, v5, vcc
	global_load_dword v7, v[4:5], off
	s_mov_b64 s[16:17], 0
.LBB74_84:                              ; =>This Inner Loop Header: Depth=1
	s_waitcnt vmcnt(0)
	v_add_f32_e32 v6, v7, v10
	global_atomic_cmpswap v6, v[4:5], v[6:7], off glc
	s_waitcnt vmcnt(0)
	v_cmp_eq_u32_e32 vcc, v6, v7
	s_or_b64 s[16:17], vcc, s[16:17]
	v_mov_b32_e32 v7, v6
	s_andn2_b64 exec, exec, s[16:17]
	s_cbranch_execnz .LBB74_84
; %bb.85:
	s_or_b64 exec, exec, s[16:17]
                                        ; implicit-def: $vgpr4
                                        ; implicit-def: $vgpr10
.LBB74_86:
	s_andn2_saveexec_b64 s[2:3], s[2:3]
; %bb.87:
	v_subrev_u32_e32 v4, s33, v4
	v_mov_b32_e32 v5, 0x1000
	v_lshl_add_u32 v4, v4, 2, v5
	ds_add_f32 v4, v10
.LBB74_88:
	s_or_b64 exec, exec, s[14:15]
	v_add_u32_e32 v1, 0x200, v1
	s_and_b64 vcc, exec, s[0:1]
	v_mov_b32_e32 v6, s22
	v_mov_b32_e32 v4, s26
	s_cbranch_vccnz .LBB74_92
; %bb.89:
	s_mov_b64 s[14:15], 0
	v_mov_b32_e32 v6, s22
	v_mov_b32_e32 v4, s26
	;; [unrolled: 1-line block ×3, first 2 shown]
.LBB74_90:                              ; =>This Inner Loop Header: Depth=1
	v_add_u32_e32 v7, v4, v6
	v_lshrrev_b32_e32 v10, 31, v7
	v_add_u32_e32 v7, v7, v10
	v_ashrrev_i32_e32 v10, 1, v7
	v_ashrrev_i32_e32 v11, 31, v10
	v_lshlrev_b64 v[11:12], 2, v[10:11]
	v_add_co_u32_e32 v11, vcc, s12, v11
	v_addc_co_u32_e32 v12, vcc, v5, v12, vcc
	global_load_dword v7, v[11:12], off
	s_waitcnt vmcnt(0)
	v_subrev_u32_e32 v7, s24, v7
	v_cmp_lt_i32_e32 vcc, v1, v7
	v_cndmask_b32_e32 v4, v4, v10, vcc
	v_cndmask_b32_e32 v6, v10, v6, vcc
	v_add_u32_e32 v7, -1, v4
	v_cmp_ge_i32_e32 vcc, v6, v4
	v_cmp_eq_u32_e64 s[2:3], v6, v7
	s_or_b64 s[2:3], vcc, s[2:3]
	s_and_b64 s[2:3], exec, s[2:3]
	s_or_b64 s[14:15], s[2:3], s[14:15]
	s_andn2_b64 exec, exec, s[14:15]
	s_cbranch_execnz .LBB74_90
; %bb.91:
	s_or_b64 exec, exec, s[14:15]
.LBB74_92:
	v_ashrrev_i32_e32 v5, 31, v4
	v_lshlrev_b64 v[10:11], 2, v[4:5]
	v_mov_b32_e32 v5, s13
	v_add_co_u32_e32 v10, vcc, s12, v10
	v_addc_co_u32_e32 v11, vcc, v5, v11, vcc
	global_load_dword v5, v[10:11], off
	global_load_dword v7, v[2:3], off offset:2048
	s_waitcnt vmcnt(1)
	v_subrev_u32_e32 v5, s24, v5
	v_cmp_lt_i32_e32 vcc, v1, v5
	v_cndmask_b32_e32 v5, v4, v6, vcc
	s_waitcnt vmcnt(0)
	v_subrev_u32_e32 v4, s24, v7
	v_cmp_ne_u32_e32 vcc, v4, v5
	s_and_saveexec_b64 s[14:15], vcc
	s_cbranch_execz .LBB74_100
; %bb.93:
	s_load_dword s2, s[10:11], 0x0
	s_waitcnt lgkmcnt(0)
	s_sub_i32 s2, s2, s24
	v_cmp_gt_i32_e32 vcc, s2, v1
	s_and_b64 exec, exec, vcc
	s_cbranch_execz .LBB74_100
; %bb.94:
	v_ashrrev_i32_e32 v6, 31, v5
	v_lshlrev_b64 v[5:6], 1, v[5:6]
	v_mov_b32_e32 v1, s19
	v_add_co_u32_e32 v5, vcc, s18, v5
	v_addc_co_u32_e32 v6, vcc, v1, v6, vcc
	global_load_ushort v1, v[5:6], off
	ds_read_b32 v5, v8 offset:2048
	v_cmp_gt_i32_e32 vcc, s33, v4
	v_cmp_le_i32_e64 s[2:3], s23, v4
	s_or_b64 s[2:3], vcc, s[2:3]
	s_waitcnt vmcnt(0)
	v_lshlrev_b32_e32 v1, 16, v1
	s_waitcnt lgkmcnt(0)
	v_mul_f32_e32 v1, v5, v1
	s_and_saveexec_b64 s[16:17], s[2:3]
	s_xor_b64 s[2:3], exec, s[16:17]
	s_cbranch_execz .LBB74_98
; %bb.95:
	v_ashrrev_i32_e32 v5, 31, v4
	v_lshlrev_b64 v[4:5], 2, v[4:5]
	v_mov_b32_e32 v6, s21
	v_add_co_u32_e32 v4, vcc, s20, v4
	v_addc_co_u32_e32 v5, vcc, v6, v5, vcc
	global_load_dword v7, v[4:5], off
	s_mov_b64 s[16:17], 0
.LBB74_96:                              ; =>This Inner Loop Header: Depth=1
	s_waitcnt vmcnt(0)
	v_add_f32_e32 v6, v7, v1
	global_atomic_cmpswap v6, v[4:5], v[6:7], off glc
	s_waitcnt vmcnt(0)
	v_cmp_eq_u32_e32 vcc, v6, v7
	s_or_b64 s[16:17], vcc, s[16:17]
	v_mov_b32_e32 v7, v6
	s_andn2_b64 exec, exec, s[16:17]
	s_cbranch_execnz .LBB74_96
; %bb.97:
	s_or_b64 exec, exec, s[16:17]
                                        ; implicit-def: $vgpr4
                                        ; implicit-def: $vgpr1
.LBB74_98:
	s_andn2_saveexec_b64 s[2:3], s[2:3]
; %bb.99:
	v_subrev_u32_e32 v4, s33, v4
	v_mov_b32_e32 v5, 0x1000
	v_lshl_add_u32 v4, v4, 2, v5
	ds_add_f32 v4, v1
.LBB74_100:
	s_or_b64 exec, exec, s[14:15]
	s_and_b64 vcc, exec, s[0:1]
	v_mov_b32_e32 v1, s22
	v_mov_b32_e32 v4, s26
	s_cbranch_vccnz .LBB74_104
; %bb.101:
	s_mov_b64 s[2:3], 0
	v_mov_b32_e32 v1, s22
	v_mov_b32_e32 v4, s26
	;; [unrolled: 1-line block ×3, first 2 shown]
.LBB74_102:                             ; =>This Inner Loop Header: Depth=1
	v_add_u32_e32 v6, v4, v1
	v_lshrrev_b32_e32 v7, 31, v6
	v_add_u32_e32 v6, v6, v7
	v_ashrrev_i32_e32 v6, 1, v6
	v_ashrrev_i32_e32 v7, 31, v6
	v_lshlrev_b64 v[10:11], 2, v[6:7]
	v_add_co_u32_e32 v10, vcc, s12, v10
	v_addc_co_u32_e32 v11, vcc, v5, v11, vcc
	global_load_dword v7, v[10:11], off
	s_waitcnt vmcnt(0)
	v_subrev_u32_e32 v7, s24, v7
	v_cmp_lt_i32_e32 vcc, v9, v7
	v_cndmask_b32_e32 v4, v4, v6, vcc
	v_cndmask_b32_e32 v1, v6, v1, vcc
	v_add_u32_e32 v6, -1, v4
	v_cmp_ge_i32_e32 vcc, v1, v4
	v_cmp_eq_u32_e64 s[0:1], v1, v6
	s_or_b64 s[0:1], vcc, s[0:1]
	s_and_b64 s[0:1], exec, s[0:1]
	s_or_b64 s[2:3], s[0:1], s[2:3]
	s_andn2_b64 exec, exec, s[2:3]
	s_cbranch_execnz .LBB74_102
; %bb.103:
	s_or_b64 exec, exec, s[2:3]
.LBB74_104:
	v_ashrrev_i32_e32 v5, 31, v4
	v_lshlrev_b64 v[5:6], 2, v[4:5]
	v_mov_b32_e32 v7, s13
	v_add_co_u32_e32 v5, vcc, s12, v5
	v_addc_co_u32_e32 v6, vcc, v7, v6, vcc
	global_load_dword v7, v[5:6], off
	global_load_dword v10, v[2:3], off offset:3072
	s_waitcnt vmcnt(1)
	v_subrev_u32_e32 v2, s24, v7
	v_cmp_lt_i32_e32 vcc, v9, v2
	v_cndmask_b32_e32 v2, v4, v1, vcc
	s_waitcnt vmcnt(0)
	v_subrev_u32_e32 v1, s24, v10
	v_cmp_ne_u32_e32 vcc, v1, v2
	s_and_saveexec_b64 s[2:3], vcc
	s_cbranch_execz .LBB74_112
; %bb.105:
	s_load_dword s0, s[10:11], 0x0
	s_waitcnt lgkmcnt(0)
	s_sub_i32 s0, s0, s24
	v_cmp_gt_i32_e32 vcc, s0, v9
	s_and_b64 exec, exec, vcc
	s_cbranch_execz .LBB74_112
; %bb.106:
	v_ashrrev_i32_e32 v3, 31, v2
	v_lshlrev_b64 v[2:3], 1, v[2:3]
	v_mov_b32_e32 v4, s19
	v_add_co_u32_e32 v2, vcc, s18, v2
	v_addc_co_u32_e32 v3, vcc, v4, v3, vcc
	global_load_ushort v2, v[2:3], off
	ds_read_b32 v3, v8 offset:3072
	v_cmp_gt_i32_e32 vcc, s33, v1
	v_cmp_le_i32_e64 s[0:1], s23, v1
	s_or_b64 s[0:1], vcc, s[0:1]
	s_waitcnt vmcnt(0)
	v_lshlrev_b32_e32 v2, 16, v2
	s_waitcnt lgkmcnt(0)
	v_mul_f32_e32 v5, v3, v2
	s_and_saveexec_b64 s[10:11], s[0:1]
	s_xor_b64 s[0:1], exec, s[10:11]
	s_cbranch_execz .LBB74_110
; %bb.107:
	v_ashrrev_i32_e32 v2, 31, v1
	v_lshlrev_b64 v[1:2], 2, v[1:2]
	v_mov_b32_e32 v3, s21
	v_add_co_u32_e32 v1, vcc, s20, v1
	v_addc_co_u32_e32 v2, vcc, v3, v2, vcc
	global_load_dword v4, v[1:2], off
	s_mov_b64 s[10:11], 0
.LBB74_108:                             ; =>This Inner Loop Header: Depth=1
	s_waitcnt vmcnt(0)
	v_add_f32_e32 v3, v4, v5
	global_atomic_cmpswap v3, v[1:2], v[3:4], off glc
	s_waitcnt vmcnt(0)
	v_cmp_eq_u32_e32 vcc, v3, v4
	s_or_b64 s[10:11], vcc, s[10:11]
	v_mov_b32_e32 v4, v3
	s_andn2_b64 exec, exec, s[10:11]
	s_cbranch_execnz .LBB74_108
; %bb.109:
	s_or_b64 exec, exec, s[10:11]
                                        ; implicit-def: $vgpr1
                                        ; implicit-def: $vgpr5
.LBB74_110:
	s_andn2_saveexec_b64 s[0:1], s[0:1]
; %bb.111:
	v_subrev_u32_e32 v1, s33, v1
	v_mov_b32_e32 v2, 0x1000
	v_lshl_add_u32 v1, v1, 2, v2
	ds_add_f32 v1, v5
.LBB74_112:
	s_or_b64 exec, exec, s[2:3]
.LBB74_113:
	s_or_b64 exec, exec, s[4:5]
	s_min_i32 s9, s23, s9
	s_sub_i32 s10, s9, s25
	v_cmp_gt_i32_e32 vcc, s10, v0
	s_waitcnt lgkmcnt(0)
	s_barrier
	s_and_saveexec_b64 s[0:1], vcc
	s_cbranch_execz .LBB74_118
; %bb.114:
	s_mov_b64 s[2:3], 0
	v_mov_b32_e32 v5, s21
	v_mov_b32_e32 v6, 0x1000
	;; [unrolled: 1-line block ×3, first 2 shown]
.LBB74_115:                             ; =>This Loop Header: Depth=1
                                        ;     Child Loop BB74_116 Depth 2
	v_add_u32_e32 v1, s33, v7
	v_ashrrev_i32_e32 v2, 31, v1
	v_lshlrev_b64 v[1:2], 2, v[1:2]
	v_lshl_add_u32 v3, v7, 2, v6
	v_add_co_u32_e32 v1, vcc, s20, v1
	v_addc_co_u32_e32 v2, vcc, v5, v2, vcc
	global_load_dword v4, v[1:2], off
	ds_read_b32 v9, v3
	s_mov_b64 s[4:5], 0
.LBB74_116:                             ;   Parent Loop BB74_115 Depth=1
                                        ; =>  This Inner Loop Header: Depth=2
	s_waitcnt vmcnt(0) lgkmcnt(0)
	v_add_f32_e32 v3, v4, v9
	global_atomic_cmpswap v3, v[1:2], v[3:4], off glc
	s_waitcnt vmcnt(0)
	v_cmp_eq_u32_e32 vcc, v3, v4
	s_or_b64 s[4:5], vcc, s[4:5]
	v_mov_b32_e32 v4, v3
	s_andn2_b64 exec, exec, s[4:5]
	s_cbranch_execnz .LBB74_116
; %bb.117:                              ;   in Loop: Header=BB74_115 Depth=1
	s_or_b64 exec, exec, s[4:5]
	v_add_u32_e32 v7, 0x100, v7
	v_cmp_le_i32_e32 vcc, s10, v7
	s_or_b64 s[2:3], vcc, s[2:3]
	s_andn2_b64 exec, exec, s[2:3]
	s_cbranch_execnz .LBB74_115
.LBB74_118:
	s_or_b64 exec, exec, s[0:1]
	s_mul_i32 s0, s8, s25
	s_sub_i32 s0, s31, s0
	s_add_i32 s1, s8, 1
	s_sub_i32 s2, s0, s25
	s_cmp_ge_u32 s0, s25
	s_cselect_b32 s1, s1, s8
	s_cselect_b32 s0, s2, s0
	s_add_i32 s2, s1, 1
	s_cmp_ge_u32 s0, s25
	s_cselect_b32 s0, s2, s1
	s_add_i32 s0, s0, -1
	s_ashr_i32 s1, s0, 1
	s_or_b32 s0, s1, s0
	s_ashr_i32 s1, s0, 2
	s_or_b32 s0, s1, s0
	;; [unrolled: 2-line block ×5, first 2 shown]
	s_add_i32 s0, s0, 1
	s_ashr_i32 s11, s0, 1
	v_add_u32_e32 v1, s22, v0
	s_cmp_gt_i32 s11, 1
	s_mov_b64 s[0:1], -1
	s_barrier
	s_cbranch_scc1 .LBB74_129
; %bb.119:
	v_cmp_gt_i32_e32 vcc, s23, v1
	s_and_saveexec_b64 s[0:1], vcc
	s_cbranch_execz .LBB74_128
; %bb.120:
	s_sub_i32 s2, s9, s23
	s_lshl_b32 s2, s2, 2
	s_add_i32 s14, s2, 0x1000
	s_lshl_b32 s2, s30, 2
	s_sub_i32 s15, 0, s2
	s_mov_b64 s[2:3], 0
	v_mov_b32_e32 v7, s13
	v_mov_b32_e32 v9, s21
	v_mov_b32_e32 v2, v1
.LBB74_121:                             ; =>This Loop Header: Depth=1
                                        ;     Child Loop BB74_123 Depth 2
                                        ;     Child Loop BB74_126 Depth 2
	v_ashrrev_i32_e32 v3, 31, v2
	v_lshlrev_b64 v[3:4], 2, v[2:3]
	v_mov_b32_e32 v10, 0
	v_add_co_u32_e32 v5, vcc, s12, v3
	v_addc_co_u32_e32 v6, vcc, v7, v4, vcc
	global_load_dwordx2 v[5:6], v[5:6], off
	s_waitcnt vmcnt(0)
	v_cmp_lt_i32_e32 vcc, v5, v6
	s_and_saveexec_b64 s[4:5], vcc
	s_cbranch_execz .LBB74_125
; %bb.122:                              ;   in Loop: Header=BB74_121 Depth=1
	v_subrev_u32_e32 v6, s30, v6
	v_subrev_u32_e32 v11, s30, v5
	v_lshl_add_u32 v5, v5, 2, s15
	v_mov_b32_e32 v10, 0
	s_mov_b64 s[8:9], 0
.LBB74_123:                             ;   Parent Loop BB74_121 Depth=1
                                        ; =>  This Inner Loop Header: Depth=2
	ds_read_b32 v12, v5
	v_add_u32_e32 v11, 1, v11
	v_cmp_ge_i32_e32 vcc, v11, v6
	v_add_u32_e32 v5, 4, v5
	s_or_b64 s[8:9], vcc, s[8:9]
	s_waitcnt lgkmcnt(0)
	v_add_f32_e32 v10, v10, v12
	s_andn2_b64 exec, exec, s[8:9]
	s_cbranch_execnz .LBB74_123
; %bb.124:                              ;   in Loop: Header=BB74_121 Depth=1
	s_or_b64 exec, exec, s[8:9]
.LBB74_125:                             ;   in Loop: Header=BB74_121 Depth=1
	s_or_b64 exec, exec, s[4:5]
	v_add_co_u32_e32 v3, vcc, s20, v3
	v_addc_co_u32_e32 v4, vcc, v9, v4, vcc
	global_load_dword v6, v[3:4], off
	v_lshl_add_u32 v5, v2, 2, s14
	ds_read_b32 v5, v5
	s_mov_b64 s[4:5], 0
	s_waitcnt lgkmcnt(0)
	v_add_f32_e32 v10, v10, v5
.LBB74_126:                             ;   Parent Loop BB74_121 Depth=1
                                        ; =>  This Inner Loop Header: Depth=2
	s_waitcnt vmcnt(0)
	v_add_f32_e32 v5, v6, v10
	global_atomic_cmpswap v5, v[3:4], v[5:6], off glc
	s_waitcnt vmcnt(0)
	v_cmp_eq_u32_e32 vcc, v5, v6
	s_or_b64 s[4:5], vcc, s[4:5]
	v_mov_b32_e32 v6, v5
	s_andn2_b64 exec, exec, s[4:5]
	s_cbranch_execnz .LBB74_126
; %bb.127:                              ;   in Loop: Header=BB74_121 Depth=1
	s_or_b64 exec, exec, s[4:5]
	v_add_u32_e32 v2, s31, v2
	v_cmp_le_i32_e32 vcc, s23, v2
	s_or_b64 s[2:3], vcc, s[2:3]
	s_andn2_b64 exec, exec, s[2:3]
	s_cbranch_execnz .LBB74_121
.LBB74_128:
	s_or_b64 exec, exec, s[0:1]
	s_mov_b64 s[0:1], 0
.LBB74_129:
	s_andn2_b64 vcc, exec, s[0:1]
	s_cbranch_vccnz .LBB74_143
; %bb.130:
	v_cvt_f32_u32_e32 v2, s11
	s_sub_i32 s0, 0, s11
	v_rcp_iflag_f32_e32 v2, v2
	v_mul_f32_e32 v2, 0x4f7ffffe, v2
	v_cvt_u32_f32_e32 v2, v2
	v_mul_lo_u32 v3, s0, v2
	v_mul_hi_u32 v3, v2, v3
	v_add_u32_e32 v2, v2, v3
	v_mul_hi_u32 v2, v0, v2
	v_mul_lo_u32 v3, v2, s11
	v_add_u32_e32 v4, 1, v2
	v_sub_u32_e32 v3, v0, v3
	v_cmp_le_u32_e32 vcc, s11, v3
	v_cndmask_b32_e32 v2, v2, v4, vcc
	v_subrev_u32_e32 v4, s11, v3
	v_cndmask_b32_e32 v3, v3, v4, vcc
	v_add_u32_e32 v4, 1, v2
	v_cmp_le_u32_e32 vcc, s11, v3
	v_cndmask_b32_e32 v4, v2, v4, vcc
	v_lshlrev_b32_e32 v2, 2, v4
	global_load_dwordx2 v[2:3], v2, s[6:7]
	v_cmp_gt_i32_e32 vcc, s25, v4
	v_mov_b32_e32 v4, 0
	s_and_saveexec_b64 s[0:1], vcc
	s_cbranch_execz .LBB74_138
; %bb.131:
	s_abs_i32 s4, s11
	v_cvt_f32_u32_e32 v4, s4
	s_sub_i32 s2, 0, s4
	s_waitcnt vmcnt(0)
	v_subrev_u32_e32 v5, s30, v3
	v_subrev_u32_e32 v2, s30, v2
	v_rcp_iflag_f32_e32 v4, v4
	v_sub_u32_e32 v9, v5, v2
	s_ashr_i32 s5, s11, 31
	v_mul_f32_e32 v4, 0x4f7ffffe, v4
	v_cvt_u32_f32_e32 v4, v4
	v_mul_lo_u32 v6, s2, v4
	v_mul_hi_u32 v3, v4, v6
	v_sub_u32_e32 v6, 0, v9
	v_max_i32_e32 v10, v9, v6
	v_ashrrev_i32_e32 v9, 31, v9
	v_add_u32_e32 v3, v4, v3
	v_mad_u64_u32 v[6:7], s[2:3], v10, v3, 0
	v_xor_b32_e32 v9, s5, v9
	s_add_i32 s2, s11, -1
	v_mul_lo_u32 v3, v7, s4
	v_add_u32_e32 v11, 1, v7
	v_and_b32_e32 v6, s2, v0
	v_mov_b32_e32 v4, 0
	v_sub_u32_e32 v3, v10, v3
	v_cmp_le_u32_e32 vcc, s4, v3
	v_subrev_u32_e32 v10, s4, v3
	v_cndmask_b32_e32 v7, v7, v11, vcc
	v_cndmask_b32_e32 v3, v3, v10, vcc
	v_add_u32_e32 v10, 1, v7
	v_cmp_le_u32_e32 vcc, s4, v3
	v_cndmask_b32_e32 v3, v7, v10, vcc
	v_xor_b32_e32 v3, v3, v9
	v_sub_u32_e32 v3, v3, v9
	v_cmp_lt_i32_e32 vcc, 0, v3
	v_lshlrev_b32_e32 v7, 2, v6
	s_and_saveexec_b64 s[2:3], vcc
	s_cbranch_execz .LBB74_135
; %bb.132:
	v_lshl_add_u32 v9, v2, 2, v7
	s_lshl_b32 s6, s11, 2
	v_mov_b32_e32 v4, 0
	s_mov_b64 s[4:5], 0
	v_mov_b32_e32 v10, v3
.LBB74_133:                             ; =>This Inner Loop Header: Depth=1
	ds_read_b32 v11, v9
	v_add_u32_e32 v10, -1, v10
	v_cmp_eq_u32_e32 vcc, 0, v10
	v_add_u32_e32 v9, s6, v9
	s_or_b64 s[4:5], vcc, s[4:5]
	s_waitcnt lgkmcnt(0)
	v_add_f32_e32 v4, v4, v11
	s_andn2_b64 exec, exec, s[4:5]
	s_cbranch_execnz .LBB74_133
; %bb.134:
	s_or_b64 exec, exec, s[4:5]
.LBB74_135:
	s_or_b64 exec, exec, s[2:3]
	v_mad_u64_u32 v[2:3], s[2:3], v3, s11, v[2:3]
	v_sub_u32_e32 v3, v5, v2
	v_cmp_lt_i32_e32 vcc, v6, v3
	s_and_saveexec_b64 s[2:3], vcc
	s_cbranch_execz .LBB74_137
; %bb.136:
	v_lshl_add_u32 v2, v2, 2, v7
	ds_read_b32 v2, v2
	s_waitcnt lgkmcnt(0)
	v_add_f32_e32 v4, v4, v2
.LBB74_137:
	s_or_b64 exec, exec, s[2:3]
.LBB74_138:
	s_or_b64 exec, exec, s[0:1]
	v_cmp_gt_i32_e32 vcc, s25, v0
	s_waitcnt vmcnt(0)
	s_barrier
	ds_write_b32 v8, v4
	s_waitcnt lgkmcnt(0)
	s_barrier
	s_and_saveexec_b64 s[0:1], vcc
	s_cbranch_execz .LBB74_143
; %bb.139:
	v_mul_lo_u32 v2, s11, v0
	v_mov_b32_e32 v3, 0
	v_lshlrev_b32_e32 v2, 2, v2
.LBB74_140:                             ; =>This Inner Loop Header: Depth=1
	ds_read_b32 v4, v2
	s_add_i32 s11, s11, -1
	v_add_u32_e32 v2, 4, v2
	s_cmp_eq_u32 s11, 0
	s_waitcnt lgkmcnt(0)
	v_add_f32_e32 v3, v3, v4
	s_cbranch_scc0 .LBB74_140
; %bb.141:
	v_ashrrev_i32_e32 v2, 31, v1
	v_lshlrev_b64 v[1:2], 2, v[1:2]
	v_mov_b32_e32 v4, s21
	v_add_co_u32_e32 v1, vcc, s20, v1
	v_addc_co_u32_e32 v2, vcc, v4, v2, vcc
	global_load_dword v4, v[1:2], off
	s_lshl_b32 s0, s10, 2
	s_addk_i32 s0, 0x1000
	v_lshl_add_u32 v0, v0, 2, s0
	ds_read_b32 v0, v0
	s_mov_b64 s[0:1], 0
	s_waitcnt lgkmcnt(0)
	v_add_f32_e32 v0, v3, v0
.LBB74_142:                             ; =>This Inner Loop Header: Depth=1
	s_waitcnt vmcnt(0)
	v_add_f32_e32 v3, v4, v0
	global_atomic_cmpswap v3, v[1:2], v[3:4], off glc
	s_waitcnt vmcnt(0)
	v_cmp_eq_u32_e32 vcc, v3, v4
	s_or_b64 s[0:1], vcc, s[0:1]
	v_mov_b32_e32 v4, v3
	s_andn2_b64 exec, exec, s[0:1]
	s_cbranch_execnz .LBB74_142
.LBB74_143:
	s_endpgm
	.section	.rodata,"a",@progbits
	.p2align	6, 0x0
	.amdhsa_kernel _ZN9rocsparseL27csrmvn_symm_adaptive_kernelIii18rocsparse_bfloat16S1_ffEEvbT_S2_PKS2_NS_24const_host_device_scalarIT4_EES4_PKT0_PKT1_PKT2_S7_PT3_21rocsparse_index_base_b
		.amdhsa_group_segment_fixed_size 4096
		.amdhsa_private_segment_fixed_size 0
		.amdhsa_kernarg_size 344
		.amdhsa_user_sgpr_count 6
		.amdhsa_user_sgpr_private_segment_buffer 1
		.amdhsa_user_sgpr_dispatch_ptr 0
		.amdhsa_user_sgpr_queue_ptr 0
		.amdhsa_user_sgpr_kernarg_segment_ptr 1
		.amdhsa_user_sgpr_dispatch_id 0
		.amdhsa_user_sgpr_flat_scratch_init 0
		.amdhsa_user_sgpr_private_segment_size 0
		.amdhsa_uses_dynamic_stack 0
		.amdhsa_system_sgpr_private_segment_wavefront_offset 0
		.amdhsa_system_sgpr_workgroup_id_x 1
		.amdhsa_system_sgpr_workgroup_id_y 0
		.amdhsa_system_sgpr_workgroup_id_z 0
		.amdhsa_system_sgpr_workgroup_info 0
		.amdhsa_system_vgpr_workitem_id 0
		.amdhsa_next_free_vgpr 14
		.amdhsa_next_free_sgpr 38
		.amdhsa_reserve_vcc 1
		.amdhsa_reserve_flat_scratch 0
		.amdhsa_float_round_mode_32 0
		.amdhsa_float_round_mode_16_64 0
		.amdhsa_float_denorm_mode_32 3
		.amdhsa_float_denorm_mode_16_64 3
		.amdhsa_dx10_clamp 1
		.amdhsa_ieee_mode 1
		.amdhsa_fp16_overflow 0
		.amdhsa_exception_fp_ieee_invalid_op 0
		.amdhsa_exception_fp_denorm_src 0
		.amdhsa_exception_fp_ieee_div_zero 0
		.amdhsa_exception_fp_ieee_overflow 0
		.amdhsa_exception_fp_ieee_underflow 0
		.amdhsa_exception_fp_ieee_inexact 0
		.amdhsa_exception_int_div_zero 0
	.end_amdhsa_kernel
	.section	.text._ZN9rocsparseL27csrmvn_symm_adaptive_kernelIii18rocsparse_bfloat16S1_ffEEvbT_S2_PKS2_NS_24const_host_device_scalarIT4_EES4_PKT0_PKT1_PKT2_S7_PT3_21rocsparse_index_base_b,"axG",@progbits,_ZN9rocsparseL27csrmvn_symm_adaptive_kernelIii18rocsparse_bfloat16S1_ffEEvbT_S2_PKS2_NS_24const_host_device_scalarIT4_EES4_PKT0_PKT1_PKT2_S7_PT3_21rocsparse_index_base_b,comdat
.Lfunc_end74:
	.size	_ZN9rocsparseL27csrmvn_symm_adaptive_kernelIii18rocsparse_bfloat16S1_ffEEvbT_S2_PKS2_NS_24const_host_device_scalarIT4_EES4_PKT0_PKT1_PKT2_S7_PT3_21rocsparse_index_base_b, .Lfunc_end74-_ZN9rocsparseL27csrmvn_symm_adaptive_kernelIii18rocsparse_bfloat16S1_ffEEvbT_S2_PKS2_NS_24const_host_device_scalarIT4_EES4_PKT0_PKT1_PKT2_S7_PT3_21rocsparse_index_base_b
                                        ; -- End function
	.set _ZN9rocsparseL27csrmvn_symm_adaptive_kernelIii18rocsparse_bfloat16S1_ffEEvbT_S2_PKS2_NS_24const_host_device_scalarIT4_EES4_PKT0_PKT1_PKT2_S7_PT3_21rocsparse_index_base_b.num_vgpr, 14
	.set _ZN9rocsparseL27csrmvn_symm_adaptive_kernelIii18rocsparse_bfloat16S1_ffEEvbT_S2_PKS2_NS_24const_host_device_scalarIT4_EES4_PKT0_PKT1_PKT2_S7_PT3_21rocsparse_index_base_b.num_agpr, 0
	.set _ZN9rocsparseL27csrmvn_symm_adaptive_kernelIii18rocsparse_bfloat16S1_ffEEvbT_S2_PKS2_NS_24const_host_device_scalarIT4_EES4_PKT0_PKT1_PKT2_S7_PT3_21rocsparse_index_base_b.numbered_sgpr, 38
	.set _ZN9rocsparseL27csrmvn_symm_adaptive_kernelIii18rocsparse_bfloat16S1_ffEEvbT_S2_PKS2_NS_24const_host_device_scalarIT4_EES4_PKT0_PKT1_PKT2_S7_PT3_21rocsparse_index_base_b.num_named_barrier, 0
	.set _ZN9rocsparseL27csrmvn_symm_adaptive_kernelIii18rocsparse_bfloat16S1_ffEEvbT_S2_PKS2_NS_24const_host_device_scalarIT4_EES4_PKT0_PKT1_PKT2_S7_PT3_21rocsparse_index_base_b.private_seg_size, 0
	.set _ZN9rocsparseL27csrmvn_symm_adaptive_kernelIii18rocsparse_bfloat16S1_ffEEvbT_S2_PKS2_NS_24const_host_device_scalarIT4_EES4_PKT0_PKT1_PKT2_S7_PT3_21rocsparse_index_base_b.uses_vcc, 1
	.set _ZN9rocsparseL27csrmvn_symm_adaptive_kernelIii18rocsparse_bfloat16S1_ffEEvbT_S2_PKS2_NS_24const_host_device_scalarIT4_EES4_PKT0_PKT1_PKT2_S7_PT3_21rocsparse_index_base_b.uses_flat_scratch, 0
	.set _ZN9rocsparseL27csrmvn_symm_adaptive_kernelIii18rocsparse_bfloat16S1_ffEEvbT_S2_PKS2_NS_24const_host_device_scalarIT4_EES4_PKT0_PKT1_PKT2_S7_PT3_21rocsparse_index_base_b.has_dyn_sized_stack, 0
	.set _ZN9rocsparseL27csrmvn_symm_adaptive_kernelIii18rocsparse_bfloat16S1_ffEEvbT_S2_PKS2_NS_24const_host_device_scalarIT4_EES4_PKT0_PKT1_PKT2_S7_PT3_21rocsparse_index_base_b.has_recursion, 0
	.set _ZN9rocsparseL27csrmvn_symm_adaptive_kernelIii18rocsparse_bfloat16S1_ffEEvbT_S2_PKS2_NS_24const_host_device_scalarIT4_EES4_PKT0_PKT1_PKT2_S7_PT3_21rocsparse_index_base_b.has_indirect_call, 0
	.section	.AMDGPU.csdata,"",@progbits
; Kernel info:
; codeLenInByte = 5772
; TotalNumSgprs: 42
; NumVgprs: 14
; ScratchSize: 0
; MemoryBound: 0
; FloatMode: 240
; IeeeMode: 1
; LDSByteSize: 4096 bytes/workgroup (compile time only)
; SGPRBlocks: 5
; VGPRBlocks: 3
; NumSGPRsForWavesPerEU: 42
; NumVGPRsForWavesPerEU: 14
; Occupancy: 10
; WaveLimiterHint : 1
; COMPUTE_PGM_RSRC2:SCRATCH_EN: 0
; COMPUTE_PGM_RSRC2:USER_SGPR: 6
; COMPUTE_PGM_RSRC2:TRAP_HANDLER: 0
; COMPUTE_PGM_RSRC2:TGID_X_EN: 1
; COMPUTE_PGM_RSRC2:TGID_Y_EN: 0
; COMPUTE_PGM_RSRC2:TGID_Z_EN: 0
; COMPUTE_PGM_RSRC2:TIDIG_COMP_CNT: 0
	.section	.text._ZL33csrmvn_symm_large_adaptive_kernelIii18rocsparse_bfloat16S0_ffEvbT_PKS1_N9rocsparse24const_host_device_scalarIT4_EES3_PKT0_PKT1_PKT2_S7_PT3_21rocsparse_index_base_b,"axG",@progbits,_ZL33csrmvn_symm_large_adaptive_kernelIii18rocsparse_bfloat16S0_ffEvbT_PKS1_N9rocsparse24const_host_device_scalarIT4_EES3_PKT0_PKT1_PKT2_S7_PT3_21rocsparse_index_base_b,comdat
	.globl	_ZL33csrmvn_symm_large_adaptive_kernelIii18rocsparse_bfloat16S0_ffEvbT_PKS1_N9rocsparse24const_host_device_scalarIT4_EES3_PKT0_PKT1_PKT2_S7_PT3_21rocsparse_index_base_b ; -- Begin function _ZL33csrmvn_symm_large_adaptive_kernelIii18rocsparse_bfloat16S0_ffEvbT_PKS1_N9rocsparse24const_host_device_scalarIT4_EES3_PKT0_PKT1_PKT2_S7_PT3_21rocsparse_index_base_b
	.p2align	8
	.type	_ZL33csrmvn_symm_large_adaptive_kernelIii18rocsparse_bfloat16S0_ffEvbT_PKS1_N9rocsparse24const_host_device_scalarIT4_EES3_PKT0_PKT1_PKT2_S7_PT3_21rocsparse_index_base_b,@function
_ZL33csrmvn_symm_large_adaptive_kernelIii18rocsparse_bfloat16S0_ffEvbT_PKS1_N9rocsparse24const_host_device_scalarIT4_EES3_PKT0_PKT1_PKT2_S7_PT3_21rocsparse_index_base_b: ; @_ZL33csrmvn_symm_large_adaptive_kernelIii18rocsparse_bfloat16S0_ffEvbT_PKS1_N9rocsparse24const_host_device_scalarIT4_EES3_PKT0_PKT1_PKT2_S7_PT3_21rocsparse_index_base_b
; %bb.0:
	s_load_dwordx2 s[10:11], s[4:5], 0x48
	s_load_dwordx2 s[20:21], s[4:5], 0x10
	;; [unrolled: 1-line block ×3, first 2 shown]
	s_waitcnt lgkmcnt(0)
	s_bitcmp1_b32 s11, 0
	s_cselect_b64 s[8:9], -1, 0
	s_xor_b64 s[2:3], s[8:9], -1
	s_and_b64 vcc, exec, s[8:9]
	s_cbranch_vccnz .LBB75_2
; %bb.1:
	s_load_dword s20, s[20:21], 0x0
.LBB75_2:
	s_andn2_b64 vcc, exec, s[2:3]
	s_cbranch_vccnz .LBB75_4
; %bb.3:
	s_load_dword s0, s[0:1], 0x0
.LBB75_4:
	s_waitcnt lgkmcnt(0)
	v_cmp_neq_f32_e64 s[2:3], s20, 0
	v_cmp_neq_f32_e64 s[0:1], s0, 1.0
	s_or_b64 s[0:1], s[2:3], s[0:1]
	s_andn2_b64 vcc, exec, s[0:1]
	s_cbranch_vccnz .LBB75_34
; %bb.5:
	s_load_dwordx2 s[0:1], s[4:5], 0x8
	s_ashr_i32 s7, s6, 31
	s_lshl_b64 s[2:3], s[6:7], 2
	v_lshlrev_b32_e32 v7, 2, v0
	v_mov_b32_e32 v8, 0
	s_waitcnt lgkmcnt(0)
	s_add_u32 s0, s0, s2
	s_addc_u32 s1, s1, s3
	ds_write2st64_b32 v7, v8, v8 offset1:4
	ds_write2st64_b32 v7, v8, v8 offset0:8 offset1:12
	s_waitcnt lgkmcnt(0)
	s_barrier
	s_load_dwordx2 s[22:23], s[0:1], 0x0
	s_load_dwordx8 s[12:19], s[4:5], 0x18
	s_load_dwordx2 s[24:25], s[4:5], 0x40
	v_subrev_u32_e32 v6, s10, v0
	s_waitcnt lgkmcnt(0)
	s_cmp_ge_i32 s22, s23
	s_cbranch_scc1 .LBB75_24
; %bb.6:
	v_cmp_gt_u32_e64 s[0:1], 64, v0
	v_cmp_gt_u32_e64 s[2:3], 16, v0
	;; [unrolled: 1-line block ×3, first 2 shown]
	v_cmp_eq_u32_e64 s[6:7], 0, v0
	s_mov_b32 s26, s22
	s_branch .LBB75_8
.LBB75_7:                               ;   in Loop: Header=BB75_8 Depth=1
	s_or_b64 exec, exec, s[8:9]
	s_add_i32 s26, s26, 1
	s_cmp_ge_i32 s26, s23
	s_cbranch_scc1 .LBB75_24
.LBB75_8:                               ; =>This Loop Header: Depth=1
                                        ;     Child Loop BB75_10 Depth 2
                                        ;     Child Loop BB75_23 Depth 2
	s_ashr_i32 s27, s26, 31
	s_lshl_b64 s[28:29], s[26:27], 2
	s_add_u32 s8, s12, s28
	s_addc_u32 s9, s13, s29
	s_load_dwordx2 s[30:31], s[8:9], 0x0
	v_mov_b32_e32 v1, 0
	s_waitcnt lgkmcnt(0)
	s_sub_i32 s11, s31, s10
	v_add_u32_e32 v0, s30, v6
	v_cmp_gt_i32_e32 vcc, s11, v0
	s_and_saveexec_b64 s[30:31], vcc
	s_cbranch_execz .LBB75_12
; %bb.9:                                ;   in Loop: Header=BB75_8 Depth=1
	v_ashrrev_i32_e32 v1, 31, v0
	v_lshlrev_b64 v[2:3], 2, v[0:1]
	v_mov_b32_e32 v4, s15
	v_add_co_u32_e32 v2, vcc, s14, v2
	v_addc_co_u32_e32 v3, vcc, v4, v3, vcc
	v_lshlrev_b64 v[4:5], 1, v[0:1]
	v_mov_b32_e32 v1, s17
	v_add_co_u32_e32 v4, vcc, s16, v4
	v_addc_co_u32_e32 v5, vcc, v1, v5, vcc
	v_mov_b32_e32 v1, 0
	s_mov_b64 s[34:35], 0
.LBB75_10:                              ;   Parent Loop BB75_8 Depth=1
                                        ; =>  This Inner Loop Header: Depth=2
	global_load_dword v9, v[2:3], off
	global_load_ushort v11, v[4:5], off
	v_mov_b32_e32 v12, s19
	v_add_u32_e32 v0, 0x100, v0
	v_cmp_le_i32_e64 s[8:9], s11, v0
	s_or_b64 s[34:35], s[8:9], s[34:35]
	s_waitcnt vmcnt(1)
	v_subrev_u32_e32 v9, s10, v9
	v_ashrrev_i32_e32 v10, 31, v9
	v_lshlrev_b64 v[9:10], 1, v[9:10]
	v_add_co_u32_e32 v9, vcc, s18, v9
	v_addc_co_u32_e32 v10, vcc, v12, v10, vcc
	global_load_ushort v9, v[9:10], off
	v_add_co_u32_e32 v2, vcc, 0x400, v2
	v_addc_co_u32_e32 v3, vcc, 0, v3, vcc
	v_add_co_u32_e32 v4, vcc, 0x200, v4
	s_waitcnt vmcnt(1)
	v_lshlrev_b32_e32 v10, 16, v11
	v_addc_co_u32_e32 v5, vcc, 0, v5, vcc
	s_waitcnt vmcnt(0)
	v_lshlrev_b32_e32 v9, 16, v9
	v_fmac_f32_e32 v1, v10, v9
	s_andn2_b64 exec, exec, s[34:35]
	s_cbranch_execnz .LBB75_10
; %bb.11:                               ;   in Loop: Header=BB75_8 Depth=1
	s_or_b64 exec, exec, s[34:35]
.LBB75_12:                              ;   in Loop: Header=BB75_8 Depth=1
	s_or_b64 exec, exec, s[30:31]
	ds_write_b32 v7, v1
	s_waitcnt lgkmcnt(0)
	s_barrier
	ds_read2st64_b32 v[0:1], v7 offset1:4
	ds_read2st64_b32 v[2:3], v7 offset0:8 offset1:12
	s_waitcnt lgkmcnt(0)
	v_add_f32_e32 v1, v1, v2
	v_add_f32_e32 v1, v1, v3
	;; [unrolled: 1-line block ×3, first 2 shown]
	ds_write_b32 v7, v0
	s_waitcnt lgkmcnt(0)
	s_barrier
	s_and_saveexec_b64 s[8:9], s[0:1]
	s_cbranch_execz .LBB75_14
; %bb.13:                               ;   in Loop: Header=BB75_8 Depth=1
	ds_read2st64_b32 v[0:1], v7 offset1:1
	ds_read2st64_b32 v[2:3], v7 offset0:2 offset1:3
	s_waitcnt lgkmcnt(0)
	v_add_f32_e32 v1, v1, v2
	v_add_f32_e32 v1, v1, v3
	;; [unrolled: 1-line block ×3, first 2 shown]
	ds_write_b32 v7, v0
.LBB75_14:                              ;   in Loop: Header=BB75_8 Depth=1
	s_or_b64 exec, exec, s[8:9]
	s_waitcnt lgkmcnt(0)
	s_barrier
	s_and_saveexec_b64 s[8:9], s[2:3]
	s_cbranch_execz .LBB75_16
; %bb.15:                               ;   in Loop: Header=BB75_8 Depth=1
	ds_read2_b32 v[0:1], v7 offset1:16
	ds_read2_b32 v[2:3], v7 offset0:32 offset1:48
	s_waitcnt lgkmcnt(0)
	v_add_f32_e32 v1, v1, v2
	v_add_f32_e32 v1, v1, v3
	;; [unrolled: 1-line block ×3, first 2 shown]
	ds_write_b32 v7, v0
.LBB75_16:                              ;   in Loop: Header=BB75_8 Depth=1
	s_or_b64 exec, exec, s[8:9]
	s_waitcnt lgkmcnt(0)
	s_barrier
	s_and_saveexec_b64 s[8:9], s[4:5]
	s_cbranch_execz .LBB75_18
; %bb.17:                               ;   in Loop: Header=BB75_8 Depth=1
	ds_read2_b32 v[0:1], v7 offset1:4
	ds_read2_b32 v[2:3], v7 offset0:8 offset1:12
	s_waitcnt lgkmcnt(0)
	v_add_f32_e32 v1, v1, v2
	v_add_f32_e32 v1, v1, v3
	;; [unrolled: 1-line block ×3, first 2 shown]
	ds_write_b32 v7, v0
.LBB75_18:                              ;   in Loop: Header=BB75_8 Depth=1
	s_or_b64 exec, exec, s[8:9]
	s_waitcnt lgkmcnt(0)
	s_barrier
	s_and_saveexec_b64 s[8:9], s[6:7]
	s_cbranch_execz .LBB75_20
; %bb.19:                               ;   in Loop: Header=BB75_8 Depth=1
	ds_read2_b32 v[0:1], v8 offset0:1 offset1:2
	ds_read_b32 v2, v8 offset:12
	ds_read_b32 v3, v7
	s_waitcnt lgkmcnt(2)
	v_add_f32_e32 v0, v0, v1
	s_waitcnt lgkmcnt(1)
	v_add_f32_e32 v0, v0, v2
	;; [unrolled: 2-line block ×3, first 2 shown]
	ds_write_b32 v7, v0
.LBB75_20:                              ;   in Loop: Header=BB75_8 Depth=1
	s_or_b64 exec, exec, s[8:9]
	s_waitcnt lgkmcnt(0)
	s_barrier
	s_and_saveexec_b64 s[8:9], s[6:7]
	s_cbranch_execz .LBB75_7
; %bb.21:                               ;   in Loop: Header=BB75_8 Depth=1
	s_mov_b64 s[30:31], exec
	v_mbcnt_lo_u32_b32 v0, s30, 0
	v_mbcnt_hi_u32_b32 v0, s31, v0
	v_cmp_eq_u32_e32 vcc, 0, v0
	s_and_b64 s[34:35], exec, vcc
	s_mov_b64 exec, s[34:35]
	s_cbranch_execz .LBB75_7
; %bb.22:                               ;   in Loop: Header=BB75_8 Depth=1
	s_add_u32 s28, s24, s28
	s_addc_u32 s29, s25, s29
	global_load_dword v1, v8, s[28:29]
	ds_read_b32 v0, v8
	s_bcnt1_i32_b64 s11, s[30:31]
	v_cvt_f32_ubyte0_e32 v2, s11
	s_mov_b64 s[30:31], 0
	s_waitcnt lgkmcnt(0)
	v_mul_f32_e32 v0, s20, v0
	v_mul_f32_e32 v2, v0, v2
.LBB75_23:                              ;   Parent Loop BB75_8 Depth=1
                                        ; =>  This Inner Loop Header: Depth=2
	s_waitcnt vmcnt(0)
	v_add_f32_e32 v0, v1, v2
	global_atomic_cmpswap v0, v8, v[0:1], s[28:29] glc
	s_waitcnt vmcnt(0)
	v_cmp_eq_u32_e32 vcc, v0, v1
	s_or_b64 s[30:31], vcc, s[30:31]
	v_mov_b32_e32 v1, v0
	s_andn2_b64 exec, exec, s[30:31]
	s_cbranch_execnz .LBB75_23
	s_branch .LBB75_7
.LBB75_24:
	s_ashr_i32 s1, s22, 31
	s_mov_b32 s0, s22
	s_lshl_b64 s[0:1], s[0:1], 2
	s_add_u32 s0, s12, s0
	s_addc_u32 s1, s13, s1
	s_ashr_i32 s3, s23, 31
	s_mov_b32 s2, s23
	s_lshl_b64 s[2:3], s[2:3], 2
	s_add_u32 s2, s12, s2
	s_addc_u32 s3, s13, s3
	s_load_dword s4, s[2:3], 0x0
	s_load_dword s5, s[0:1], 0x0
	s_waitcnt lgkmcnt(0)
	s_sub_i32 s8, s4, s10
	v_add_u32_e32 v0, s5, v6
	v_cmp_gt_i32_e32 vcc, s8, v0
	s_and_saveexec_b64 s[0:1], vcc
	s_cbranch_execz .LBB75_34
; %bb.25:
	s_add_i32 s9, s23, -1
	s_cmp_lt_i32 s22, s9
	s_cselect_b64 s[0:1], -1, 0
	s_add_i32 s2, s23, -2
	s_cmp_lg_u32 s22, s2
	s_cselect_b64 s[2:3], -1, 0
	s_and_b64 s[0:1], s[0:1], s[2:3]
	v_cndmask_b32_e64 v1, 0, 1, s[0:1]
	s_mov_b64 s[4:5], 0
	v_cmp_ne_u32_e64 s[0:1], 1, v1
	v_mov_b32_e32 v5, s13
	v_mov_b32_e32 v6, s15
	s_branch .LBB75_27
.LBB75_26:                              ;   in Loop: Header=BB75_27 Depth=1
	s_or_b64 exec, exec, s[2:3]
	v_add_u32_e32 v0, 0x100, v0
	v_cmp_le_i32_e32 vcc, s8, v0
	s_or_b64 s[4:5], vcc, s[4:5]
	s_andn2_b64 exec, exec, s[4:5]
	s_cbranch_execz .LBB75_34
.LBB75_27:                              ; =>This Loop Header: Depth=1
                                        ;     Child Loop BB75_29 Depth 2
                                        ;     Child Loop BB75_33 Depth 2
	s_and_b64 vcc, exec, s[0:1]
	v_mov_b32_e32 v4, s22
	v_mov_b32_e32 v2, s9
	s_cbranch_vccnz .LBB75_31
; %bb.28:                               ;   in Loop: Header=BB75_27 Depth=1
	s_mov_b64 s[6:7], 0
	v_mov_b32_e32 v4, s22
	v_mov_b32_e32 v2, s9
.LBB75_29:                              ;   Parent Loop BB75_27 Depth=1
                                        ; =>  This Inner Loop Header: Depth=2
	v_add_u32_e32 v1, v2, v4
	v_lshrrev_b32_e32 v7, 31, v1
	v_add_u32_e32 v1, v1, v7
	v_ashrrev_i32_e32 v7, 1, v1
	v_ashrrev_i32_e32 v8, 31, v7
	v_lshlrev_b64 v[8:9], 2, v[7:8]
	v_mov_b32_e32 v3, s13
	v_add_co_u32_e32 v8, vcc, s12, v8
	v_addc_co_u32_e32 v9, vcc, v3, v9, vcc
	global_load_dword v1, v[8:9], off
	s_waitcnt vmcnt(0)
	v_subrev_u32_e32 v1, s10, v1
	v_cmp_lt_i32_e32 vcc, v0, v1
	v_cndmask_b32_e32 v2, v2, v7, vcc
	v_cndmask_b32_e32 v4, v7, v4, vcc
	v_add_u32_e32 v1, -1, v2
	v_cmp_ge_i32_e32 vcc, v4, v2
	v_cmp_eq_u32_e64 s[2:3], v4, v1
	s_or_b64 s[2:3], vcc, s[2:3]
	s_and_b64 s[2:3], exec, s[2:3]
	s_or_b64 s[6:7], s[2:3], s[6:7]
	s_andn2_b64 exec, exec, s[6:7]
	s_cbranch_execnz .LBB75_29
; %bb.30:                               ;   in Loop: Header=BB75_27 Depth=1
	s_or_b64 exec, exec, s[6:7]
.LBB75_31:                              ;   in Loop: Header=BB75_27 Depth=1
	v_ashrrev_i32_e32 v3, 31, v2
	v_lshlrev_b64 v[7:8], 2, v[2:3]
	v_ashrrev_i32_e32 v1, 31, v0
	v_add_co_u32_e32 v7, vcc, s12, v7
	v_addc_co_u32_e32 v8, vcc, v5, v8, vcc
	global_load_dword v3, v[7:8], off
	v_lshlrev_b64 v[7:8], 2, v[0:1]
	v_add_co_u32_e32 v7, vcc, s14, v7
	v_addc_co_u32_e32 v8, vcc, v6, v8, vcc
	global_load_dword v7, v[7:8], off
	s_waitcnt vmcnt(1)
	v_subrev_u32_e32 v3, s10, v3
	v_cmp_lt_i32_e32 vcc, v0, v3
	v_cndmask_b32_e32 v2, v2, v4, vcc
	s_waitcnt vmcnt(0)
	v_subrev_u32_e32 v3, s10, v7
	v_cmp_ne_u32_e32 vcc, v3, v2
	s_and_saveexec_b64 s[2:3], vcc
	s_cbranch_execz .LBB75_26
; %bb.32:                               ;   in Loop: Header=BB75_27 Depth=1
	v_ashrrev_i32_e32 v4, 31, v3
	v_lshlrev_b64 v[7:8], 2, v[3:4]
	v_lshlrev_b64 v[3:4], 1, v[0:1]
	v_mov_b32_e32 v1, s17
	v_add_co_u32_e32 v3, vcc, s16, v3
	v_addc_co_u32_e32 v4, vcc, v1, v4, vcc
	global_load_ushort v10, v[3:4], off
	v_ashrrev_i32_e32 v3, 31, v2
	v_lshlrev_b64 v[1:2], 1, v[2:3]
	v_mov_b32_e32 v3, s19
	v_add_co_u32_e32 v1, vcc, s18, v1
	v_addc_co_u32_e32 v2, vcc, v3, v2, vcc
	v_mov_b32_e32 v9, s25
	global_load_ushort v3, v[1:2], off
	v_add_co_u32_e32 v1, vcc, s24, v7
	v_addc_co_u32_e32 v2, vcc, v9, v8, vcc
	global_load_dword v4, v[1:2], off
	s_mov_b64 s[6:7], 0
	s_waitcnt vmcnt(2)
	v_lshlrev_b32_e32 v7, 16, v10
	v_mul_f32_e32 v7, s20, v7
	s_waitcnt vmcnt(1)
	v_lshlrev_b32_e32 v3, 16, v3
	v_mul_f32_e32 v7, v7, v3
.LBB75_33:                              ;   Parent Loop BB75_27 Depth=1
                                        ; =>  This Inner Loop Header: Depth=2
	s_waitcnt vmcnt(0)
	v_add_f32_e32 v3, v4, v7
	global_atomic_cmpswap v3, v[1:2], v[3:4], off glc
	s_waitcnt vmcnt(0)
	v_cmp_eq_u32_e32 vcc, v3, v4
	s_or_b64 s[6:7], vcc, s[6:7]
	v_mov_b32_e32 v4, v3
	s_andn2_b64 exec, exec, s[6:7]
	s_cbranch_execnz .LBB75_33
	s_branch .LBB75_26
.LBB75_34:
	s_endpgm
	.section	.rodata,"a",@progbits
	.p2align	6, 0x0
	.amdhsa_kernel _ZL33csrmvn_symm_large_adaptive_kernelIii18rocsparse_bfloat16S0_ffEvbT_PKS1_N9rocsparse24const_host_device_scalarIT4_EES3_PKT0_PKT1_PKT2_S7_PT3_21rocsparse_index_base_b
		.amdhsa_group_segment_fixed_size 4096
		.amdhsa_private_segment_fixed_size 0
		.amdhsa_kernarg_size 80
		.amdhsa_user_sgpr_count 6
		.amdhsa_user_sgpr_private_segment_buffer 1
		.amdhsa_user_sgpr_dispatch_ptr 0
		.amdhsa_user_sgpr_queue_ptr 0
		.amdhsa_user_sgpr_kernarg_segment_ptr 1
		.amdhsa_user_sgpr_dispatch_id 0
		.amdhsa_user_sgpr_flat_scratch_init 0
		.amdhsa_user_sgpr_private_segment_size 0
		.amdhsa_uses_dynamic_stack 0
		.amdhsa_system_sgpr_private_segment_wavefront_offset 0
		.amdhsa_system_sgpr_workgroup_id_x 1
		.amdhsa_system_sgpr_workgroup_id_y 0
		.amdhsa_system_sgpr_workgroup_id_z 0
		.amdhsa_system_sgpr_workgroup_info 0
		.amdhsa_system_vgpr_workitem_id 0
		.amdhsa_next_free_vgpr 13
		.amdhsa_next_free_sgpr 36
		.amdhsa_reserve_vcc 1
		.amdhsa_reserve_flat_scratch 0
		.amdhsa_float_round_mode_32 0
		.amdhsa_float_round_mode_16_64 0
		.amdhsa_float_denorm_mode_32 3
		.amdhsa_float_denorm_mode_16_64 3
		.amdhsa_dx10_clamp 1
		.amdhsa_ieee_mode 1
		.amdhsa_fp16_overflow 0
		.amdhsa_exception_fp_ieee_invalid_op 0
		.amdhsa_exception_fp_denorm_src 0
		.amdhsa_exception_fp_ieee_div_zero 0
		.amdhsa_exception_fp_ieee_overflow 0
		.amdhsa_exception_fp_ieee_underflow 0
		.amdhsa_exception_fp_ieee_inexact 0
		.amdhsa_exception_int_div_zero 0
	.end_amdhsa_kernel
	.section	.text._ZL33csrmvn_symm_large_adaptive_kernelIii18rocsparse_bfloat16S0_ffEvbT_PKS1_N9rocsparse24const_host_device_scalarIT4_EES3_PKT0_PKT1_PKT2_S7_PT3_21rocsparse_index_base_b,"axG",@progbits,_ZL33csrmvn_symm_large_adaptive_kernelIii18rocsparse_bfloat16S0_ffEvbT_PKS1_N9rocsparse24const_host_device_scalarIT4_EES3_PKT0_PKT1_PKT2_S7_PT3_21rocsparse_index_base_b,comdat
.Lfunc_end75:
	.size	_ZL33csrmvn_symm_large_adaptive_kernelIii18rocsparse_bfloat16S0_ffEvbT_PKS1_N9rocsparse24const_host_device_scalarIT4_EES3_PKT0_PKT1_PKT2_S7_PT3_21rocsparse_index_base_b, .Lfunc_end75-_ZL33csrmvn_symm_large_adaptive_kernelIii18rocsparse_bfloat16S0_ffEvbT_PKS1_N9rocsparse24const_host_device_scalarIT4_EES3_PKT0_PKT1_PKT2_S7_PT3_21rocsparse_index_base_b
                                        ; -- End function
	.set _ZL33csrmvn_symm_large_adaptive_kernelIii18rocsparse_bfloat16S0_ffEvbT_PKS1_N9rocsparse24const_host_device_scalarIT4_EES3_PKT0_PKT1_PKT2_S7_PT3_21rocsparse_index_base_b.num_vgpr, 13
	.set _ZL33csrmvn_symm_large_adaptive_kernelIii18rocsparse_bfloat16S0_ffEvbT_PKS1_N9rocsparse24const_host_device_scalarIT4_EES3_PKT0_PKT1_PKT2_S7_PT3_21rocsparse_index_base_b.num_agpr, 0
	.set _ZL33csrmvn_symm_large_adaptive_kernelIii18rocsparse_bfloat16S0_ffEvbT_PKS1_N9rocsparse24const_host_device_scalarIT4_EES3_PKT0_PKT1_PKT2_S7_PT3_21rocsparse_index_base_b.numbered_sgpr, 36
	.set _ZL33csrmvn_symm_large_adaptive_kernelIii18rocsparse_bfloat16S0_ffEvbT_PKS1_N9rocsparse24const_host_device_scalarIT4_EES3_PKT0_PKT1_PKT2_S7_PT3_21rocsparse_index_base_b.num_named_barrier, 0
	.set _ZL33csrmvn_symm_large_adaptive_kernelIii18rocsparse_bfloat16S0_ffEvbT_PKS1_N9rocsparse24const_host_device_scalarIT4_EES3_PKT0_PKT1_PKT2_S7_PT3_21rocsparse_index_base_b.private_seg_size, 0
	.set _ZL33csrmvn_symm_large_adaptive_kernelIii18rocsparse_bfloat16S0_ffEvbT_PKS1_N9rocsparse24const_host_device_scalarIT4_EES3_PKT0_PKT1_PKT2_S7_PT3_21rocsparse_index_base_b.uses_vcc, 1
	.set _ZL33csrmvn_symm_large_adaptive_kernelIii18rocsparse_bfloat16S0_ffEvbT_PKS1_N9rocsparse24const_host_device_scalarIT4_EES3_PKT0_PKT1_PKT2_S7_PT3_21rocsparse_index_base_b.uses_flat_scratch, 0
	.set _ZL33csrmvn_symm_large_adaptive_kernelIii18rocsparse_bfloat16S0_ffEvbT_PKS1_N9rocsparse24const_host_device_scalarIT4_EES3_PKT0_PKT1_PKT2_S7_PT3_21rocsparse_index_base_b.has_dyn_sized_stack, 0
	.set _ZL33csrmvn_symm_large_adaptive_kernelIii18rocsparse_bfloat16S0_ffEvbT_PKS1_N9rocsparse24const_host_device_scalarIT4_EES3_PKT0_PKT1_PKT2_S7_PT3_21rocsparse_index_base_b.has_recursion, 0
	.set _ZL33csrmvn_symm_large_adaptive_kernelIii18rocsparse_bfloat16S0_ffEvbT_PKS1_N9rocsparse24const_host_device_scalarIT4_EES3_PKT0_PKT1_PKT2_S7_PT3_21rocsparse_index_base_b.has_indirect_call, 0
	.section	.AMDGPU.csdata,"",@progbits
; Kernel info:
; codeLenInByte = 1520
; TotalNumSgprs: 40
; NumVgprs: 13
; ScratchSize: 0
; MemoryBound: 0
; FloatMode: 240
; IeeeMode: 1
; LDSByteSize: 4096 bytes/workgroup (compile time only)
; SGPRBlocks: 4
; VGPRBlocks: 3
; NumSGPRsForWavesPerEU: 40
; NumVGPRsForWavesPerEU: 13
; Occupancy: 10
; WaveLimiterHint : 1
; COMPUTE_PGM_RSRC2:SCRATCH_EN: 0
; COMPUTE_PGM_RSRC2:USER_SGPR: 6
; COMPUTE_PGM_RSRC2:TRAP_HANDLER: 0
; COMPUTE_PGM_RSRC2:TGID_X_EN: 1
; COMPUTE_PGM_RSRC2:TGID_Y_EN: 0
; COMPUTE_PGM_RSRC2:TGID_Z_EN: 0
; COMPUTE_PGM_RSRC2:TIDIG_COMP_CNT: 0
	.section	.text._ZN9rocsparseL22csrmvn_adaptive_kernelIli18rocsparse_bfloat16S1_ffEEvbT_PKS2_PjPKT0_NS_24const_host_device_scalarIT4_EES4_S8_PKT1_PKT2_SB_PT3_21rocsparse_index_base_b,"axG",@progbits,_ZN9rocsparseL22csrmvn_adaptive_kernelIli18rocsparse_bfloat16S1_ffEEvbT_PKS2_PjPKT0_NS_24const_host_device_scalarIT4_EES4_S8_PKT1_PKT2_SB_PT3_21rocsparse_index_base_b,comdat
	.globl	_ZN9rocsparseL22csrmvn_adaptive_kernelIli18rocsparse_bfloat16S1_ffEEvbT_PKS2_PjPKT0_NS_24const_host_device_scalarIT4_EES4_S8_PKT1_PKT2_SB_PT3_21rocsparse_index_base_b ; -- Begin function _ZN9rocsparseL22csrmvn_adaptive_kernelIli18rocsparse_bfloat16S1_ffEEvbT_PKS2_PjPKT0_NS_24const_host_device_scalarIT4_EES4_S8_PKT1_PKT2_SB_PT3_21rocsparse_index_base_b
	.p2align	8
	.type	_ZN9rocsparseL22csrmvn_adaptive_kernelIli18rocsparse_bfloat16S1_ffEEvbT_PKS2_PjPKT0_NS_24const_host_device_scalarIT4_EES4_S8_PKT1_PKT2_SB_PT3_21rocsparse_index_base_b,@function
_ZN9rocsparseL22csrmvn_adaptive_kernelIli18rocsparse_bfloat16S1_ffEEvbT_PKS2_PjPKT0_NS_24const_host_device_scalarIT4_EES4_S8_PKT1_PKT2_SB_PT3_21rocsparse_index_base_b: ; @_ZN9rocsparseL22csrmvn_adaptive_kernelIli18rocsparse_bfloat16S1_ffEEvbT_PKS2_PjPKT0_NS_24const_host_device_scalarIT4_EES4_S8_PKT1_PKT2_SB_PT3_21rocsparse_index_base_b
; %bb.0:
	s_load_dwordx2 s[48:49], s[4:5], 0x60
	s_load_dwordx2 s[46:47], s[4:5], 0x28
	s_load_dwordx2 s[34:35], s[4:5], 0x50
	s_waitcnt lgkmcnt(0)
	s_bitcmp1_b32 s49, 0
	s_cselect_b64 s[2:3], -1, 0
	s_xor_b64 s[0:1], s[2:3], -1
	s_and_b64 vcc, exec, s[2:3]
	s_cbranch_vccnz .LBB76_2
; %bb.1:
	s_load_dword s46, s[46:47], 0x0
.LBB76_2:
	s_andn2_b64 vcc, exec, s[0:1]
	s_cbranch_vccnz .LBB76_4
; %bb.3:
	s_load_dword s34, s[34:35], 0x0
.LBB76_4:
	s_waitcnt lgkmcnt(0)
	v_cmp_neq_f32_e64 s[0:1], s46, 0
	v_cmp_neq_f32_e64 s[2:3], s34, 1.0
	s_or_b64 s[0:1], s[0:1], s[2:3]
	s_andn2_b64 vcc, exec, s[0:1]
	s_cbranch_vccnz .LBB76_116
; %bb.5:
	s_load_dwordx2 s[0:1], s[4:5], 0x10
	s_load_dwordx2 s[8:9], s[4:5], 0x20
	s_ashr_i32 s7, s6, 31
	s_lshl_b64 s[2:3], s[6:7], 3
	s_waitcnt lgkmcnt(0)
	s_add_u32 s0, s0, s2
	s_addc_u32 s1, s1, s3
	s_load_dwordx4 s[36:39], s[0:1], 0x0
	s_load_dwordx2 s[40:41], s[4:5], 0x58
	s_load_dwordx8 s[24:31], s[4:5], 0x30
	s_lshl_b64 s[50:51], s[6:7], 2
	s_waitcnt lgkmcnt(0)
	s_sub_i32 s2, s38, s36
	s_add_u32 s0, s8, s50
	s_addc_u32 s1, s9, s51
	s_lshl_b64 s[8:9], s[36:37], 3
	s_add_u32 s42, s24, s8
	s_addc_u32 s43, s25, s9
	s_load_dword s33, s[0:1], 0x0
	s_load_dwordx2 s[44:45], s[42:43], 0x0
	s_cmp_lt_i32 s2, 2
	s_mov_b64 s[0:1], -1
	s_cbranch_scc0 .LBB76_72
; %bb.6:
	s_cmp_lg_u32 s2, 1
	s_cselect_b64 s[0:1], -1, 0
	s_waitcnt lgkmcnt(0)
	s_cmp_lg_u32 s33, 0
	s_cselect_b64 s[2:3], -1, 0
	s_or_b64 s[2:3], s[0:1], s[2:3]
	s_mov_b64 s[0:1], -1
	s_and_b64 vcc, exec, s[2:3]
	s_cbranch_vccnz .LBB76_35
; %bb.7:
	v_mov_b32_e32 v1, s36
	v_mov_b32_e32 v2, s37
	v_cmp_le_i64_e32 vcc, s[38:39], v[1:2]
	s_cbranch_vccnz .LBB76_34
; %bb.8:
	v_subrev_co_u32_e32 v10, vcc, s48, v0
	v_cmp_neq_f32_e64 s[20:21], s34, 0
	v_subb_co_u32_e64 v11, s[0:1], 0, 0, vcc
	v_cndmask_b32_e64 v1, 0, 1, s[20:21]
	s_movk_i32 s0, 0x80
	v_cmp_ne_u32_e64 s[20:21], 1, v1
	v_mov_b32_e32 v1, s38
	v_mov_b32_e32 v9, 0
	v_lshlrev_b32_e32 v12, 2, v0
	v_cmp_gt_u32_e64 s[0:1], s0, v0
	v_cmp_gt_u32_e64 s[2:3], 64, v0
	;; [unrolled: 1-line block ×7, first 2 shown]
	v_cmp_eq_u32_e64 s[18:19], 0, v0
	v_mov_b32_e32 v2, s39
	s_movk_i32 s7, 0x100
	s_mov_b64 s[52:53], s[36:37]
	s_branch .LBB76_11
.LBB76_9:                               ;   in Loop: Header=BB76_11 Depth=1
	s_lshl_b64 s[54:55], s[52:53], 2
	s_add_u32 s54, s40, s54
	s_addc_u32 s55, s41, s55
	s_waitcnt lgkmcnt(0)
	global_store_dword v9, v3, s[54:55]
.LBB76_10:                              ;   in Loop: Header=BB76_11 Depth=1
	s_or_b64 exec, exec, s[22:23]
	s_add_u32 s52, s52, 1
	s_addc_u32 s53, s53, 0
	v_cmp_ge_i64_e32 vcc, s[52:53], v[1:2]
	s_cbranch_vccnz .LBB76_34
.LBB76_11:                              ; =>This Loop Header: Depth=1
                                        ;     Child Loop BB76_13 Depth 2
	s_lshl_b64 s[22:23], s[52:53], 3
	s_add_u32 s22, s24, s22
	s_addc_u32 s23, s25, s23
	s_load_dwordx4 s[56:59], s[22:23], 0x0
	v_mov_b32_e32 v13, 0
	s_waitcnt lgkmcnt(0)
	s_sub_u32 s54, s58, s48
	v_mov_b32_e32 v4, s57
	v_add_co_u32_e32 v3, vcc, s56, v10
	s_subb_u32 s55, s59, 0
	v_addc_co_u32_e32 v4, vcc, v4, v11, vcc
	v_cmp_gt_i64_e32 vcc, s[54:55], v[3:4]
	s_and_saveexec_b64 s[56:57], vcc
	s_cbranch_execz .LBB76_15
; %bb.12:                               ;   in Loop: Header=BB76_11 Depth=1
	v_lshlrev_b64 v[5:6], 1, v[3:4]
	v_mov_b32_e32 v7, s29
	v_add_co_u32_e32 v5, vcc, s28, v5
	v_addc_co_u32_e32 v6, vcc, v7, v6, vcc
	v_lshlrev_b64 v[7:8], 2, v[3:4]
	v_mov_b32_e32 v13, s27
	v_add_co_u32_e32 v7, vcc, s26, v7
	v_addc_co_u32_e32 v8, vcc, v13, v8, vcc
	v_mov_b32_e32 v13, 0
	s_mov_b64 s[58:59], 0
.LBB76_13:                              ;   Parent Loop BB76_11 Depth=1
                                        ; =>  This Inner Loop Header: Depth=2
	global_load_dword v14, v[7:8], off
	global_load_ushort v16, v[5:6], off
	v_mov_b32_e32 v17, s31
	s_waitcnt vmcnt(1)
	v_subrev_u32_e32 v14, s48, v14
	v_ashrrev_i32_e32 v15, 31, v14
	v_lshlrev_b64 v[14:15], 1, v[14:15]
	v_add_co_u32_e32 v14, vcc, s30, v14
	v_addc_co_u32_e32 v15, vcc, v17, v15, vcc
	global_load_ushort v14, v[14:15], off
	v_add_co_u32_e32 v3, vcc, s7, v3
	v_addc_co_u32_e32 v4, vcc, 0, v4, vcc
	v_add_co_u32_e32 v5, vcc, 0x200, v5
	v_addc_co_u32_e32 v6, vcc, 0, v6, vcc
	v_cmp_le_i64_e64 s[22:23], s[54:55], v[3:4]
	s_waitcnt vmcnt(1)
	v_lshlrev_b32_e32 v15, 16, v16
	v_add_co_u32_e32 v7, vcc, 0x400, v7
	v_mul_f32_e32 v15, s46, v15
	v_addc_co_u32_e32 v8, vcc, 0, v8, vcc
	s_or_b64 s[58:59], s[22:23], s[58:59]
	s_waitcnt vmcnt(0)
	v_lshlrev_b32_e32 v14, 16, v14
	v_fmac_f32_e32 v13, v15, v14
	s_andn2_b64 exec, exec, s[58:59]
	s_cbranch_execnz .LBB76_13
; %bb.14:                               ;   in Loop: Header=BB76_11 Depth=1
	s_or_b64 exec, exec, s[58:59]
.LBB76_15:                              ;   in Loop: Header=BB76_11 Depth=1
	s_or_b64 exec, exec, s[56:57]
	ds_write_b32 v12, v13
	s_waitcnt vmcnt(0) lgkmcnt(0)
	s_barrier
	s_and_saveexec_b64 s[22:23], s[0:1]
	s_cbranch_execz .LBB76_17
; %bb.16:                               ;   in Loop: Header=BB76_11 Depth=1
	ds_read2st64_b32 v[3:4], v12 offset1:2
	s_waitcnt lgkmcnt(0)
	v_add_f32_e32 v3, v3, v4
	ds_write_b32 v12, v3
.LBB76_17:                              ;   in Loop: Header=BB76_11 Depth=1
	s_or_b64 exec, exec, s[22:23]
	s_waitcnt lgkmcnt(0)
	s_barrier
	s_and_saveexec_b64 s[22:23], s[2:3]
	s_cbranch_execz .LBB76_19
; %bb.18:                               ;   in Loop: Header=BB76_11 Depth=1
	ds_read2st64_b32 v[3:4], v12 offset1:1
	s_waitcnt lgkmcnt(0)
	v_add_f32_e32 v3, v3, v4
	ds_write_b32 v12, v3
.LBB76_19:                              ;   in Loop: Header=BB76_11 Depth=1
	s_or_b64 exec, exec, s[22:23]
	s_waitcnt lgkmcnt(0)
	s_barrier
	s_and_saveexec_b64 s[22:23], s[8:9]
	s_cbranch_execz .LBB76_21
; %bb.20:                               ;   in Loop: Header=BB76_11 Depth=1
	ds_read2_b32 v[3:4], v12 offset1:32
	s_waitcnt lgkmcnt(0)
	v_add_f32_e32 v3, v3, v4
	ds_write_b32 v12, v3
.LBB76_21:                              ;   in Loop: Header=BB76_11 Depth=1
	s_or_b64 exec, exec, s[22:23]
	s_waitcnt lgkmcnt(0)
	s_barrier
	s_and_saveexec_b64 s[22:23], s[10:11]
	s_cbranch_execz .LBB76_23
; %bb.22:                               ;   in Loop: Header=BB76_11 Depth=1
	ds_read2_b32 v[3:4], v12 offset1:16
	s_waitcnt lgkmcnt(0)
	v_add_f32_e32 v3, v3, v4
	ds_write_b32 v12, v3
.LBB76_23:                              ;   in Loop: Header=BB76_11 Depth=1
	;; [unrolled: 11-line block ×5, first 2 shown]
	s_or_b64 exec, exec, s[22:23]
	s_waitcnt lgkmcnt(0)
	s_barrier
	s_and_saveexec_b64 s[22:23], s[18:19]
	s_cbranch_execz .LBB76_31
; %bb.30:                               ;   in Loop: Header=BB76_11 Depth=1
	ds_read_b64 v[3:4], v9
	s_waitcnt lgkmcnt(0)
	v_add_f32_e32 v3, v3, v4
	ds_write_b32 v9, v3
.LBB76_31:                              ;   in Loop: Header=BB76_11 Depth=1
	s_or_b64 exec, exec, s[22:23]
	s_waitcnt lgkmcnt(0)
	s_barrier
	s_and_saveexec_b64 s[22:23], s[18:19]
	s_cbranch_execz .LBB76_10
; %bb.32:                               ;   in Loop: Header=BB76_11 Depth=1
	ds_read_b32 v3, v9
	s_and_b64 vcc, exec, s[20:21]
	s_cbranch_vccnz .LBB76_9
; %bb.33:                               ;   in Loop: Header=BB76_11 Depth=1
	s_lshl_b64 s[54:55], s[52:53], 2
	s_add_u32 s54, s40, s54
	s_addc_u32 s55, s41, s55
	global_load_dword v4, v9, s[54:55]
	s_waitcnt vmcnt(0) lgkmcnt(0)
	v_fmac_f32_e32 v3, s34, v4
	s_branch .LBB76_9
.LBB76_34:
	s_mov_b64 s[0:1], 0
.LBB76_35:
	s_andn2_b64 vcc, exec, s[0:1]
	s_cbranch_vccnz .LBB76_71
; %bb.36:
	s_load_dwordx2 s[8:9], s[4:5], 0x18
	s_sub_i32 s6, s6, s33
	v_mov_b32_e32 v8, 0
	v_or_b32_e32 v1, s33, v0
	v_cmp_eq_u32_e32 vcc, 0, v1
	s_waitcnt lgkmcnt(0)
	s_add_u32 s2, s8, s50
	s_addc_u32 s3, s9, s51
	global_load_dword v7, v8, s[2:3]
	s_and_saveexec_b64 s[0:1], vcc
	s_cbranch_execz .LBB76_40
; %bb.37:
	s_lshl_b64 s[12:13], s[36:37], 2
	s_add_u32 s12, s40, s12
	s_addc_u32 s13, s41, s13
	v_mov_b32_e32 v3, 0
	global_load_dword v1, v3, s[12:13]
	s_mov_b64 s[10:11], exec
	v_mbcnt_lo_u32_b32 v4, s10, 0
	v_mbcnt_hi_u32_b32 v4, s11, v4
	v_add_f32_e64 v2, s34, -1.0
	v_cmp_eq_u32_e32 vcc, 0, v4
	s_waitcnt vmcnt(0) expcnt(0) lgkmcnt(0)
	s_and_saveexec_b64 s[12:13], vcc
	s_cbranch_execz .LBB76_39
; %bb.38:
	s_ashr_i32 s7, s6, 31
	s_lshl_b64 s[14:15], s[6:7], 2
	s_add_u32 s14, s8, s14
	s_addc_u32 s15, s9, s15
	s_bcnt1_i32_b64 s7, s[10:11]
	s_and_b32 s7, s7, 1
	v_mov_b32_e32 v4, s7
	global_atomic_xor v3, v4, s[14:15]
.LBB76_39:
	s_or_b64 exec, exec, s[12:13]
	v_mul_f32_e32 v8, v2, v1
.LBB76_40:
	s_or_b64 exec, exec, s[0:1]
	s_load_dwordx2 s[0:1], s[42:43], 0x8
	s_sub_u32 s11, s44, s48
	s_mul_i32 s7, s33, 0xc00
	s_subb_u32 s12, s45, 0
	s_mul_hi_i32 s10, s33, 0xc00
	s_add_u32 s7, s11, s7
	s_addc_u32 s12, s12, s10
	s_waitcnt lgkmcnt(0)
	s_sub_u32 s0, s0, s48
	v_mov_b32_e32 v2, s12
	v_add_co_u32_e32 v1, vcc, s7, v0
	s_subb_u32 s1, s1, 0
	v_addc_co_u32_e32 v2, vcc, 0, v2, vcc
	v_cmp_gt_i64_e32 vcc, s[0:1], v[1:2]
	s_and_saveexec_b64 s[10:11], vcc
	s_cbranch_execz .LBB76_44
; %bb.41:
	s_add_u32 s14, s7, 0xc00
	v_mov_b32_e32 v4, s1
	s_addc_u32 s15, s12, 0
	v_mov_b32_e32 v3, s0
	v_cmp_lt_i64_e32 vcc, s[14:15], v[3:4]
	v_lshlrev_b64 v[3:4], 1, v[1:2]
	s_and_b64 s[12:13], vcc, exec
	v_mov_b32_e32 v5, s29
	v_add_co_u32_e32 v3, vcc, s28, v3
	v_addc_co_u32_e32 v4, vcc, v5, v4, vcc
	v_lshlrev_b64 v[5:6], 2, v[1:2]
	v_mov_b32_e32 v9, s27
	v_add_co_u32_e32 v5, vcc, s26, v5
	s_cselect_b32 s13, s15, s1
	s_cselect_b32 s12, s14, s0
	v_addc_co_u32_e32 v6, vcc, v9, v6, vcc
	s_mov_b64 s[14:15], 0
	v_mov_b32_e32 v9, s31
	s_movk_i32 s7, 0x100
.LBB76_42:                              ; =>This Inner Loop Header: Depth=1
	global_load_dword v10, v[5:6], off
	global_load_ushort v12, v[3:4], off
	s_waitcnt vmcnt(1)
	v_subrev_u32_e32 v10, s48, v10
	v_ashrrev_i32_e32 v11, 31, v10
	v_lshlrev_b64 v[10:11], 1, v[10:11]
	v_add_co_u32_e32 v10, vcc, s30, v10
	v_addc_co_u32_e32 v11, vcc, v9, v11, vcc
	global_load_ushort v10, v[10:11], off
	v_add_co_u32_e32 v1, vcc, s7, v1
	v_addc_co_u32_e32 v2, vcc, 0, v2, vcc
	v_add_co_u32_e32 v3, vcc, 0x200, v3
	v_addc_co_u32_e32 v4, vcc, 0, v4, vcc
	v_cmp_le_i64_e64 s[0:1], s[12:13], v[1:2]
	s_waitcnt vmcnt(1)
	v_lshlrev_b32_e32 v11, 16, v12
	v_add_co_u32_e32 v5, vcc, 0x400, v5
	v_mul_f32_e32 v11, s46, v11
	v_addc_co_u32_e32 v6, vcc, 0, v6, vcc
	s_or_b64 s[14:15], s[0:1], s[14:15]
	s_waitcnt vmcnt(0)
	v_lshlrev_b32_e32 v10, 16, v10
	v_fmac_f32_e32 v8, v11, v10
	s_andn2_b64 exec, exec, s[14:15]
	s_cbranch_execnz .LBB76_42
; %bb.43:
	s_or_b64 exec, exec, s[14:15]
.LBB76_44:
	s_or_b64 exec, exec, s[10:11]
	s_movk_i32 s0, 0x80
	v_lshlrev_b32_e32 v1, 2, v0
	v_cmp_gt_u32_e32 vcc, s0, v0
	ds_write_b32 v1, v8
	s_waitcnt vmcnt(0) lgkmcnt(0)
	s_barrier
	s_and_saveexec_b64 s[0:1], vcc
	s_cbranch_execz .LBB76_46
; %bb.45:
	ds_read2st64_b32 v[2:3], v1 offset1:2
	s_waitcnt lgkmcnt(0)
	v_add_f32_e32 v2, v2, v3
	ds_write_b32 v1, v2
.LBB76_46:
	s_or_b64 exec, exec, s[0:1]
	v_cmp_gt_u32_e32 vcc, 64, v0
	s_waitcnt lgkmcnt(0)
	s_barrier
	s_and_saveexec_b64 s[0:1], vcc
	s_cbranch_execz .LBB76_48
; %bb.47:
	ds_read2st64_b32 v[2:3], v1 offset1:1
	s_waitcnt lgkmcnt(0)
	v_add_f32_e32 v2, v2, v3
	ds_write_b32 v1, v2
.LBB76_48:
	s_or_b64 exec, exec, s[0:1]
	v_cmp_gt_u32_e32 vcc, 32, v0
	s_waitcnt lgkmcnt(0)
	s_barrier
	s_and_saveexec_b64 s[0:1], vcc
	s_cbranch_execz .LBB76_50
; %bb.49:
	ds_read2_b32 v[2:3], v1 offset1:32
	s_waitcnt lgkmcnt(0)
	v_add_f32_e32 v2, v2, v3
	ds_write_b32 v1, v2
.LBB76_50:
	s_or_b64 exec, exec, s[0:1]
	v_cmp_gt_u32_e32 vcc, 16, v0
	s_waitcnt lgkmcnt(0)
	s_barrier
	s_and_saveexec_b64 s[0:1], vcc
	s_cbranch_execz .LBB76_52
; %bb.51:
	ds_read2_b32 v[2:3], v1 offset1:16
	s_waitcnt lgkmcnt(0)
	v_add_f32_e32 v2, v2, v3
	ds_write_b32 v1, v2
.LBB76_52:
	;; [unrolled: 12-line block ×5, first 2 shown]
	s_or_b64 exec, exec, s[0:1]
	v_cmp_eq_u32_e32 vcc, 0, v0
	s_waitcnt lgkmcnt(0)
	s_barrier
	s_and_saveexec_b64 s[0:1], vcc
	s_cbranch_execz .LBB76_60
; %bb.59:
	v_mov_b32_e32 v3, 0
	ds_read_b64 v[1:2], v3
	s_waitcnt lgkmcnt(0)
	v_add_f32_e32 v1, v1, v2
	ds_write_b32 v3, v1
.LBB76_60:
	s_or_b64 exec, exec, s[0:1]
	s_waitcnt lgkmcnt(0)
	s_barrier
	s_and_saveexec_b64 s[0:1], vcc
	s_cbranch_execz .LBB76_70
; %bb.61:
	s_cmp_eq_u32 s33, 0
	s_cbranch_scc1 .LBB76_67
; %bb.62:
	s_ashr_i32 s7, s6, 31
	s_lshl_b64 s[6:7], s[6:7], 2
	s_add_u32 s6, s8, s6
	s_addc_u32 s7, s9, s7
	v_mov_b32_e32 v1, 0
	s_branch .LBB76_64
.LBB76_63:                              ;   in Loop: Header=BB76_64 Depth=1
	s_or_b64 exec, exec, s[8:9]
	s_waitcnt vmcnt(0)
	v_readfirstlane_b32 s8, v2
	v_cmp_eq_u32_e32 vcc, s8, v7
	s_cbranch_vccz .LBB76_66
.LBB76_64:                              ; =>This Inner Loop Header: Depth=1
	v_mbcnt_lo_u32_b32 v2, exec_lo, 0
	v_mbcnt_hi_u32_b32 v2, exec_hi, v2
	v_cmp_eq_u32_e32 vcc, 0, v2
                                        ; implicit-def: $vgpr2
	s_and_saveexec_b64 s[8:9], vcc
	s_cbranch_execz .LBB76_63
; %bb.65:                               ;   in Loop: Header=BB76_64 Depth=1
	global_load_dword v2, v1, s[6:7] glc
	s_branch .LBB76_63
.LBB76_66:
	v_mov_b32_e32 v1, 0
	global_load_ushort v2, v1, s[2:3]
	s_waitcnt vmcnt(0)
	v_xor_b32_e32 v2, 1, v2
	global_store_short v1, v2, s[2:3]
.LBB76_67:
	s_mov_b64 s[6:7], exec
	v_mbcnt_lo_u32_b32 v1, s6, 0
	v_mbcnt_hi_u32_b32 v1, s7, v1
	v_cmp_eq_u32_e32 vcc, 0, v1
	s_and_b64 s[2:3], exec, vcc
	s_mov_b64 exec, s[2:3]
	s_cbranch_execz .LBB76_70
; %bb.68:
	s_lshl_b64 s[2:3], s[36:37], 2
	s_add_u32 s2, s40, s2
	s_addc_u32 s3, s41, s3
	v_mov_b32_e32 v3, 0
	global_load_dword v2, v3, s[2:3]
	ds_read_b32 v1, v3
	s_bcnt1_i32_b64 s6, s[6:7]
	v_cvt_f32_ubyte0_e32 v4, s6
	s_mov_b64 s[6:7], 0
	s_waitcnt lgkmcnt(0)
	v_mul_f32_e32 v4, v1, v4
.LBB76_69:                              ; =>This Inner Loop Header: Depth=1
	s_waitcnt vmcnt(0)
	v_add_f32_e32 v1, v2, v4
	global_atomic_cmpswap v1, v3, v[1:2], s[2:3] glc
	s_waitcnt vmcnt(0)
	v_cmp_eq_u32_e32 vcc, v1, v2
	s_or_b64 s[6:7], vcc, s[6:7]
	v_mov_b32_e32 v2, v1
	s_andn2_b64 exec, exec, s[6:7]
	s_cbranch_execnz .LBB76_69
.LBB76_70:
	s_or_b64 exec, exec, s[0:1]
.LBB76_71:
	s_mov_b64 s[0:1], 0
.LBB76_72:
	s_andn2_b64 vcc, exec, s[0:1]
	s_cbranch_vccnz .LBB76_116
; %bb.73:
	s_load_dwordx2 s[0:1], s[4:5], 0x8
	v_subrev_co_u32_e32 v1, vcc, s48, v0
	v_subb_co_u32_e64 v2, s[2:3], 0, 0, vcc
	s_waitcnt lgkmcnt(0)
	v_mov_b32_e32 v3, s45
	v_add_co_u32_e32 v1, vcc, s44, v1
	v_addc_co_u32_e32 v2, vcc, v3, v2, vcc
	v_add_co_u32_e32 v3, vcc, 0x300, v1
	v_addc_co_u32_e32 v4, vcc, 0, v2, vcc
	v_cmp_le_i64_e32 vcc, s[0:1], v[3:4]
	s_and_saveexec_b64 s[0:1], vcc
	s_xor_b64 s[2:3], exec, s[0:1]
	s_cbranch_execz .LBB76_78
; %bb.74:
	s_lshl_b64 s[0:1], s[38:39], 3
	s_add_u32 s0, s24, s0
	s_addc_u32 s1, s25, s1
	s_load_dwordx2 s[0:1], s[0:1], 0x0
	s_waitcnt lgkmcnt(0)
	s_sub_u32 s4, s0, s48
	s_subb_u32 s5, s1, 0
	v_cmp_gt_i64_e32 vcc, s[4:5], v[1:2]
	s_and_saveexec_b64 s[6:7], vcc
	s_cbranch_execz .LBB76_77
; %bb.75:
	v_lshlrev_b64 v[3:4], 1, v[1:2]
	v_mov_b32_e32 v5, s29
	v_add_co_u32_e32 v3, vcc, s28, v3
	v_addc_co_u32_e32 v4, vcc, v5, v4, vcc
	v_lshlrev_b64 v[5:6], 2, v[1:2]
	v_mov_b32_e32 v8, s27
	v_add_co_u32_e32 v5, vcc, s26, v5
	v_lshlrev_b32_e32 v7, 2, v0
	v_addc_co_u32_e32 v6, vcc, v8, v6, vcc
	s_mov_b64 s[8:9], 0
	v_mov_b32_e32 v8, s31
	s_movk_i32 s10, 0x100
.LBB76_76:                              ; =>This Inner Loop Header: Depth=1
	global_load_dword v9, v[5:6], off
	global_load_ushort v11, v[3:4], off
	s_waitcnt vmcnt(1)
	v_subrev_u32_e32 v9, s48, v9
	v_ashrrev_i32_e32 v10, 31, v9
	v_lshlrev_b64 v[9:10], 1, v[9:10]
	v_add_co_u32_e32 v9, vcc, s30, v9
	v_addc_co_u32_e32 v10, vcc, v8, v10, vcc
	global_load_ushort v9, v[9:10], off
	v_add_co_u32_e32 v1, vcc, s10, v1
	v_addc_co_u32_e32 v2, vcc, 0, v2, vcc
	v_add_co_u32_e32 v3, vcc, 0x200, v3
	s_waitcnt vmcnt(1)
	v_lshlrev_b32_e32 v10, 16, v11
	v_addc_co_u32_e32 v4, vcc, 0, v4, vcc
	v_cmp_le_i64_e64 s[0:1], s[4:5], v[1:2]
	v_mul_f32_e32 v10, s46, v10
	v_add_co_u32_e32 v5, vcc, 0x400, v5
	v_addc_co_u32_e32 v6, vcc, 0, v6, vcc
	s_or_b64 s[8:9], s[0:1], s[8:9]
	s_waitcnt vmcnt(0)
	v_lshlrev_b32_e32 v9, 16, v9
	v_mul_f32_e32 v9, v10, v9
	ds_write_b32 v7, v9
	v_add_u32_e32 v7, 0x400, v7
	s_andn2_b64 exec, exec, s[8:9]
	s_cbranch_execnz .LBB76_76
.LBB76_77:
	s_or_b64 exec, exec, s[6:7]
                                        ; implicit-def: $vgpr1_vgpr2
.LBB76_78:
	s_or_saveexec_b64 s[0:1], s[2:3]
	v_lshlrev_b32_e32 v7, 2, v0
	s_xor_b64 exec, exec, s[0:1]
	s_cbranch_execz .LBB76_80
; %bb.79:
	v_lshlrev_b64 v[3:4], 2, v[1:2]
	v_mov_b32_e32 v5, s27
	v_add_co_u32_e32 v3, vcc, s26, v3
	v_addc_co_u32_e32 v4, vcc, v5, v4, vcc
	global_load_dword v5, v[3:4], off
	global_load_dword v6, v[3:4], off offset:1024
	global_load_dword v8, v[3:4], off offset:2048
	;; [unrolled: 1-line block ×3, first 2 shown]
	v_lshlrev_b64 v[1:2], 1, v[1:2]
	v_mov_b32_e32 v3, s29
	v_add_co_u32_e32 v1, vcc, s28, v1
	v_addc_co_u32_e32 v2, vcc, v3, v2, vcc
	global_load_ushort v14, v[1:2], off
	global_load_ushort v15, v[1:2], off offset:512
	global_load_ushort v16, v[1:2], off offset:1024
	;; [unrolled: 1-line block ×3, first 2 shown]
	v_mov_b32_e32 v10, s31
	v_mov_b32_e32 v11, s31
	;; [unrolled: 1-line block ×4, first 2 shown]
	s_waitcnt vmcnt(7)
	v_subrev_u32_e32 v1, s48, v5
	v_ashrrev_i32_e32 v2, 31, v1
	s_waitcnt vmcnt(6)
	v_subrev_u32_e32 v3, s48, v6
	v_lshlrev_b64 v[1:2], 1, v[1:2]
	v_ashrrev_i32_e32 v4, 31, v3
	s_waitcnt vmcnt(5)
	v_subrev_u32_e32 v5, s48, v8
	v_lshlrev_b64 v[3:4], 1, v[3:4]
	v_add_co_u32_e32 v1, vcc, s30, v1
	v_ashrrev_i32_e32 v6, 31, v5
	v_addc_co_u32_e32 v2, vcc, v10, v2, vcc
	s_waitcnt vmcnt(4)
	v_subrev_u32_e32 v8, s48, v9
	v_lshlrev_b64 v[5:6], 1, v[5:6]
	v_add_co_u32_e32 v3, vcc, s30, v3
	v_ashrrev_i32_e32 v9, 31, v8
	v_addc_co_u32_e32 v4, vcc, v11, v4, vcc
	v_lshlrev_b64 v[8:9], 1, v[8:9]
	v_add_co_u32_e32 v5, vcc, s30, v5
	v_addc_co_u32_e32 v6, vcc, v12, v6, vcc
	v_add_co_u32_e32 v8, vcc, s30, v8
	v_addc_co_u32_e32 v9, vcc, v13, v9, vcc
	global_load_ushort v10, v[1:2], off
	global_load_ushort v11, v[3:4], off
	;; [unrolled: 1-line block ×4, first 2 shown]
	s_waitcnt vmcnt(7)
	v_lshlrev_b32_e32 v1, 16, v14
	s_waitcnt vmcnt(6)
	v_lshlrev_b32_e32 v2, 16, v15
	;; [unrolled: 2-line block ×4, first 2 shown]
	v_mul_f32_e32 v1, s46, v1
	v_mul_f32_e32 v2, s46, v2
	;; [unrolled: 1-line block ×4, first 2 shown]
	s_waitcnt vmcnt(3)
	v_lshlrev_b32_e32 v5, 16, v10
	s_waitcnt vmcnt(2)
	v_lshlrev_b32_e32 v6, 16, v11
	;; [unrolled: 2-line block ×4, first 2 shown]
	v_mul_f32_e32 v1, v1, v5
	v_mul_f32_e32 v2, v2, v6
	;; [unrolled: 1-line block ×4, first 2 shown]
	ds_write2st64_b32 v7, v1, v2 offset1:4
	ds_write2st64_b32 v7, v3, v4 offset0:8 offset1:12
.LBB76_80:
	s_or_b64 exec, exec, s[0:1]
	s_cmp_lt_i32 s33, 2
	s_mov_b64 s[0:1], -1
	s_waitcnt vmcnt(0) lgkmcnt(0)
	s_barrier
	s_cbranch_scc0 .LBB76_91
; %bb.81:
	v_mov_b32_e32 v1, s37
	v_add_co_u32_e32 v5, vcc, s36, v0
	v_addc_co_u32_e32 v6, vcc, 0, v1, vcc
	v_cmp_gt_i64_e32 vcc, s[38:39], v[5:6]
	s_and_saveexec_b64 s[2:3], vcc
	s_cbranch_execz .LBB76_90
; %bb.82:
	s_lshl_b32 s0, s44, 2
	v_cmp_neq_f32_e64 s[4:5], s34, 0
	s_sub_i32 s10, 0, s0
	s_mov_b64 s[6:7], 0
	v_mov_b32_e32 v8, s25
	v_mov_b32_e32 v9, s41
	s_branch .LBB76_84
.LBB76_83:                              ;   in Loop: Header=BB76_84 Depth=1
	v_add_co_u32_e32 v5, vcc, 0x100, v5
	v_addc_co_u32_e32 v6, vcc, 0, v6, vcc
	v_cmp_le_i64_e32 vcc, s[38:39], v[5:6]
	v_add_co_u32_e64 v1, s[0:1], s40, v1
	v_addc_co_u32_e64 v2, s[0:1], v9, v2, s[0:1]
	s_or_b64 s[6:7], vcc, s[6:7]
	global_store_dword v[1:2], v3, off
	s_andn2_b64 exec, exec, s[6:7]
	s_cbranch_execz .LBB76_90
.LBB76_84:                              ; =>This Loop Header: Depth=1
                                        ;     Child Loop BB76_86 Depth 2
	v_lshlrev_b64 v[1:2], 3, v[5:6]
	v_add_co_u32_e32 v1, vcc, s24, v1
	v_addc_co_u32_e32 v2, vcc, v8, v2, vcc
	global_load_dwordx4 v[1:4], v[1:2], off
	s_waitcnt vmcnt(0)
	v_subrev_u32_e32 v2, s44, v1
	v_subrev_u32_e32 v4, s44, v3
	v_cmp_lt_i32_e32 vcc, v2, v4
	v_mov_b32_e32 v3, 0
	s_and_saveexec_b64 s[0:1], vcc
	s_cbranch_execz .LBB76_88
; %bb.85:                               ;   in Loop: Header=BB76_84 Depth=1
	v_lshl_add_u32 v1, v1, 2, s10
	v_mov_b32_e32 v3, 0
	s_mov_b64 s[8:9], 0
.LBB76_86:                              ;   Parent Loop BB76_84 Depth=1
                                        ; =>  This Inner Loop Header: Depth=2
	ds_read_b32 v10, v1
	v_add_u32_e32 v2, 1, v2
	v_cmp_ge_i32_e32 vcc, v2, v4
	v_add_u32_e32 v1, 4, v1
	s_or_b64 s[8:9], vcc, s[8:9]
	s_waitcnt lgkmcnt(0)
	v_add_f32_e32 v3, v3, v10
	s_andn2_b64 exec, exec, s[8:9]
	s_cbranch_execnz .LBB76_86
; %bb.87:                               ;   in Loop: Header=BB76_84 Depth=1
	s_or_b64 exec, exec, s[8:9]
.LBB76_88:                              ;   in Loop: Header=BB76_84 Depth=1
	s_or_b64 exec, exec, s[0:1]
	v_lshlrev_b64 v[1:2], 2, v[5:6]
	s_and_b64 vcc, exec, s[4:5]
	s_cbranch_vccz .LBB76_83
; %bb.89:                               ;   in Loop: Header=BB76_84 Depth=1
	v_mov_b32_e32 v4, s41
	v_add_co_u32_e32 v10, vcc, s40, v1
	v_addc_co_u32_e32 v11, vcc, v4, v2, vcc
	global_load_dword v4, v[10:11], off
	s_waitcnt vmcnt(0)
	v_fmac_f32_e32 v3, s34, v4
	s_branch .LBB76_83
.LBB76_90:
	s_or_b64 exec, exec, s[2:3]
	s_mov_b64 s[0:1], 0
.LBB76_91:
	s_andn2_b64 vcc, exec, s[0:1]
	s_cbranch_vccnz .LBB76_116
; %bb.92:
	s_flbit_i32_b32 s0, s33
	s_xor_b32 s0, s0, 31
	v_lshrrev_b32_e32 v4, s0, v0
	v_mov_b32_e32 v2, s37
	v_add_co_u32_e32 v1, vcc, s36, v4
	v_addc_co_u32_e32 v2, vcc, 0, v2, vcc
	s_add_i32 s2, s33, -1
	v_cmp_le_i64_e32 vcc, s[38:39], v[1:2]
	v_cmp_gt_i64_e64 s[0:1], s[38:39], v[1:2]
	v_mov_b32_e32 v3, 0
	v_and_b32_e32 v0, s2, v0
	s_and_saveexec_b64 s[2:3], s[0:1]
	s_cbranch_execz .LBB76_98
; %bb.93:
	v_lshlrev_b32_e32 v3, 3, v4
	global_load_dword v4, v3, s[42:43] offset:8
	global_load_dword v5, v3, s[42:43]
	s_waitcnt vmcnt(1)
	v_subrev_u32_e32 v4, s44, v4
	s_waitcnt vmcnt(0)
	v_subrev_u32_e32 v3, s44, v5
	v_add_u32_e32 v5, v0, v3
	v_cmp_lt_i32_e64 s[0:1], v5, v4
	v_mov_b32_e32 v3, 0
	s_and_saveexec_b64 s[4:5], s[0:1]
	s_cbranch_execz .LBB76_97
; %bb.94:
	v_lshlrev_b32_e32 v6, 2, v5
	s_lshl_b32 s8, s33, 2
	v_mov_b32_e32 v3, 0
	s_mov_b64 s[6:7], 0
.LBB76_95:                              ; =>This Inner Loop Header: Depth=1
	ds_read_b32 v8, v6
	v_add_u32_e32 v5, s33, v5
	v_cmp_ge_i32_e64 s[0:1], v5, v4
	v_add_u32_e32 v6, s8, v6
	s_or_b64 s[6:7], s[0:1], s[6:7]
	s_waitcnt lgkmcnt(0)
	v_add_f32_e32 v3, v3, v8
	s_andn2_b64 exec, exec, s[6:7]
	s_cbranch_execnz .LBB76_95
; %bb.96:
	s_or_b64 exec, exec, s[6:7]
.LBB76_97:
	s_or_b64 exec, exec, s[4:5]
.LBB76_98:
	s_or_b64 exec, exec, s[2:3]
	s_cmpk_lt_u32 s33, 0x81
	s_waitcnt vmcnt(0)
	s_barrier
	ds_write_b32 v7, v3
	s_waitcnt lgkmcnt(0)
	s_barrier
	s_cbranch_scc1 .LBB76_100
; %bb.99:
	ds_read_b32 v4, v7 offset:512
	s_waitcnt lgkmcnt(0)
	s_barrier
	v_add_f32_e32 v3, v3, v4
	ds_write_b32 v7, v3
.LBB76_100:
	s_cmpk_lt_u32 s33, 0x41
	s_waitcnt lgkmcnt(0)
	s_barrier
	s_cbranch_scc1 .LBB76_102
; %bb.101:
	ds_read_b32 v4, v7 offset:256
	s_waitcnt lgkmcnt(0)
	s_barrier
	v_add_f32_e32 v3, v3, v4
	ds_write_b32 v7, v3
.LBB76_102:
	s_cmp_lt_u32 s33, 33
	s_waitcnt lgkmcnt(0)
	s_barrier
	s_cbranch_scc1 .LBB76_104
; %bb.103:
	ds_read_b32 v4, v7 offset:128
	s_waitcnt lgkmcnt(0)
	s_barrier
	v_add_f32_e32 v3, v3, v4
	ds_write_b32 v7, v3
.LBB76_104:
	s_cmp_lt_u32 s33, 17
	;; [unrolled: 11-line block ×4, first 2 shown]
	s_waitcnt lgkmcnt(0)
	s_barrier
	s_cbranch_scc1 .LBB76_110
; %bb.109:
	ds_read_b32 v4, v7 offset:16
	s_waitcnt lgkmcnt(0)
	s_barrier
	v_add_f32_e32 v3, v3, v4
	ds_write_b32 v7, v3
.LBB76_110:
	s_cmp_eq_u32 s33, 2
	s_waitcnt lgkmcnt(0)
	s_barrier
	s_cbranch_scc1 .LBB76_112
; %bb.111:
	ds_read_b32 v4, v7 offset:8
	s_waitcnt lgkmcnt(0)
	s_barrier
	v_add_f32_e32 v3, v3, v4
	ds_write_b32 v7, v3
.LBB76_112:
	s_waitcnt lgkmcnt(0)
	s_barrier
	ds_read_b32 v4, v7 offset:4
	v_cmp_eq_u32_e64 s[0:1], 0, v0
	s_xor_b64 s[2:3], vcc, -1
	s_and_b64 s[0:1], s[0:1], s[2:3]
	s_waitcnt lgkmcnt(0)
	v_add_f32_e32 v3, v3, v4
	s_barrier
	ds_write_b32 v7, v3
	s_and_saveexec_b64 s[2:3], s[0:1]
	s_cbranch_execz .LBB76_116
; %bb.113:
	v_cmp_eq_f32_e64 s[0:1], s34, 0
	v_lshlrev_b64 v[0:1], 2, v[1:2]
	s_and_b64 vcc, exec, s[0:1]
	s_cbranch_vccnz .LBB76_115
; %bb.114:
	v_mov_b32_e32 v2, s41
	v_add_co_u32_e32 v4, vcc, s40, v0
	v_addc_co_u32_e32 v5, vcc, v2, v1, vcc
	global_load_dword v2, v[4:5], off
	s_waitcnt vmcnt(0)
	v_fmac_f32_e32 v3, s34, v2
.LBB76_115:
	v_mov_b32_e32 v2, s41
	v_add_co_u32_e32 v0, vcc, s40, v0
	v_addc_co_u32_e32 v1, vcc, v2, v1, vcc
	global_store_dword v[0:1], v3, off
.LBB76_116:
	s_endpgm
	.section	.rodata,"a",@progbits
	.p2align	6, 0x0
	.amdhsa_kernel _ZN9rocsparseL22csrmvn_adaptive_kernelIli18rocsparse_bfloat16S1_ffEEvbT_PKS2_PjPKT0_NS_24const_host_device_scalarIT4_EES4_S8_PKT1_PKT2_SB_PT3_21rocsparse_index_base_b
		.amdhsa_group_segment_fixed_size 4096
		.amdhsa_private_segment_fixed_size 0
		.amdhsa_kernarg_size 104
		.amdhsa_user_sgpr_count 6
		.amdhsa_user_sgpr_private_segment_buffer 1
		.amdhsa_user_sgpr_dispatch_ptr 0
		.amdhsa_user_sgpr_queue_ptr 0
		.amdhsa_user_sgpr_kernarg_segment_ptr 1
		.amdhsa_user_sgpr_dispatch_id 0
		.amdhsa_user_sgpr_flat_scratch_init 0
		.amdhsa_user_sgpr_private_segment_size 0
		.amdhsa_uses_dynamic_stack 0
		.amdhsa_system_sgpr_private_segment_wavefront_offset 0
		.amdhsa_system_sgpr_workgroup_id_x 1
		.amdhsa_system_sgpr_workgroup_id_y 0
		.amdhsa_system_sgpr_workgroup_id_z 0
		.amdhsa_system_sgpr_workgroup_info 0
		.amdhsa_system_vgpr_workitem_id 0
		.amdhsa_next_free_vgpr 18
		.amdhsa_next_free_sgpr 60
		.amdhsa_reserve_vcc 1
		.amdhsa_reserve_flat_scratch 0
		.amdhsa_float_round_mode_32 0
		.amdhsa_float_round_mode_16_64 0
		.amdhsa_float_denorm_mode_32 3
		.amdhsa_float_denorm_mode_16_64 3
		.amdhsa_dx10_clamp 1
		.amdhsa_ieee_mode 1
		.amdhsa_fp16_overflow 0
		.amdhsa_exception_fp_ieee_invalid_op 0
		.amdhsa_exception_fp_denorm_src 0
		.amdhsa_exception_fp_ieee_div_zero 0
		.amdhsa_exception_fp_ieee_overflow 0
		.amdhsa_exception_fp_ieee_underflow 0
		.amdhsa_exception_fp_ieee_inexact 0
		.amdhsa_exception_int_div_zero 0
	.end_amdhsa_kernel
	.section	.text._ZN9rocsparseL22csrmvn_adaptive_kernelIli18rocsparse_bfloat16S1_ffEEvbT_PKS2_PjPKT0_NS_24const_host_device_scalarIT4_EES4_S8_PKT1_PKT2_SB_PT3_21rocsparse_index_base_b,"axG",@progbits,_ZN9rocsparseL22csrmvn_adaptive_kernelIli18rocsparse_bfloat16S1_ffEEvbT_PKS2_PjPKT0_NS_24const_host_device_scalarIT4_EES4_S8_PKT1_PKT2_SB_PT3_21rocsparse_index_base_b,comdat
.Lfunc_end76:
	.size	_ZN9rocsparseL22csrmvn_adaptive_kernelIli18rocsparse_bfloat16S1_ffEEvbT_PKS2_PjPKT0_NS_24const_host_device_scalarIT4_EES4_S8_PKT1_PKT2_SB_PT3_21rocsparse_index_base_b, .Lfunc_end76-_ZN9rocsparseL22csrmvn_adaptive_kernelIli18rocsparse_bfloat16S1_ffEEvbT_PKS2_PjPKT0_NS_24const_host_device_scalarIT4_EES4_S8_PKT1_PKT2_SB_PT3_21rocsparse_index_base_b
                                        ; -- End function
	.set _ZN9rocsparseL22csrmvn_adaptive_kernelIli18rocsparse_bfloat16S1_ffEEvbT_PKS2_PjPKT0_NS_24const_host_device_scalarIT4_EES4_S8_PKT1_PKT2_SB_PT3_21rocsparse_index_base_b.num_vgpr, 18
	.set _ZN9rocsparseL22csrmvn_adaptive_kernelIli18rocsparse_bfloat16S1_ffEEvbT_PKS2_PjPKT0_NS_24const_host_device_scalarIT4_EES4_S8_PKT1_PKT2_SB_PT3_21rocsparse_index_base_b.num_agpr, 0
	.set _ZN9rocsparseL22csrmvn_adaptive_kernelIli18rocsparse_bfloat16S1_ffEEvbT_PKS2_PjPKT0_NS_24const_host_device_scalarIT4_EES4_S8_PKT1_PKT2_SB_PT3_21rocsparse_index_base_b.numbered_sgpr, 60
	.set _ZN9rocsparseL22csrmvn_adaptive_kernelIli18rocsparse_bfloat16S1_ffEEvbT_PKS2_PjPKT0_NS_24const_host_device_scalarIT4_EES4_S8_PKT1_PKT2_SB_PT3_21rocsparse_index_base_b.num_named_barrier, 0
	.set _ZN9rocsparseL22csrmvn_adaptive_kernelIli18rocsparse_bfloat16S1_ffEEvbT_PKS2_PjPKT0_NS_24const_host_device_scalarIT4_EES4_S8_PKT1_PKT2_SB_PT3_21rocsparse_index_base_b.private_seg_size, 0
	.set _ZN9rocsparseL22csrmvn_adaptive_kernelIli18rocsparse_bfloat16S1_ffEEvbT_PKS2_PjPKT0_NS_24const_host_device_scalarIT4_EES4_S8_PKT1_PKT2_SB_PT3_21rocsparse_index_base_b.uses_vcc, 1
	.set _ZN9rocsparseL22csrmvn_adaptive_kernelIli18rocsparse_bfloat16S1_ffEEvbT_PKS2_PjPKT0_NS_24const_host_device_scalarIT4_EES4_S8_PKT1_PKT2_SB_PT3_21rocsparse_index_base_b.uses_flat_scratch, 0
	.set _ZN9rocsparseL22csrmvn_adaptive_kernelIli18rocsparse_bfloat16S1_ffEEvbT_PKS2_PjPKT0_NS_24const_host_device_scalarIT4_EES4_S8_PKT1_PKT2_SB_PT3_21rocsparse_index_base_b.has_dyn_sized_stack, 0
	.set _ZN9rocsparseL22csrmvn_adaptive_kernelIli18rocsparse_bfloat16S1_ffEEvbT_PKS2_PjPKT0_NS_24const_host_device_scalarIT4_EES4_S8_PKT1_PKT2_SB_PT3_21rocsparse_index_base_b.has_recursion, 0
	.set _ZN9rocsparseL22csrmvn_adaptive_kernelIli18rocsparse_bfloat16S1_ffEEvbT_PKS2_PjPKT0_NS_24const_host_device_scalarIT4_EES4_S8_PKT1_PKT2_SB_PT3_21rocsparse_index_base_b.has_indirect_call, 0
	.section	.AMDGPU.csdata,"",@progbits
; Kernel info:
; codeLenInByte = 3952
; TotalNumSgprs: 64
; NumVgprs: 18
; ScratchSize: 0
; MemoryBound: 0
; FloatMode: 240
; IeeeMode: 1
; LDSByteSize: 4096 bytes/workgroup (compile time only)
; SGPRBlocks: 7
; VGPRBlocks: 4
; NumSGPRsForWavesPerEU: 64
; NumVGPRsForWavesPerEU: 18
; Occupancy: 10
; WaveLimiterHint : 1
; COMPUTE_PGM_RSRC2:SCRATCH_EN: 0
; COMPUTE_PGM_RSRC2:USER_SGPR: 6
; COMPUTE_PGM_RSRC2:TRAP_HANDLER: 0
; COMPUTE_PGM_RSRC2:TGID_X_EN: 1
; COMPUTE_PGM_RSRC2:TGID_Y_EN: 0
; COMPUTE_PGM_RSRC2:TGID_Z_EN: 0
; COMPUTE_PGM_RSRC2:TIDIG_COMP_CNT: 0
	.section	.text._ZN9rocsparseL27csrmvn_symm_adaptive_kernelIli18rocsparse_bfloat16S1_ffEEvbT_S2_PKS2_NS_24const_host_device_scalarIT4_EES4_PKT0_PKT1_PKT2_S7_PT3_21rocsparse_index_base_b,"axG",@progbits,_ZN9rocsparseL27csrmvn_symm_adaptive_kernelIli18rocsparse_bfloat16S1_ffEEvbT_S2_PKS2_NS_24const_host_device_scalarIT4_EES4_PKT0_PKT1_PKT2_S7_PT3_21rocsparse_index_base_b,comdat
	.globl	_ZN9rocsparseL27csrmvn_symm_adaptive_kernelIli18rocsparse_bfloat16S1_ffEEvbT_S2_PKS2_NS_24const_host_device_scalarIT4_EES4_PKT0_PKT1_PKT2_S7_PT3_21rocsparse_index_base_b ; -- Begin function _ZN9rocsparseL27csrmvn_symm_adaptive_kernelIli18rocsparse_bfloat16S1_ffEEvbT_S2_PKS2_NS_24const_host_device_scalarIT4_EES4_PKT0_PKT1_PKT2_S7_PT3_21rocsparse_index_base_b
	.p2align	8
	.type	_ZN9rocsparseL27csrmvn_symm_adaptive_kernelIli18rocsparse_bfloat16S1_ffEEvbT_S2_PKS2_NS_24const_host_device_scalarIT4_EES4_PKT0_PKT1_PKT2_S7_PT3_21rocsparse_index_base_b,@function
_ZN9rocsparseL27csrmvn_symm_adaptive_kernelIli18rocsparse_bfloat16S1_ffEEvbT_S2_PKS2_NS_24const_host_device_scalarIT4_EES4_PKT0_PKT1_PKT2_S7_PT3_21rocsparse_index_base_b: ; @_ZN9rocsparseL27csrmvn_symm_adaptive_kernelIli18rocsparse_bfloat16S1_ffEEvbT_S2_PKS2_NS_24const_host_device_scalarIT4_EES4_PKT0_PKT1_PKT2_S7_PT3_21rocsparse_index_base_b
; %bb.0:
	s_load_dwordx2 s[30:31], s[4:5], 0x58
	s_load_dwordx2 s[38:39], s[4:5], 0x20
	;; [unrolled: 1-line block ×3, first 2 shown]
	s_waitcnt lgkmcnt(0)
	s_bitcmp1_b32 s31, 0
	s_cselect_b64 s[8:9], -1, 0
	s_xor_b64 s[2:3], s[8:9], -1
	s_and_b64 vcc, exec, s[8:9]
	s_cbranch_vccnz .LBB77_2
; %bb.1:
	s_load_dword s38, s[38:39], 0x0
.LBB77_2:
	s_andn2_b64 vcc, exec, s[2:3]
	s_cbranch_vccnz .LBB77_4
; %bb.3:
	s_load_dword s0, s[0:1], 0x0
.LBB77_4:
	s_waitcnt lgkmcnt(0)
	v_cmp_neq_f32_e64 s[2:3], s38, 0
	v_cmp_neq_f32_e64 s[0:1], s0, 1.0
	s_or_b64 s[0:1], s[2:3], s[0:1]
	s_andn2_b64 vcc, exec, s[0:1]
	s_cbranch_vccnz .LBB77_151
; %bb.5:
	s_load_dwordx2 s[0:1], s[4:5], 0x18
	s_ashr_i32 s7, s6, 31
	s_lshl_b64 s[2:3], s[6:7], 3
	v_lshlrev_b32_e32 v16, 2, v0
	v_mov_b32_e32 v1, 0
	s_waitcnt lgkmcnt(0)
	s_add_u32 s0, s0, s2
	s_addc_u32 s1, s1, s3
	ds_write2st64_b32 v16, v1, v1 offset1:4
	ds_write2st64_b32 v16, v1, v1 offset0:8 offset1:12
	s_waitcnt lgkmcnt(0)
	s_barrier
	s_load_dwordx4 s[24:27], s[0:1], 0x0
	s_load_dwordx8 s[16:23], s[4:5], 0x28
	s_load_dwordx2 s[14:15], s[4:5], 0x50
	s_mov_b64 s[0:1], -1
	s_waitcnt lgkmcnt(0)
	s_sub_u32 s28, s26, s24
	s_subb_u32 s29, s27, s25
	v_cmp_gt_i64_e64 s[2:3], s[28:29], 2
	s_and_b64 vcc, exec, s[2:3]
	s_cbranch_vccnz .LBB77_38
; %bb.6:
	v_mov_b32_e32 v1, s24
	v_mov_b32_e32 v2, s25
	v_cmp_le_i64_e32 vcc, s[26:27], v[1:2]
	v_subrev_co_u32_e64 v9, s[0:1], s30, v0
	v_subb_co_u32_e64 v10, s[0:1], 0, 0, s[0:1]
	s_cbranch_vccnz .LBB77_27
; %bb.7:
	s_movk_i32 s31, 0x100
	v_mov_b32_e32 v1, s26
	v_cmp_gt_u32_e64 s[0:1], s31, v0
	v_cmp_gt_u32_e64 s[2:3], 64, v0
	v_cmp_gt_u32_e64 s[6:7], 16, v0
	v_cmp_gt_u32_e64 s[8:9], 4, v0
	v_cmp_eq_u32_e64 s[10:11], 0, v0
	v_mov_b32_e32 v11, 0
	v_mov_b32_e32 v2, s27
	s_mov_b64 s[34:35], s[24:25]
	s_branch .LBB77_9
.LBB77_8:                               ;   in Loop: Header=BB77_9 Depth=1
	s_or_b64 exec, exec, s[12:13]
	s_add_u32 s34, s34, 1
	s_addc_u32 s35, s35, 0
	v_cmp_ge_i64_e32 vcc, s[34:35], v[1:2]
	s_cbranch_vccnz .LBB77_27
.LBB77_9:                               ; =>This Loop Header: Depth=1
                                        ;     Child Loop BB77_11 Depth 2
                                        ;     Child Loop BB77_26 Depth 2
	s_lshl_b64 s[12:13], s[34:35], 3
	s_add_u32 s12, s16, s12
	s_addc_u32 s13, s17, s13
	s_load_dwordx4 s[40:43], s[12:13], 0x0
	v_mov_b32_e32 v12, 0
	s_waitcnt lgkmcnt(0)
	s_sub_u32 s36, s42, s30
	v_mov_b32_e32 v4, s41
	v_add_co_u32_e32 v3, vcc, s40, v9
	s_subb_u32 s37, s43, 0
	v_addc_co_u32_e32 v4, vcc, v4, v10, vcc
	v_cmp_gt_i64_e32 vcc, s[36:37], v[3:4]
	s_and_saveexec_b64 s[40:41], vcc
	s_cbranch_execz .LBB77_13
; %bb.10:                               ;   in Loop: Header=BB77_9 Depth=1
	v_lshlrev_b64 v[5:6], 2, v[3:4]
	v_mov_b32_e32 v7, s19
	v_add_co_u32_e32 v5, vcc, s18, v5
	v_addc_co_u32_e32 v6, vcc, v7, v6, vcc
	v_lshlrev_b64 v[7:8], 1, v[3:4]
	v_mov_b32_e32 v12, s21
	v_add_co_u32_e32 v7, vcc, s20, v7
	v_addc_co_u32_e32 v8, vcc, v12, v8, vcc
	v_mov_b32_e32 v12, 0
	s_mov_b64 s[42:43], 0
.LBB77_11:                              ;   Parent Loop BB77_9 Depth=1
                                        ; =>  This Inner Loop Header: Depth=2
	global_load_dword v13, v[5:6], off
	global_load_ushort v15, v[7:8], off
	v_mov_b32_e32 v17, s23
	s_waitcnt vmcnt(1)
	v_subrev_u32_e32 v13, s30, v13
	v_ashrrev_i32_e32 v14, 31, v13
	v_lshlrev_b64 v[13:14], 1, v[13:14]
	v_add_co_u32_e32 v13, vcc, s22, v13
	v_addc_co_u32_e32 v14, vcc, v17, v14, vcc
	global_load_ushort v13, v[13:14], off
	v_add_co_u32_e32 v3, vcc, s31, v3
	v_addc_co_u32_e32 v4, vcc, 0, v4, vcc
	v_add_co_u32_e32 v5, vcc, 0x400, v5
	v_addc_co_u32_e32 v6, vcc, 0, v6, vcc
	v_cmp_le_i64_e64 s[12:13], s[36:37], v[3:4]
	v_add_co_u32_e32 v7, vcc, 0x200, v7
	s_waitcnt vmcnt(1)
	v_lshlrev_b32_e32 v14, 16, v15
	v_addc_co_u32_e32 v8, vcc, 0, v8, vcc
	s_or_b64 s[42:43], s[12:13], s[42:43]
	s_waitcnt vmcnt(0)
	v_lshlrev_b32_e32 v13, 16, v13
	v_fmac_f32_e32 v12, v14, v13
	s_andn2_b64 exec, exec, s[42:43]
	s_cbranch_execnz .LBB77_11
; %bb.12:                               ;   in Loop: Header=BB77_9 Depth=1
	s_or_b64 exec, exec, s[42:43]
.LBB77_13:                              ;   in Loop: Header=BB77_9 Depth=1
	s_or_b64 exec, exec, s[40:41]
	ds_write_b32 v16, v12
	s_waitcnt lgkmcnt(0)
	s_barrier
	s_and_saveexec_b64 s[12:13], s[0:1]
	s_cbranch_execz .LBB77_15
; %bb.14:                               ;   in Loop: Header=BB77_9 Depth=1
	ds_read2st64_b32 v[3:4], v16 offset1:4
	ds_read2st64_b32 v[5:6], v16 offset0:8 offset1:12
	s_waitcnt lgkmcnt(0)
	v_add_f32_e32 v4, v4, v5
	v_add_f32_e32 v4, v4, v6
	;; [unrolled: 1-line block ×3, first 2 shown]
	ds_write_b32 v16, v3
.LBB77_15:                              ;   in Loop: Header=BB77_9 Depth=1
	s_or_b64 exec, exec, s[12:13]
	s_waitcnt lgkmcnt(0)
	s_barrier
	s_and_saveexec_b64 s[12:13], s[2:3]
	s_cbranch_execz .LBB77_17
; %bb.16:                               ;   in Loop: Header=BB77_9 Depth=1
	ds_read2st64_b32 v[3:4], v16 offset1:1
	ds_read2st64_b32 v[5:6], v16 offset0:2 offset1:3
	s_waitcnt lgkmcnt(0)
	v_add_f32_e32 v4, v4, v5
	v_add_f32_e32 v4, v4, v6
	;; [unrolled: 1-line block ×3, first 2 shown]
	ds_write_b32 v16, v3
.LBB77_17:                              ;   in Loop: Header=BB77_9 Depth=1
	s_or_b64 exec, exec, s[12:13]
	s_waitcnt lgkmcnt(0)
	s_barrier
	s_and_saveexec_b64 s[12:13], s[6:7]
	s_cbranch_execz .LBB77_19
; %bb.18:                               ;   in Loop: Header=BB77_9 Depth=1
	ds_read2_b32 v[3:4], v16 offset1:16
	ds_read2_b32 v[5:6], v16 offset0:32 offset1:48
	s_waitcnt lgkmcnt(0)
	v_add_f32_e32 v4, v4, v5
	v_add_f32_e32 v4, v4, v6
	;; [unrolled: 1-line block ×3, first 2 shown]
	ds_write_b32 v16, v3
.LBB77_19:                              ;   in Loop: Header=BB77_9 Depth=1
	s_or_b64 exec, exec, s[12:13]
	s_waitcnt lgkmcnt(0)
	s_barrier
	s_and_saveexec_b64 s[12:13], s[8:9]
	s_cbranch_execz .LBB77_21
; %bb.20:                               ;   in Loop: Header=BB77_9 Depth=1
	ds_read2_b32 v[3:4], v16 offset1:4
	ds_read2_b32 v[5:6], v16 offset0:8 offset1:12
	s_waitcnt lgkmcnt(0)
	v_add_f32_e32 v4, v4, v5
	v_add_f32_e32 v4, v4, v6
	;; [unrolled: 1-line block ×3, first 2 shown]
	ds_write_b32 v16, v3
.LBB77_21:                              ;   in Loop: Header=BB77_9 Depth=1
	s_or_b64 exec, exec, s[12:13]
	s_waitcnt lgkmcnt(0)
	s_barrier
	s_and_saveexec_b64 s[12:13], s[10:11]
	s_cbranch_execz .LBB77_23
; %bb.22:                               ;   in Loop: Header=BB77_9 Depth=1
	ds_read2_b32 v[3:4], v11 offset0:1 offset1:2
	ds_read_b32 v5, v11 offset:12
	ds_read_b32 v6, v16
	s_waitcnt lgkmcnt(2)
	v_add_f32_e32 v3, v3, v4
	s_waitcnt lgkmcnt(1)
	v_add_f32_e32 v3, v3, v5
	;; [unrolled: 2-line block ×3, first 2 shown]
	ds_write_b32 v16, v3
.LBB77_23:                              ;   in Loop: Header=BB77_9 Depth=1
	s_or_b64 exec, exec, s[12:13]
	s_waitcnt lgkmcnt(0)
	s_barrier
	s_and_saveexec_b64 s[12:13], s[10:11]
	s_cbranch_execz .LBB77_8
; %bb.24:                               ;   in Loop: Header=BB77_9 Depth=1
	s_mov_b64 s[40:41], exec
	v_mbcnt_lo_u32_b32 v3, s40, 0
	v_mbcnt_hi_u32_b32 v3, s41, v3
	v_cmp_eq_u32_e32 vcc, 0, v3
	s_and_b64 s[36:37], exec, vcc
	s_mov_b64 exec, s[36:37]
	s_cbranch_execz .LBB77_8
; %bb.25:                               ;   in Loop: Header=BB77_9 Depth=1
	s_lshl_b64 s[36:37], s[34:35], 2
	s_add_u32 s36, s14, s36
	s_addc_u32 s37, s15, s37
	global_load_dword v4, v11, s[36:37]
	ds_read_b32 v3, v11
	s_bcnt1_i32_b64 s33, s[40:41]
	v_cvt_f32_ubyte0_e32 v5, s33
	s_mov_b64 s[40:41], 0
	s_waitcnt lgkmcnt(0)
	v_mul_f32_e32 v3, s38, v3
	v_mul_f32_e32 v5, v3, v5
.LBB77_26:                              ;   Parent Loop BB77_9 Depth=1
                                        ; =>  This Inner Loop Header: Depth=2
	s_waitcnt vmcnt(0)
	v_add_f32_e32 v3, v4, v5
	global_atomic_cmpswap v3, v11, v[3:4], s[36:37] glc
	s_waitcnt vmcnt(0)
	v_cmp_eq_u32_e32 vcc, v3, v4
	s_or_b64 s[40:41], vcc, s[40:41]
	v_mov_b32_e32 v4, v3
	s_andn2_b64 exec, exec, s[40:41]
	s_cbranch_execnz .LBB77_26
	s_branch .LBB77_8
.LBB77_27:
	s_lshl_b64 s[0:1], s[24:25], 3
	s_add_u32 s0, s16, s0
	s_addc_u32 s1, s17, s1
	s_lshl_b64 s[2:3], s[26:27], 3
	s_add_u32 s2, s16, s2
	s_addc_u32 s3, s17, s3
	s_load_dwordx2 s[8:9], s[0:1], 0x0
	s_load_dwordx2 s[6:7], s[2:3], 0x0
	s_waitcnt lgkmcnt(0)
	v_mov_b32_e32 v2, s9
	s_sub_u32 s6, s6, s30
	v_add_co_u32_e32 v1, vcc, s8, v9
	s_subb_u32 s7, s7, 0
	v_addc_co_u32_e32 v2, vcc, v2, v10, vcc
	v_cmp_gt_i64_e32 vcc, s[6:7], v[1:2]
	s_and_saveexec_b64 s[8:9], vcc
	s_cbranch_execz .LBB77_37
; %bb.28:
	s_add_u32 s10, s26, -1
	s_addc_u32 s11, s27, -1
	v_mov_b32_e32 v3, s10
	s_add_u32 s0, s26, -2
	v_mov_b32_e32 v4, s11
	s_addc_u32 s1, s27, -1
	v_cmp_lt_i64_e32 vcc, s[24:25], v[3:4]
	s_cmp_lg_u64 s[24:25], s[0:1]
	s_cselect_b64 s[0:1], -1, 0
	s_and_b64 s[0:1], vcc, s[0:1]
	v_cndmask_b32_e64 v3, 0, 1, s[0:1]
	s_mov_b64 s[12:13], 0
	v_cmp_ne_u32_e64 s[0:1], 1, v3
	v_mov_b32_e32 v9, s17
	v_mov_b32_e32 v10, s19
	s_branch .LBB77_30
.LBB77_29:                              ;   in Loop: Header=BB77_30 Depth=1
	s_or_b64 exec, exec, s[2:3]
	v_add_co_u32_e32 v1, vcc, 0x100, v1
	v_addc_co_u32_e32 v2, vcc, 0, v2, vcc
	v_cmp_le_i64_e32 vcc, s[6:7], v[1:2]
	s_or_b64 s[12:13], vcc, s[12:13]
	s_andn2_b64 exec, exec, s[12:13]
	s_cbranch_execz .LBB77_37
.LBB77_30:                              ; =>This Loop Header: Depth=1
                                        ;     Child Loop BB77_32 Depth 2
                                        ;     Child Loop BB77_36 Depth 2
	v_mov_b32_e32 v3, s24
	v_mov_b32_e32 v5, s10
	s_and_b64 vcc, exec, s[0:1]
	v_mov_b32_e32 v4, s25
	v_mov_b32_e32 v6, s11
	s_cbranch_vccnz .LBB77_34
; %bb.31:                               ;   in Loop: Header=BB77_30 Depth=1
	v_mov_b32_e32 v3, s24
	v_mov_b32_e32 v5, s10
	s_mov_b64 s[34:35], 0
	v_mov_b32_e32 v4, s25
	v_mov_b32_e32 v6, s11
.LBB77_32:                              ;   Parent Loop BB77_30 Depth=1
                                        ; =>  This Inner Loop Header: Depth=2
	v_add_co_u32_e32 v7, vcc, v5, v3
	v_addc_co_u32_e32 v8, vcc, v6, v4, vcc
	v_lshrrev_b32_e32 v11, 31, v8
	v_add_co_u32_e32 v7, vcc, v7, v11
	v_addc_co_u32_e32 v8, vcc, 0, v8, vcc
	v_ashrrev_i64 v[7:8], 1, v[7:8]
	v_mov_b32_e32 v13, s17
	v_lshlrev_b64 v[11:12], 3, v[7:8]
	v_add_co_u32_e32 v11, vcc, s16, v11
	v_addc_co_u32_e32 v12, vcc, v13, v12, vcc
	global_load_dwordx2 v[11:12], v[11:12], off
	s_waitcnt vmcnt(0)
	v_subrev_co_u32_e32 v11, vcc, s30, v11
	v_subbrev_co_u32_e32 v12, vcc, 0, v12, vcc
	v_cmp_lt_i64_e32 vcc, v[1:2], v[11:12]
	v_cndmask_b32_e32 v5, v5, v7, vcc
	v_cndmask_b32_e32 v6, v6, v8, vcc
	;; [unrolled: 1-line block ×3, first 2 shown]
	v_add_co_u32_e64 v7, s[2:3], -1, v5
	v_cndmask_b32_e32 v4, v8, v4, vcc
	v_addc_co_u32_e64 v8, s[2:3], -1, v6, s[2:3]
	v_cmp_ge_i64_e32 vcc, v[3:4], v[5:6]
	v_cmp_eq_u64_e64 s[2:3], v[3:4], v[7:8]
	s_or_b64 s[2:3], vcc, s[2:3]
	s_and_b64 s[2:3], exec, s[2:3]
	s_or_b64 s[34:35], s[2:3], s[34:35]
	s_andn2_b64 exec, exec, s[34:35]
	s_cbranch_execnz .LBB77_32
; %bb.33:                               ;   in Loop: Header=BB77_30 Depth=1
	s_or_b64 exec, exec, s[34:35]
.LBB77_34:                              ;   in Loop: Header=BB77_30 Depth=1
	v_lshlrev_b64 v[7:8], 3, v[5:6]
	v_lshlrev_b64 v[11:12], 2, v[1:2]
	v_add_co_u32_e32 v7, vcc, s16, v7
	v_addc_co_u32_e32 v8, vcc, v9, v8, vcc
	global_load_dwordx2 v[7:8], v[7:8], off
	v_add_co_u32_e32 v11, vcc, s18, v11
	v_addc_co_u32_e32 v12, vcc, v10, v12, vcc
	global_load_dword v13, v[11:12], off
	s_waitcnt vmcnt(1)
	v_subrev_co_u32_e32 v11, vcc, s30, v7
	v_subbrev_co_u32_e32 v12, vcc, 0, v8, vcc
	v_cmp_lt_i64_e32 vcc, v[1:2], v[11:12]
	s_waitcnt vmcnt(0)
	v_subrev_u32_e32 v7, s30, v13
	v_cndmask_b32_e32 v4, v6, v4, vcc
	v_cndmask_b32_e32 v3, v5, v3, vcc
	v_ashrrev_i32_e32 v8, 31, v7
	v_cmp_ne_u64_e32 vcc, v[3:4], v[7:8]
	s_and_saveexec_b64 s[2:3], vcc
	s_cbranch_execz .LBB77_29
; %bb.35:                               ;   in Loop: Header=BB77_30 Depth=1
	v_lshlrev_b64 v[5:6], 2, v[7:8]
	v_lshlrev_b64 v[7:8], 1, v[1:2]
	v_mov_b32_e32 v12, s21
	v_add_co_u32_e32 v7, vcc, s20, v7
	v_lshlrev_b64 v[3:4], 1, v[3:4]
	v_addc_co_u32_e32 v8, vcc, v12, v8, vcc
	global_load_ushort v7, v[7:8], off
	v_mov_b32_e32 v8, s23
	v_add_co_u32_e32 v3, vcc, s22, v3
	v_addc_co_u32_e32 v4, vcc, v8, v4, vcc
	v_mov_b32_e32 v11, s15
	global_load_ushort v8, v[3:4], off
	v_add_co_u32_e32 v3, vcc, s14, v5
	v_addc_co_u32_e32 v4, vcc, v11, v6, vcc
	global_load_dword v6, v[3:4], off
	s_mov_b64 s[34:35], 0
	s_waitcnt vmcnt(2)
	v_lshlrev_b32_e32 v5, 16, v7
	v_mul_f32_e32 v5, s38, v5
	s_waitcnt vmcnt(1)
	v_lshlrev_b32_e32 v7, 16, v8
	v_mul_f32_e32 v7, v5, v7
.LBB77_36:                              ;   Parent Loop BB77_30 Depth=1
                                        ; =>  This Inner Loop Header: Depth=2
	s_waitcnt vmcnt(0)
	v_add_f32_e32 v5, v6, v7
	global_atomic_cmpswap v5, v[3:4], v[5:6], off glc
	s_waitcnt vmcnt(0)
	v_cmp_eq_u32_e32 vcc, v5, v6
	s_or_b64 s[34:35], vcc, s[34:35]
	v_mov_b32_e32 v6, v5
	s_andn2_b64 exec, exec, s[34:35]
	s_cbranch_execnz .LBB77_36
	s_branch .LBB77_29
.LBB77_37:
	s_or_b64 exec, exec, s[8:9]
	s_mov_b64 s[0:1], 0
.LBB77_38:
	s_and_b64 vcc, exec, s[0:1]
	s_cbranch_vccz .LBB77_151
; %bb.39:
	s_load_dword s0, s[4:5], 0x6c
	v_mov_b32_e32 v1, s28
	s_mov_b32 s13, 0
	v_mov_b32_e32 v2, s29
	s_mov_b64 s[36:37], 0
	s_waitcnt lgkmcnt(0)
	s_and_b32 s12, s0, 0xffff
	v_cmp_lt_u64_e32 vcc, s[12:13], v[1:2]
	s_cbranch_vccnz .LBB77_41
; %bb.40:
	v_cvt_f32_u32_e32 v1, s28
	s_sub_i32 s0, 0, s28
	v_rcp_iflag_f32_e32 v1, v1
	v_mul_f32_e32 v1, 0x4f7ffffe, v1
	v_cvt_u32_f32_e32 v1, v1
	v_readfirstlane_b32 s1, v1
	s_mul_i32 s0, s0, s1
	s_mul_hi_u32 s0, s1, s0
	s_add_i32 s1, s1, s0
	s_mul_hi_u32 s0, s12, s1
	s_mul_i32 s2, s0, s28
	s_sub_i32 s2, s12, s2
	s_add_i32 s1, s0, 1
	s_sub_i32 s3, s2, s28
	s_cmp_ge_u32 s2, s28
	s_cselect_b32 s0, s1, s0
	s_cselect_b32 s2, s3, s2
	s_add_i32 s1, s0, 1
	s_cmp_ge_u32 s2, s28
	s_cselect_b32 s36, s1, s0
.LBB77_41:
	s_lshl_b64 s[0:1], s[24:25], 3
	s_add_u32 s34, s16, s0
	s_addc_u32 s35, s17, s1
	s_load_dwordx2 s[6:7], s[34:35], 0x0
	s_load_dwordx4 s[8:11], s[4:5], 0x8
	v_subrev_co_u32_e32 v1, vcc, s30, v0
	v_subb_co_u32_e64 v2, s[0:1], 0, 0, vcc
	s_waitcnt lgkmcnt(0)
	v_mov_b32_e32 v3, s7
	v_add_co_u32_e32 v4, vcc, s6, v1
	v_addc_co_u32_e32 v5, vcc, v3, v2, vcc
	v_add_co_u32_e32 v2, vcc, 0x300, v4
	v_addc_co_u32_e32 v3, vcc, 0, v5, vcc
	v_cmp_le_i64_e64 s[0:1], s[8:9], v[2:3]
	v_mov_b32_e32 v1, 0
	s_and_saveexec_b64 s[2:3], s[0:1]
	s_xor_b64 s[2:3], exec, s[2:3]
	s_cbranch_execnz .LBB77_44
; %bb.42:
	s_andn2_saveexec_b64 s[2:3], s[2:3]
	s_cbranch_execnz .LBB77_48
.LBB77_43:
	s_or_b64 exec, exec, s[2:3]
	v_cmp_gt_i64_e32 vcc, s[10:11], v[0:1]
	s_and_saveexec_b64 s[2:3], vcc
	s_cbranch_execnz .LBB77_49
	s_branch .LBB77_51
.LBB77_44:
	s_lshl_b64 s[4:5], s[26:27], 3
	s_add_u32 s4, s16, s4
	s_addc_u32 s5, s17, s5
	s_load_dwordx2 s[4:5], s[4:5], 0x0
	s_waitcnt lgkmcnt(0)
	s_sub_u32 s4, s4, s6
	s_subb_u32 s5, s5, s7
	v_cmp_gt_i64_e32 vcc, s[4:5], v[0:1]
	s_and_saveexec_b64 s[8:9], vcc
	s_cbranch_execz .LBB77_47
; %bb.45:
	v_lshlrev_b64 v[6:7], 1, v[4:5]
	v_mov_b32_e32 v8, s21
	v_add_co_u32_e32 v6, vcc, s20, v6
	v_addc_co_u32_e32 v7, vcc, v8, v7, vcc
	v_mov_b32_e32 v9, v1
	s_mov_b64 s[40:41], 0
	v_mov_b32_e32 v10, v16
	v_mov_b32_e32 v8, v0
.LBB77_46:                              ; =>This Inner Loop Header: Depth=1
	global_load_ushort v11, v[6:7], off
	v_add_co_u32_e32 v6, vcc, 0x200, v6
	v_addc_co_u32_e32 v7, vcc, 0, v7, vcc
	v_add_co_u32_e32 v8, vcc, 0x100, v8
	v_addc_co_u32_e32 v9, vcc, 0, v9, vcc
	v_cmp_le_i64_e32 vcc, s[4:5], v[8:9]
	s_or_b64 s[40:41], vcc, s[40:41]
	s_waitcnt vmcnt(0)
	v_lshlrev_b32_e32 v11, 16, v11
	v_mul_f32_e32 v11, s38, v11
	ds_write_b32 v10, v11
	v_add_u32_e32 v10, 0x400, v10
	s_andn2_b64 exec, exec, s[40:41]
	s_cbranch_execnz .LBB77_46
.LBB77_47:
	s_or_b64 exec, exec, s[8:9]
	s_andn2_saveexec_b64 s[2:3], s[2:3]
	s_cbranch_execz .LBB77_43
.LBB77_48:
	v_lshlrev_b64 v[6:7], 1, v[4:5]
	v_mov_b32_e32 v8, s21
	v_add_co_u32_e32 v6, vcc, s20, v6
	v_addc_co_u32_e32 v7, vcc, v8, v7, vcc
	global_load_ushort v8, v[6:7], off
	global_load_ushort v9, v[6:7], off offset:512
	global_load_ushort v10, v[6:7], off offset:1024
	;; [unrolled: 1-line block ×3, first 2 shown]
	s_waitcnt vmcnt(3)
	v_lshlrev_b32_e32 v6, 16, v8
	s_waitcnt vmcnt(2)
	v_lshlrev_b32_e32 v7, 16, v9
	;; [unrolled: 2-line block ×4, first 2 shown]
	v_mul_f32_e32 v6, s38, v6
	v_mul_f32_e32 v7, s38, v7
	;; [unrolled: 1-line block ×4, first 2 shown]
	ds_write2st64_b32 v16, v6, v7 offset1:4
	ds_write2st64_b32 v16, v8, v9 offset0:8 offset1:12
	s_or_b64 exec, exec, s[2:3]
	v_cmp_gt_i64_e32 vcc, s[10:11], v[0:1]
	s_and_saveexec_b64 s[2:3], vcc
	s_cbranch_execz .LBB77_51
.LBB77_49:
	v_mov_b32_e32 v6, 0x1000
	v_lshl_add_u32 v8, v0, 2, v6
	v_mov_b32_e32 v7, v1
	s_mov_b64 s[4:5], 0
	v_mov_b32_e32 v9, 0
	v_mov_b32_e32 v6, v0
.LBB77_50:                              ; =>This Inner Loop Header: Depth=1
	v_add_co_u32_e32 v6, vcc, 0x100, v6
	v_addc_co_u32_e32 v7, vcc, 0, v7, vcc
	v_cmp_le_i64_e32 vcc, s[10:11], v[6:7]
	ds_write_b32 v8, v9
	s_or_b64 s[4:5], vcc, s[4:5]
	v_add_u32_e32 v8, 0x400, v8
	s_andn2_b64 exec, exec, s[4:5]
	s_cbranch_execnz .LBB77_50
.LBB77_51:
	s_or_b64 exec, exec, s[2:3]
	v_mov_b32_e32 v6, s10
	v_mov_b32_e32 v7, s11
	s_sub_u32 s4, s26, s10
	v_cmp_ge_i64_e32 vcc, s[26:27], v[6:7]
	s_subb_u32 s5, s27, s11
	s_and_b64 s[2:3], vcc, exec
	s_cselect_b32 s9, s5, 0
	s_cselect_b32 s8, s4, 0
	s_waitcnt lgkmcnt(0)
	s_barrier
	s_and_saveexec_b64 s[2:3], s[0:1]
	s_xor_b64 s[20:21], exec, s[2:3]
	s_cbranch_execz .LBB77_67
; %bb.52:
	s_lshl_b64 s[0:1], s[26:27], 3
	s_add_u32 s0, s16, s0
	s_addc_u32 s1, s17, s1
	s_load_dwordx2 s[0:1], s[0:1], 0x0
	s_waitcnt lgkmcnt(0)
	s_sub_u32 s38, s0, s6
	s_subb_u32 s39, s1, s7
	v_cmp_gt_i64_e32 vcc, s[38:39], v[0:1]
	s_and_saveexec_b64 s[40:41], vcc
	s_cbranch_execz .LBB77_66
; %bb.53:
	s_add_u32 s42, s26, -1
	s_addc_u32 s43, s27, -1
	s_add_u32 s2, s26, -2
	s_addc_u32 s3, s27, -1
	s_cmp_lg_u64 s[24:25], s[2:3]
	s_cselect_b64 s[2:3], -1, 0
	s_sub_u32 s44, s0, s30
	v_cndmask_b32_e64 v2, 0, 1, s[2:3]
	s_subb_u32 s45, s1, 0
	s_mov_b64 s[46:47], 0
	v_cmp_ne_u32_e64 s[0:1], 1, v2
	v_mov_b32_e32 v12, s17
	v_mov_b32_e32 v13, s19
	;; [unrolled: 1-line block ×3, first 2 shown]
	s_mov_b64 s[48:49], 0
	s_branch .LBB77_55
.LBB77_54:                              ;   in Loop: Header=BB77_55 Depth=1
	s_or_b64 exec, exec, s[50:51]
	s_add_u32 s48, s48, 0x100
	s_addc_u32 s49, s49, 0
	v_mov_b32_e32 v3, s49
	v_add_co_u32_e32 v2, vcc, s48, v0
	v_addc_co_u32_e32 v3, vcc, 0, v3, vcc
	v_cmp_le_i64_e32 vcc, s[38:39], v[2:3]
	s_or_b64 s[46:47], vcc, s[46:47]
	s_andn2_b64 exec, exec, s[46:47]
	s_cbranch_execz .LBB77_66
.LBB77_55:                              ; =>This Loop Header: Depth=1
                                        ;     Child Loop BB77_57 Depth 2
                                        ;     Child Loop BB77_62 Depth 2
	v_mov_b32_e32 v3, s49
	v_add_co_u32_e32 v2, vcc, s48, v4
	v_addc_co_u32_e32 v3, vcc, v3, v5, vcc
	v_mov_b32_e32 v6, s24
	v_mov_b32_e32 v8, s42
	s_and_b64 vcc, exec, s[0:1]
	v_mov_b32_e32 v7, s25
	v_mov_b32_e32 v9, s43
	s_cbranch_vccnz .LBB77_59
; %bb.56:                               ;   in Loop: Header=BB77_55 Depth=1
	v_mov_b32_e32 v6, s24
	v_mov_b32_e32 v8, s42
	s_mov_b64 s[4:5], 0
	v_mov_b32_e32 v7, s25
	v_mov_b32_e32 v9, s43
.LBB77_57:                              ;   Parent Loop BB77_55 Depth=1
                                        ; =>  This Inner Loop Header: Depth=2
	v_add_co_u32_e32 v10, vcc, v8, v6
	v_addc_co_u32_e32 v11, vcc, v9, v7, vcc
	v_lshrrev_b32_e32 v17, 31, v11
	v_add_co_u32_e32 v10, vcc, v10, v17
	v_addc_co_u32_e32 v11, vcc, 0, v11, vcc
	v_ashrrev_i64 v[10:11], 1, v[10:11]
	v_mov_b32_e32 v15, s17
	v_lshlrev_b64 v[17:18], 3, v[10:11]
	v_add_co_u32_e32 v17, vcc, s16, v17
	v_addc_co_u32_e32 v18, vcc, v15, v18, vcc
	global_load_dwordx2 v[17:18], v[17:18], off
	s_waitcnt vmcnt(0)
	v_subrev_co_u32_e32 v17, vcc, s30, v17
	v_subbrev_co_u32_e32 v18, vcc, 0, v18, vcc
	v_cmp_lt_i64_e32 vcc, v[2:3], v[17:18]
	v_cndmask_b32_e32 v8, v8, v10, vcc
	v_cndmask_b32_e32 v9, v9, v11, vcc
	;; [unrolled: 1-line block ×3, first 2 shown]
	v_add_co_u32_e64 v10, s[2:3], -1, v8
	v_cndmask_b32_e32 v7, v11, v7, vcc
	v_addc_co_u32_e64 v11, s[2:3], -1, v9, s[2:3]
	v_cmp_ge_i64_e32 vcc, v[6:7], v[8:9]
	v_cmp_eq_u64_e64 s[2:3], v[6:7], v[10:11]
	s_or_b64 s[2:3], vcc, s[2:3]
	s_and_b64 s[2:3], exec, s[2:3]
	s_or_b64 s[4:5], s[2:3], s[4:5]
	s_andn2_b64 exec, exec, s[4:5]
	s_cbranch_execnz .LBB77_57
; %bb.58:                               ;   in Loop: Header=BB77_55 Depth=1
	s_or_b64 exec, exec, s[4:5]
.LBB77_59:                              ;   in Loop: Header=BB77_55 Depth=1
	v_lshlrev_b64 v[10:11], 3, v[8:9]
	v_lshlrev_b64 v[17:18], 2, v[2:3]
	v_add_co_u32_e32 v10, vcc, s16, v10
	v_addc_co_u32_e32 v11, vcc, v12, v11, vcc
	global_load_dwordx2 v[10:11], v[10:11], off
	v_add_co_u32_e32 v17, vcc, s18, v17
	v_addc_co_u32_e32 v18, vcc, v13, v18, vcc
	global_load_dword v15, v[17:18], off
	v_cmp_gt_i64_e64 s[2:3], s[44:45], v[2:3]
	s_waitcnt vmcnt(1)
	v_subrev_co_u32_e32 v17, vcc, s30, v10
	v_subbrev_co_u32_e32 v18, vcc, 0, v11, vcc
	v_cmp_lt_i64_e32 vcc, v[2:3], v[17:18]
	s_waitcnt vmcnt(0)
	v_subrev_u32_e32 v10, s30, v15
	v_cndmask_b32_e32 v7, v9, v7, vcc
	v_ashrrev_i32_e32 v11, 31, v10
	v_cndmask_b32_e32 v6, v8, v6, vcc
	v_cmp_ne_u64_e32 vcc, v[6:7], v[10:11]
	s_and_b64 s[2:3], vcc, s[2:3]
	s_and_saveexec_b64 s[50:51], s[2:3]
	s_cbranch_execz .LBB77_54
; %bb.60:                               ;   in Loop: Header=BB77_55 Depth=1
	v_cmp_gt_i64_e32 vcc, s[8:9], v[10:11]
	v_cmp_le_i64_e64 s[2:3], s[26:27], v[10:11]
	v_add_co_u32_e64 v8, s[4:5], s48, v0
	v_lshlrev_b64 v[2:3], 1, v[6:7]
	s_or_b64 s[2:3], vcc, s[2:3]
	v_lshlrev_b32_e32 v6, 2, v8
	s_and_saveexec_b64 s[4:5], s[2:3]
	s_xor_b64 s[2:3], exec, s[4:5]
	s_cbranch_execz .LBB77_64
; %bb.61:                               ;   in Loop: Header=BB77_55 Depth=1
	v_lshlrev_b64 v[7:8], 2, v[10:11]
	v_mov_b32_e32 v10, s23
	v_add_co_u32_e32 v2, vcc, s22, v2
	v_addc_co_u32_e32 v3, vcc, v10, v3, vcc
	v_mov_b32_e32 v9, s15
	global_load_ushort v10, v[2:3], off
	v_add_co_u32_e32 v2, vcc, s14, v7
	v_addc_co_u32_e32 v3, vcc, v9, v8, vcc
	global_load_dword v7, v[2:3], off
	ds_read_b32 v6, v6
	s_mov_b64 s[4:5], 0
	s_waitcnt vmcnt(1)
	v_lshlrev_b32_e32 v8, 16, v10
	s_waitcnt lgkmcnt(0)
	v_mul_f32_e32 v8, v6, v8
.LBB77_62:                              ;   Parent Loop BB77_55 Depth=1
                                        ; =>  This Inner Loop Header: Depth=2
	s_waitcnt vmcnt(0)
	v_add_f32_e32 v6, v7, v8
	global_atomic_cmpswap v6, v[2:3], v[6:7], off glc
	s_waitcnt vmcnt(0)
	v_cmp_eq_u32_e32 vcc, v6, v7
	s_or_b64 s[4:5], vcc, s[4:5]
	v_mov_b32_e32 v7, v6
	s_andn2_b64 exec, exec, s[4:5]
	s_cbranch_execnz .LBB77_62
; %bb.63:                               ;   in Loop: Header=BB77_55 Depth=1
	s_or_b64 exec, exec, s[4:5]
                                        ; implicit-def: $vgpr10_vgpr11
                                        ; implicit-def: $vgpr6
                                        ; implicit-def: $vgpr2_vgpr3
.LBB77_64:                              ;   in Loop: Header=BB77_55 Depth=1
	s_andn2_saveexec_b64 s[2:3], s[2:3]
	s_cbranch_execz .LBB77_54
; %bb.65:                               ;   in Loop: Header=BB77_55 Depth=1
	v_mov_b32_e32 v7, s23
	v_add_co_u32_e32 v2, vcc, s22, v2
	v_addc_co_u32_e32 v3, vcc, v7, v3, vcc
	global_load_ushort v2, v[2:3], off
	ds_read_b32 v3, v6
	v_subrev_u32_e32 v6, s8, v10
	v_lshl_add_u32 v6, v6, 2, v14
	s_waitcnt vmcnt(0)
	v_lshlrev_b32_e32 v2, 16, v2
	s_waitcnt lgkmcnt(0)
	v_mul_f32_e32 v2, v3, v2
	ds_add_f32 v6, v2
	s_branch .LBB77_54
.LBB77_66:
	s_or_b64 exec, exec, s[40:41]
                                        ; implicit-def: $vgpr2_vgpr3
                                        ; implicit-def: $vgpr4
.LBB77_67:
	s_andn2_saveexec_b64 s[4:5], s[20:21]
	s_cbranch_execz .LBB77_117
; %bb.68:
	s_add_u32 s20, s26, -1
	s_addc_u32 s21, s27, -1
	s_add_u32 s0, s26, -2
	s_addc_u32 s1, s27, -1
	s_cmp_lg_u64 s[24:25], s[0:1]
	v_mov_b32_e32 v8, s24
	v_mov_b32_e32 v10, s20
	s_cselect_b64 s[2:3], -1, 0
	s_cmp_eq_u64 s[24:25], s[0:1]
	v_mov_b32_e32 v9, s25
	v_mov_b32_e32 v11, s21
	s_cbranch_scc1 .LBB77_72
; %bb.69:
	v_mov_b32_e32 v8, s24
	v_mov_b32_e32 v10, s20
	s_mov_b64 s[38:39], 0
	v_mov_b32_e32 v9, s25
	v_mov_b32_e32 v11, s21
	;; [unrolled: 1-line block ×3, first 2 shown]
.LBB77_70:                              ; =>This Inner Loop Header: Depth=1
	v_add_co_u32_e32 v7, vcc, v10, v8
	v_addc_co_u32_e32 v13, vcc, v11, v9, vcc
	v_lshrrev_b32_e32 v12, 31, v13
	v_add_co_u32_e32 v12, vcc, v7, v12
	v_addc_co_u32_e32 v13, vcc, 0, v13, vcc
	v_ashrrev_i64 v[12:13], 1, v[12:13]
	v_lshlrev_b64 v[14:15], 3, v[12:13]
	v_add_co_u32_e32 v14, vcc, s16, v14
	v_addc_co_u32_e32 v15, vcc, v6, v15, vcc
	global_load_dwordx2 v[14:15], v[14:15], off
	s_waitcnt vmcnt(0)
	v_subrev_co_u32_e32 v14, vcc, s30, v14
	v_subbrev_co_u32_e32 v15, vcc, 0, v15, vcc
	v_cmp_lt_i64_e32 vcc, v[4:5], v[14:15]
	v_cndmask_b32_e32 v10, v10, v12, vcc
	v_cndmask_b32_e32 v11, v11, v13, vcc
	;; [unrolled: 1-line block ×3, first 2 shown]
	v_add_co_u32_e64 v12, s[0:1], -1, v10
	v_cndmask_b32_e32 v9, v13, v9, vcc
	v_addc_co_u32_e64 v13, s[0:1], -1, v11, s[0:1]
	v_cmp_ge_i64_e32 vcc, v[8:9], v[10:11]
	v_cmp_eq_u64_e64 s[0:1], v[8:9], v[12:13]
	s_or_b64 s[0:1], vcc, s[0:1]
	s_and_b64 s[0:1], exec, s[0:1]
	s_or_b64 s[38:39], s[0:1], s[38:39]
	s_andn2_b64 exec, exec, s[38:39]
	s_cbranch_execnz .LBB77_70
; %bb.71:
	s_or_b64 exec, exec, s[38:39]
.LBB77_72:
	v_lshlrev_b64 v[6:7], 3, v[10:11]
	v_mov_b32_e32 v12, s17
	v_add_co_u32_e32 v6, vcc, s16, v6
	v_addc_co_u32_e32 v7, vcc, v12, v7, vcc
	global_load_dwordx2 v[12:13], v[6:7], off
	v_lshlrev_b64 v[6:7], 2, v[4:5]
	v_mov_b32_e32 v14, s19
	v_add_co_u32_e32 v6, vcc, s18, v6
	v_addc_co_u32_e32 v7, vcc, v14, v7, vcc
	global_load_dword v17, v[6:7], off
	s_lshl_b64 s[0:1], s[26:27], 3
	s_add_u32 s18, s16, s0
	s_addc_u32 s19, s17, s1
	s_waitcnt vmcnt(1)
	v_subrev_co_u32_e32 v14, vcc, s30, v12
	v_subbrev_co_u32_e32 v15, vcc, 0, v13, vcc
	v_cmp_lt_i64_e32 vcc, v[4:5], v[14:15]
	v_cndmask_b32_e32 v9, v11, v9, vcc
	s_waitcnt vmcnt(0)
	v_subrev_u32_e32 v12, s30, v17
	v_cndmask_b32_e32 v8, v10, v8, vcc
	v_ashrrev_i32_e32 v13, 31, v12
	v_cmp_ne_u64_e32 vcc, v[8:9], v[12:13]
	s_and_saveexec_b64 s[38:39], vcc
	s_cbranch_execz .LBB77_80
; %bb.73:
	s_load_dwordx2 s[0:1], s[18:19], 0x0
	s_waitcnt lgkmcnt(0)
	s_sub_u32 s0, s0, s30
	s_subb_u32 s1, s1, 0
	v_cmp_gt_i64_e32 vcc, s[0:1], v[4:5]
	s_and_b64 exec, exec, vcc
	s_cbranch_execz .LBB77_80
; %bb.74:
	v_cmp_gt_i64_e32 vcc, s[8:9], v[12:13]
	v_cmp_le_i64_e64 s[0:1], s[26:27], v[12:13]
	v_lshlrev_b64 v[8:9], 1, v[8:9]
	s_or_b64 s[0:1], vcc, s[0:1]
	s_and_saveexec_b64 s[40:41], s[0:1]
	s_xor_b64 s[0:1], exec, s[40:41]
	s_cbranch_execz .LBB77_78
; %bb.75:
	v_lshlrev_b64 v[10:11], 2, v[12:13]
	v_mov_b32_e32 v13, s23
	v_add_co_u32_e32 v8, vcc, s22, v8
	v_addc_co_u32_e32 v9, vcc, v13, v9, vcc
	v_mov_b32_e32 v12, s15
	global_load_ushort v13, v[8:9], off
	v_add_co_u32_e32 v8, vcc, s14, v10
	v_addc_co_u32_e32 v9, vcc, v12, v11, vcc
	global_load_dword v11, v[8:9], off
	ds_read_b32 v10, v16
	s_mov_b64 s[40:41], 0
	s_waitcnt vmcnt(1)
	v_lshlrev_b32_e32 v12, 16, v13
	s_waitcnt lgkmcnt(0)
	v_mul_f32_e32 v12, v10, v12
.LBB77_76:                              ; =>This Inner Loop Header: Depth=1
	s_waitcnt vmcnt(0)
	v_add_f32_e32 v10, v11, v12
	global_atomic_cmpswap v10, v[8:9], v[10:11], off glc
	s_waitcnt vmcnt(0)
	v_cmp_eq_u32_e32 vcc, v10, v11
	s_or_b64 s[40:41], vcc, s[40:41]
	v_mov_b32_e32 v11, v10
	s_andn2_b64 exec, exec, s[40:41]
	s_cbranch_execnz .LBB77_76
; %bb.77:
	s_or_b64 exec, exec, s[40:41]
                                        ; implicit-def: $vgpr12_vgpr13
                                        ; implicit-def: $vgpr8_vgpr9
.LBB77_78:
	s_andn2_saveexec_b64 s[0:1], s[0:1]
	s_cbranch_execz .LBB77_80
; %bb.79:
	v_mov_b32_e32 v10, s23
	v_add_co_u32_e32 v8, vcc, s22, v8
	v_addc_co_u32_e32 v9, vcc, v10, v9, vcc
	global_load_ushort v8, v[8:9], off
	ds_read_b32 v9, v16
	v_subrev_u32_e32 v10, s8, v12
	v_mov_b32_e32 v11, 0x1000
	v_lshl_add_u32 v10, v10, 2, v11
	s_waitcnt vmcnt(0)
	v_lshlrev_b32_e32 v8, 16, v8
	s_waitcnt lgkmcnt(0)
	v_mul_f32_e32 v8, v9, v8
	ds_add_f32 v10, v8
.LBB77_80:
	s_or_b64 exec, exec, s[38:39]
	v_add_co_u32_e32 v8, vcc, 0x100, v4
	v_cndmask_b32_e64 v10, 0, 1, s[2:3]
	v_addc_co_u32_e32 v9, vcc, 0, v5, vcc
	v_cmp_ne_u32_e64 s[0:1], 1, v10
	v_mov_b32_e32 v10, s24
	v_mov_b32_e32 v12, s20
	s_andn2_b64 vcc, exec, s[2:3]
	v_mov_b32_e32 v11, s25
	v_mov_b32_e32 v13, s21
	s_cbranch_vccnz .LBB77_84
; %bb.81:
	v_mov_b32_e32 v10, s24
	v_mov_b32_e32 v12, s20
	s_mov_b64 s[38:39], 0
	v_mov_b32_e32 v11, s25
	v_mov_b32_e32 v13, s21
	;; [unrolled: 1-line block ×3, first 2 shown]
.LBB77_82:                              ; =>This Inner Loop Header: Depth=1
	v_add_co_u32_e32 v15, vcc, v12, v10
	v_addc_co_u32_e32 v18, vcc, v13, v11, vcc
	v_lshrrev_b32_e32 v17, 31, v18
	v_add_co_u32_e32 v17, vcc, v15, v17
	v_addc_co_u32_e32 v18, vcc, 0, v18, vcc
	v_ashrrev_i64 v[17:18], 1, v[17:18]
	v_lshlrev_b64 v[19:20], 3, v[17:18]
	v_add_co_u32_e32 v19, vcc, s16, v19
	v_addc_co_u32_e32 v20, vcc, v14, v20, vcc
	global_load_dwordx2 v[19:20], v[19:20], off
	s_waitcnt vmcnt(0)
	v_subrev_co_u32_e32 v19, vcc, s30, v19
	v_subbrev_co_u32_e32 v20, vcc, 0, v20, vcc
	v_cmp_lt_i64_e32 vcc, v[8:9], v[19:20]
	v_cndmask_b32_e32 v12, v12, v17, vcc
	v_cndmask_b32_e32 v13, v13, v18, vcc
	;; [unrolled: 1-line block ×3, first 2 shown]
	v_add_co_u32_e64 v17, s[2:3], -1, v12
	v_cndmask_b32_e32 v11, v18, v11, vcc
	v_addc_co_u32_e64 v18, s[2:3], -1, v13, s[2:3]
	v_cmp_ge_i64_e32 vcc, v[10:11], v[12:13]
	v_cmp_eq_u64_e64 s[2:3], v[10:11], v[17:18]
	s_or_b64 s[2:3], vcc, s[2:3]
	s_and_b64 s[2:3], exec, s[2:3]
	s_or_b64 s[38:39], s[2:3], s[38:39]
	s_andn2_b64 exec, exec, s[38:39]
	s_cbranch_execnz .LBB77_82
; %bb.83:
	s_or_b64 exec, exec, s[38:39]
.LBB77_84:
	v_lshlrev_b64 v[14:15], 3, v[12:13]
	v_mov_b32_e32 v17, s17
	v_add_co_u32_e32 v14, vcc, s16, v14
	v_addc_co_u32_e32 v15, vcc, v17, v15, vcc
	global_load_dwordx2 v[17:18], v[14:15], off
	global_load_dword v19, v[6:7], off offset:1024
	s_waitcnt vmcnt(1)
	v_subrev_co_u32_e32 v17, vcc, s30, v17
	v_subbrev_co_u32_e32 v18, vcc, 0, v18, vcc
	v_cmp_lt_i64_e32 vcc, v[8:9], v[17:18]
	s_waitcnt vmcnt(0)
	v_subrev_u32_e32 v14, s30, v19
	v_cndmask_b32_e32 v11, v13, v11, vcc
	v_cndmask_b32_e32 v10, v12, v10, vcc
	v_ashrrev_i32_e32 v15, 31, v14
	v_cmp_ne_u64_e32 vcc, v[10:11], v[14:15]
	s_and_saveexec_b64 s[38:39], vcc
	s_cbranch_execz .LBB77_92
; %bb.85:
	s_load_dwordx2 s[2:3], s[18:19], 0x0
	s_waitcnt lgkmcnt(0)
	s_sub_u32 s2, s2, s30
	s_subb_u32 s3, s3, 0
	v_cmp_gt_i64_e32 vcc, s[2:3], v[8:9]
	s_and_b64 exec, exec, vcc
	s_cbranch_execz .LBB77_92
; %bb.86:
	v_cmp_gt_i64_e32 vcc, s[8:9], v[14:15]
	v_cmp_le_i64_e64 s[2:3], s[26:27], v[14:15]
	v_lshlrev_b64 v[8:9], 1, v[10:11]
	s_or_b64 s[2:3], vcc, s[2:3]
	s_and_saveexec_b64 s[40:41], s[2:3]
	s_xor_b64 s[2:3], exec, s[40:41]
	s_cbranch_execz .LBB77_90
; %bb.87:
	v_lshlrev_b64 v[10:11], 2, v[14:15]
	v_mov_b32_e32 v13, s23
	v_add_co_u32_e32 v8, vcc, s22, v8
	v_addc_co_u32_e32 v9, vcc, v13, v9, vcc
	v_mov_b32_e32 v12, s15
	global_load_ushort v13, v[8:9], off
	v_add_co_u32_e32 v8, vcc, s14, v10
	v_addc_co_u32_e32 v9, vcc, v12, v11, vcc
	global_load_dword v11, v[8:9], off
	ds_read_b32 v10, v16 offset:1024
	s_mov_b64 s[40:41], 0
	s_waitcnt vmcnt(1)
	v_lshlrev_b32_e32 v12, 16, v13
	s_waitcnt lgkmcnt(0)
	v_mul_f32_e32 v12, v10, v12
.LBB77_88:                              ; =>This Inner Loop Header: Depth=1
	s_waitcnt vmcnt(0)
	v_add_f32_e32 v10, v11, v12
	global_atomic_cmpswap v10, v[8:9], v[10:11], off glc
	s_waitcnt vmcnt(0)
	v_cmp_eq_u32_e32 vcc, v10, v11
	s_or_b64 s[40:41], vcc, s[40:41]
	v_mov_b32_e32 v11, v10
	s_andn2_b64 exec, exec, s[40:41]
	s_cbranch_execnz .LBB77_88
; %bb.89:
	s_or_b64 exec, exec, s[40:41]
                                        ; implicit-def: $vgpr14_vgpr15
                                        ; implicit-def: $vgpr8_vgpr9
.LBB77_90:
	s_andn2_saveexec_b64 s[2:3], s[2:3]
	s_cbranch_execz .LBB77_92
; %bb.91:
	v_mov_b32_e32 v10, s23
	v_add_co_u32_e32 v8, vcc, s22, v8
	v_addc_co_u32_e32 v9, vcc, v10, v9, vcc
	global_load_ushort v8, v[8:9], off
	ds_read_b32 v9, v16 offset:1024
	v_subrev_u32_e32 v10, s8, v14
	v_mov_b32_e32 v11, 0x1000
	v_lshl_add_u32 v10, v10, 2, v11
	s_waitcnt vmcnt(0)
	v_lshlrev_b32_e32 v8, 16, v8
	s_waitcnt lgkmcnt(0)
	v_mul_f32_e32 v8, v9, v8
	ds_add_f32 v10, v8
.LBB77_92:
	s_or_b64 exec, exec, s[38:39]
	v_add_co_u32_e32 v4, vcc, 0x200, v4
	v_addc_co_u32_e32 v5, vcc, 0, v5, vcc
	v_mov_b32_e32 v8, s24
	v_mov_b32_e32 v10, s20
	s_and_b64 vcc, exec, s[0:1]
	v_mov_b32_e32 v9, s25
	v_mov_b32_e32 v11, s21
	s_cbranch_vccnz .LBB77_96
; %bb.93:
	v_mov_b32_e32 v8, s24
	v_mov_b32_e32 v10, s20
	s_mov_b64 s[38:39], 0
	v_mov_b32_e32 v9, s25
	v_mov_b32_e32 v11, s21
	;; [unrolled: 1-line block ×3, first 2 shown]
.LBB77_94:                              ; =>This Inner Loop Header: Depth=1
	v_add_co_u32_e32 v13, vcc, v10, v8
	v_addc_co_u32_e32 v14, vcc, v11, v9, vcc
	v_lshrrev_b32_e32 v15, 31, v14
	v_add_co_u32_e32 v13, vcc, v13, v15
	v_addc_co_u32_e32 v14, vcc, 0, v14, vcc
	v_ashrrev_i64 v[13:14], 1, v[13:14]
	v_lshlrev_b64 v[17:18], 3, v[13:14]
	v_add_co_u32_e32 v17, vcc, s16, v17
	v_addc_co_u32_e32 v18, vcc, v12, v18, vcc
	global_load_dwordx2 v[17:18], v[17:18], off
	s_waitcnt vmcnt(0)
	v_subrev_co_u32_e32 v17, vcc, s30, v17
	v_subbrev_co_u32_e32 v18, vcc, 0, v18, vcc
	v_cmp_lt_i64_e32 vcc, v[4:5], v[17:18]
	v_cndmask_b32_e32 v10, v10, v13, vcc
	v_cndmask_b32_e32 v11, v11, v14, vcc
	;; [unrolled: 1-line block ×3, first 2 shown]
	v_add_co_u32_e64 v13, s[2:3], -1, v10
	v_cndmask_b32_e32 v9, v14, v9, vcc
	v_addc_co_u32_e64 v14, s[2:3], -1, v11, s[2:3]
	v_cmp_ge_i64_e32 vcc, v[8:9], v[10:11]
	v_cmp_eq_u64_e64 s[2:3], v[8:9], v[13:14]
	s_or_b64 s[2:3], vcc, s[2:3]
	s_and_b64 s[2:3], exec, s[2:3]
	s_or_b64 s[38:39], s[2:3], s[38:39]
	s_andn2_b64 exec, exec, s[38:39]
	s_cbranch_execnz .LBB77_94
; %bb.95:
	s_or_b64 exec, exec, s[38:39]
.LBB77_96:
	v_lshlrev_b64 v[12:13], 3, v[10:11]
	v_mov_b32_e32 v14, s17
	v_add_co_u32_e32 v12, vcc, s16, v12
	v_addc_co_u32_e32 v13, vcc, v14, v13, vcc
	global_load_dwordx2 v[13:14], v[12:13], off
	s_waitcnt vmcnt(0)
	v_subrev_co_u32_e32 v13, vcc, s30, v13
	global_load_dword v15, v[6:7], off offset:2048
	v_subbrev_co_u32_e32 v14, vcc, 0, v14, vcc
	v_cmp_lt_i64_e32 vcc, v[4:5], v[13:14]
	v_cndmask_b32_e32 v9, v11, v9, vcc
	v_cndmask_b32_e32 v8, v10, v8, vcc
	s_waitcnt vmcnt(0)
	v_subrev_u32_e32 v12, s30, v15
	v_ashrrev_i32_e32 v13, 31, v12
	v_cmp_ne_u64_e32 vcc, v[8:9], v[12:13]
	s_and_saveexec_b64 s[38:39], vcc
	s_cbranch_execz .LBB77_104
; %bb.97:
	s_load_dwordx2 s[2:3], s[18:19], 0x0
	s_waitcnt lgkmcnt(0)
	s_sub_u32 s2, s2, s30
	s_subb_u32 s3, s3, 0
	v_cmp_gt_i64_e32 vcc, s[2:3], v[4:5]
	s_and_b64 exec, exec, vcc
	s_cbranch_execz .LBB77_104
; %bb.98:
	v_cmp_gt_i64_e32 vcc, s[8:9], v[12:13]
	v_cmp_le_i64_e64 s[2:3], s[26:27], v[12:13]
	v_lshlrev_b64 v[4:5], 1, v[8:9]
	s_or_b64 s[2:3], vcc, s[2:3]
	s_and_saveexec_b64 s[40:41], s[2:3]
	s_xor_b64 s[2:3], exec, s[40:41]
	s_cbranch_execz .LBB77_102
; %bb.99:
	v_lshlrev_b64 v[8:9], 2, v[12:13]
	v_mov_b32_e32 v11, s23
	v_add_co_u32_e32 v4, vcc, s22, v4
	v_addc_co_u32_e32 v5, vcc, v11, v5, vcc
	v_mov_b32_e32 v10, s15
	global_load_ushort v11, v[4:5], off
	v_add_co_u32_e32 v4, vcc, s14, v8
	v_addc_co_u32_e32 v5, vcc, v10, v9, vcc
	global_load_dword v9, v[4:5], off
	ds_read_b32 v8, v16 offset:2048
	s_mov_b64 s[40:41], 0
	s_waitcnt vmcnt(1)
	v_lshlrev_b32_e32 v10, 16, v11
	s_waitcnt lgkmcnt(0)
	v_mul_f32_e32 v10, v8, v10
.LBB77_100:                             ; =>This Inner Loop Header: Depth=1
	s_waitcnt vmcnt(0)
	v_add_f32_e32 v8, v9, v10
	global_atomic_cmpswap v8, v[4:5], v[8:9], off glc
	s_waitcnt vmcnt(0)
	v_cmp_eq_u32_e32 vcc, v8, v9
	s_or_b64 s[40:41], vcc, s[40:41]
	v_mov_b32_e32 v9, v8
	s_andn2_b64 exec, exec, s[40:41]
	s_cbranch_execnz .LBB77_100
; %bb.101:
	s_or_b64 exec, exec, s[40:41]
                                        ; implicit-def: $vgpr12_vgpr13
                                        ; implicit-def: $vgpr4_vgpr5
.LBB77_102:
	s_andn2_saveexec_b64 s[2:3], s[2:3]
	s_cbranch_execz .LBB77_104
; %bb.103:
	v_mov_b32_e32 v8, s23
	v_add_co_u32_e32 v4, vcc, s22, v4
	v_addc_co_u32_e32 v5, vcc, v8, v5, vcc
	global_load_ushort v4, v[4:5], off
	ds_read_b32 v5, v16 offset:2048
	v_subrev_u32_e32 v8, s8, v12
	v_mov_b32_e32 v9, 0x1000
	v_lshl_add_u32 v8, v8, 2, v9
	s_waitcnt vmcnt(0)
	v_lshlrev_b32_e32 v4, 16, v4
	s_waitcnt lgkmcnt(0)
	v_mul_f32_e32 v4, v5, v4
	ds_add_f32 v8, v4
.LBB77_104:
	s_or_b64 exec, exec, s[38:39]
	v_mov_b32_e32 v4, s24
	v_mov_b32_e32 v8, s20
	s_and_b64 vcc, exec, s[0:1]
	v_mov_b32_e32 v5, s25
	v_mov_b32_e32 v9, s21
	s_cbranch_vccnz .LBB77_108
; %bb.105:
	v_mov_b32_e32 v4, s24
	v_mov_b32_e32 v8, s20
	s_mov_b64 s[2:3], 0
	v_mov_b32_e32 v5, s25
	v_mov_b32_e32 v9, s21
	v_mov_b32_e32 v10, s17
.LBB77_106:                             ; =>This Inner Loop Header: Depth=1
	v_add_co_u32_e32 v11, vcc, v8, v4
	v_addc_co_u32_e32 v12, vcc, v9, v5, vcc
	v_lshrrev_b32_e32 v13, 31, v12
	v_add_co_u32_e32 v11, vcc, v11, v13
	v_addc_co_u32_e32 v12, vcc, 0, v12, vcc
	v_ashrrev_i64 v[11:12], 1, v[11:12]
	v_lshlrev_b64 v[13:14], 3, v[11:12]
	v_add_co_u32_e32 v13, vcc, s16, v13
	v_addc_co_u32_e32 v14, vcc, v10, v14, vcc
	global_load_dwordx2 v[13:14], v[13:14], off
	s_waitcnt vmcnt(0)
	v_subrev_co_u32_e32 v13, vcc, s30, v13
	v_subbrev_co_u32_e32 v14, vcc, 0, v14, vcc
	v_cmp_lt_i64_e32 vcc, v[2:3], v[13:14]
	v_cndmask_b32_e32 v8, v8, v11, vcc
	v_cndmask_b32_e32 v9, v9, v12, vcc
	;; [unrolled: 1-line block ×3, first 2 shown]
	v_add_co_u32_e64 v11, s[0:1], -1, v8
	v_cndmask_b32_e32 v5, v12, v5, vcc
	v_addc_co_u32_e64 v12, s[0:1], -1, v9, s[0:1]
	v_cmp_ge_i64_e32 vcc, v[4:5], v[8:9]
	v_cmp_eq_u64_e64 s[0:1], v[4:5], v[11:12]
	s_or_b64 s[0:1], vcc, s[0:1]
	s_and_b64 s[0:1], exec, s[0:1]
	s_or_b64 s[2:3], s[0:1], s[2:3]
	s_andn2_b64 exec, exec, s[2:3]
	s_cbranch_execnz .LBB77_106
; %bb.107:
	s_or_b64 exec, exec, s[2:3]
.LBB77_108:
	v_lshlrev_b64 v[10:11], 3, v[8:9]
	v_mov_b32_e32 v12, s17
	global_load_dword v13, v[6:7], off offset:3072
	v_add_co_u32_e32 v6, vcc, s16, v10
	v_addc_co_u32_e32 v7, vcc, v12, v11, vcc
	global_load_dwordx2 v[10:11], v[6:7], off
	s_waitcnt vmcnt(1)
	v_subrev_u32_e32 v6, s30, v13
	v_ashrrev_i32_e32 v7, 31, v6
	s_waitcnt vmcnt(0)
	v_subrev_co_u32_e32 v10, vcc, s30, v10
	v_subbrev_co_u32_e32 v11, vcc, 0, v11, vcc
	v_cmp_lt_i64_e32 vcc, v[2:3], v[10:11]
	v_cndmask_b32_e32 v5, v9, v5, vcc
	v_cndmask_b32_e32 v4, v8, v4, vcc
	v_cmp_ne_u64_e32 vcc, v[4:5], v[6:7]
	s_and_saveexec_b64 s[2:3], vcc
	s_cbranch_execz .LBB77_116
; %bb.109:
	s_load_dwordx2 s[0:1], s[18:19], 0x0
	s_waitcnt lgkmcnt(0)
	s_sub_u32 s0, s0, s30
	s_subb_u32 s1, s1, 0
	v_cmp_gt_i64_e32 vcc, s[0:1], v[2:3]
	s_and_b64 exec, exec, vcc
	s_cbranch_execz .LBB77_116
; %bb.110:
	v_cmp_gt_i64_e32 vcc, s[8:9], v[6:7]
	v_cmp_le_i64_e64 s[0:1], s[26:27], v[6:7]
	v_lshlrev_b64 v[2:3], 1, v[4:5]
	s_or_b64 s[0:1], vcc, s[0:1]
	s_and_saveexec_b64 s[18:19], s[0:1]
	s_xor_b64 s[0:1], exec, s[18:19]
	s_cbranch_execz .LBB77_114
; %bb.111:
	v_lshlrev_b64 v[4:5], 2, v[6:7]
	v_mov_b32_e32 v7, s23
	v_add_co_u32_e32 v2, vcc, s22, v2
	v_addc_co_u32_e32 v3, vcc, v7, v3, vcc
	v_mov_b32_e32 v6, s15
	global_load_ushort v7, v[2:3], off
	v_add_co_u32_e32 v2, vcc, s14, v4
	v_addc_co_u32_e32 v3, vcc, v6, v5, vcc
	global_load_dword v5, v[2:3], off
	ds_read_b32 v4, v16 offset:3072
	s_mov_b64 s[18:19], 0
	s_waitcnt vmcnt(1)
	v_lshlrev_b32_e32 v6, 16, v7
	s_waitcnt lgkmcnt(0)
	v_mul_f32_e32 v6, v4, v6
.LBB77_112:                             ; =>This Inner Loop Header: Depth=1
	s_waitcnt vmcnt(0)
	v_add_f32_e32 v4, v5, v6
	global_atomic_cmpswap v4, v[2:3], v[4:5], off glc
	s_waitcnt vmcnt(0)
	v_cmp_eq_u32_e32 vcc, v4, v5
	s_or_b64 s[18:19], vcc, s[18:19]
	v_mov_b32_e32 v5, v4
	s_andn2_b64 exec, exec, s[18:19]
	s_cbranch_execnz .LBB77_112
; %bb.113:
	s_or_b64 exec, exec, s[18:19]
                                        ; implicit-def: $vgpr6_vgpr7
                                        ; implicit-def: $vgpr2_vgpr3
.LBB77_114:
	s_andn2_saveexec_b64 s[0:1], s[0:1]
	s_cbranch_execz .LBB77_116
; %bb.115:
	v_mov_b32_e32 v4, s23
	v_add_co_u32_e32 v2, vcc, s22, v2
	v_addc_co_u32_e32 v3, vcc, v4, v3, vcc
	global_load_ushort v2, v[2:3], off
	ds_read_b32 v3, v16 offset:3072
	v_subrev_u32_e32 v4, s8, v6
	v_mov_b32_e32 v5, 0x1000
	v_lshl_add_u32 v4, v4, 2, v5
	s_waitcnt vmcnt(0)
	v_lshlrev_b32_e32 v2, 16, v2
	s_waitcnt lgkmcnt(0)
	v_mul_f32_e32 v2, v3, v2
	ds_add_f32 v4, v2
.LBB77_116:
	s_or_b64 exec, exec, s[2:3]
.LBB77_117:
	s_or_b64 exec, exec, s[4:5]
	v_mov_b32_e32 v2, s10
	v_mov_b32_e32 v3, s11
	v_cmp_lt_i64_e32 vcc, s[26:27], v[2:3]
	s_waitcnt lgkmcnt(0)
	s_and_b64 s[0:1], vcc, exec
	s_cselect_b32 s10, s26, s10
	s_cselect_b32 s0, s27, s11
	s_sub_u32 s2, s10, s28
	s_subb_u32 s3, s0, s29
	v_cmp_gt_i64_e32 vcc, s[2:3], v[0:1]
	s_barrier
	s_and_saveexec_b64 s[0:1], vcc
	s_cbranch_execz .LBB77_122
; %bb.118:
	s_lshl_b64 s[4:5], s[8:9], 2
	s_add_u32 s11, s14, s4
	s_addc_u32 s8, s15, s5
	v_mov_b32_e32 v3, v1
	s_mov_b64 s[4:5], 0
	v_mov_b32_e32 v8, s8
	v_mov_b32_e32 v9, 0x1000
	v_mov_b32_e32 v2, v0
.LBB77_119:                             ; =>This Loop Header: Depth=1
                                        ;     Child Loop BB77_120 Depth 2
	v_lshlrev_b64 v[4:5], 2, v[2:3]
	v_lshl_add_u32 v6, v2, 2, v9
	v_add_co_u32_e32 v4, vcc, s11, v4
	v_addc_co_u32_e32 v5, vcc, v8, v5, vcc
	global_load_dword v7, v[4:5], off
	ds_read_b32 v10, v6
	s_mov_b64 s[8:9], 0
.LBB77_120:                             ;   Parent Loop BB77_119 Depth=1
                                        ; =>  This Inner Loop Header: Depth=2
	s_waitcnt vmcnt(0) lgkmcnt(0)
	v_add_f32_e32 v6, v7, v10
	global_atomic_cmpswap v6, v[4:5], v[6:7], off glc
	s_waitcnt vmcnt(0)
	v_cmp_eq_u32_e32 vcc, v6, v7
	s_or_b64 s[8:9], vcc, s[8:9]
	v_mov_b32_e32 v7, v6
	s_andn2_b64 exec, exec, s[8:9]
	s_cbranch_execnz .LBB77_120
; %bb.121:                              ;   in Loop: Header=BB77_119 Depth=1
	s_or_b64 exec, exec, s[8:9]
	v_add_co_u32_e32 v2, vcc, 0x100, v2
	v_addc_co_u32_e32 v3, vcc, 0, v3, vcc
	v_cmp_le_i64_e32 vcc, s[2:3], v[2:3]
	s_or_b64 s[4:5], vcc, s[4:5]
	s_andn2_b64 exec, exec, s[4:5]
	s_cbranch_execnz .LBB77_119
.LBB77_122:
	s_or_b64 exec, exec, s[0:1]
	s_add_i32 s0, s36, -1
	s_ashr_i32 s1, s0, 1
	s_or_b32 s0, s1, s0
	s_ashr_i32 s1, s0, 2
	s_or_b32 s0, s1, s0
	;; [unrolled: 2-line block ×5, first 2 shown]
	s_add_i32 s0, s0, 1
	s_ashr_i32 s3, s0, 1
	v_mov_b32_e32 v2, s25
	v_add_co_u32_e32 v6, vcc, s24, v0
	v_addc_co_u32_e32 v7, vcc, 0, v2, vcc
	s_cmp_gt_i32 s3, 1
	s_mov_b64 s[0:1], -1
	s_barrier
	s_cbranch_scc1 .LBB77_133
; %bb.123:
	v_cmp_gt_i64_e32 vcc, s[26:27], v[6:7]
	s_and_saveexec_b64 s[0:1], vcc
	s_cbranch_execz .LBB77_132
; %bb.124:
	s_sub_i32 s4, s10, s26
	s_lshl_b32 s4, s4, 2
	s_add_i32 s13, s4, 0x1000
	s_lshl_b32 s4, s6, 2
	v_mov_b32_e32 v9, v7
	s_sub_i32 s18, 0, s4
	s_mov_b64 s[4:5], 0
	v_mov_b32_e32 v12, s17
	v_mov_b32_e32 v13, s15
	;; [unrolled: 1-line block ×3, first 2 shown]
.LBB77_125:                             ; =>This Loop Header: Depth=1
                                        ;     Child Loop BB77_127 Depth 2
                                        ;     Child Loop BB77_130 Depth 2
	v_lshlrev_b64 v[2:3], 3, v[8:9]
	v_mov_b32_e32 v14, 0
	v_add_co_u32_e32 v2, vcc, s16, v2
	v_addc_co_u32_e32 v3, vcc, v12, v3, vcc
	global_load_dwordx4 v[2:5], v[2:3], off
	s_waitcnt vmcnt(0)
	v_cmp_lt_i64_e32 vcc, v[2:3], v[4:5]
	s_and_saveexec_b64 s[8:9], vcc
	s_cbranch_execz .LBB77_129
; %bb.126:                              ;   in Loop: Header=BB77_125 Depth=1
	v_mov_b32_e32 v10, s7
	v_subrev_co_u32_e32 v4, vcc, s6, v4
	v_subb_co_u32_e32 v5, vcc, v5, v10, vcc
	v_mov_b32_e32 v11, s7
	v_subrev_co_u32_e32 v10, vcc, s6, v2
	v_subb_co_u32_e32 v11, vcc, v3, v11, vcc
	v_lshl_add_u32 v2, v2, 2, s18
	v_mov_b32_e32 v14, 0
	s_mov_b64 s[10:11], 0
.LBB77_127:                             ;   Parent Loop BB77_125 Depth=1
                                        ; =>  This Inner Loop Header: Depth=2
	ds_read_b32 v3, v2
	v_add_co_u32_e32 v10, vcc, 1, v10
	v_addc_co_u32_e32 v11, vcc, 0, v11, vcc
	v_cmp_ge_i64_e32 vcc, v[10:11], v[4:5]
	v_add_u32_e32 v2, 4, v2
	s_or_b64 s[10:11], vcc, s[10:11]
	s_waitcnt lgkmcnt(0)
	v_add_f32_e32 v14, v14, v3
	s_andn2_b64 exec, exec, s[10:11]
	s_cbranch_execnz .LBB77_127
; %bb.128:                              ;   in Loop: Header=BB77_125 Depth=1
	s_or_b64 exec, exec, s[10:11]
.LBB77_129:                             ;   in Loop: Header=BB77_125 Depth=1
	s_or_b64 exec, exec, s[8:9]
	v_lshlrev_b64 v[2:3], 2, v[8:9]
	v_lshl_add_u32 v4, v8, 2, s13
	v_add_co_u32_e32 v2, vcc, s14, v2
	v_addc_co_u32_e32 v3, vcc, v13, v3, vcc
	global_load_dword v5, v[2:3], off
	ds_read_b32 v4, v4
	s_mov_b64 s[8:9], 0
	s_waitcnt lgkmcnt(0)
	v_add_f32_e32 v10, v14, v4
.LBB77_130:                             ;   Parent Loop BB77_125 Depth=1
                                        ; =>  This Inner Loop Header: Depth=2
	s_waitcnt vmcnt(0)
	v_add_f32_e32 v4, v5, v10
	global_atomic_cmpswap v4, v[2:3], v[4:5], off glc
	s_waitcnt vmcnt(0)
	v_cmp_eq_u32_e32 vcc, v4, v5
	s_or_b64 s[8:9], vcc, s[8:9]
	v_mov_b32_e32 v5, v4
	s_andn2_b64 exec, exec, s[8:9]
	s_cbranch_execnz .LBB77_130
; %bb.131:                              ;   in Loop: Header=BB77_125 Depth=1
	s_or_b64 exec, exec, s[8:9]
	v_add_co_u32_e32 v8, vcc, s12, v8
	v_addc_co_u32_e32 v9, vcc, 0, v9, vcc
	v_cmp_le_i64_e32 vcc, s[26:27], v[8:9]
	s_or_b64 s[4:5], vcc, s[4:5]
	s_andn2_b64 exec, exec, s[4:5]
	s_cbranch_execnz .LBB77_125
.LBB77_132:
	s_or_b64 exec, exec, s[0:1]
	s_mov_b64 s[0:1], 0
.LBB77_133:
	s_andn2_b64 vcc, exec, s[0:1]
	s_cbranch_vccnz .LBB77_151
; %bb.134:
	v_cvt_f32_u32_e32 v2, s3
	s_sub_i32 s8, 0, s3
	v_mov_b32_e32 v5, 0
	v_mov_b32_e32 v8, s35
	v_rcp_iflag_f32_e32 v2, v2
	v_mov_b32_e32 v13, s7
	v_mul_f32_e32 v2, 0x4f7ffffe, v2
	v_cvt_u32_f32_e32 v2, v2
	v_mul_lo_u32 v3, s8, v2
	v_mul_hi_u32 v3, v2, v3
	v_add_u32_e32 v2, v2, v3
	v_mul_hi_u32 v2, v0, v2
	v_mul_lo_u32 v3, v2, s3
	v_add_u32_e32 v4, 1, v2
	v_sub_u32_e32 v3, v0, v3
	v_cmp_le_u32_e32 vcc, s3, v3
	v_cndmask_b32_e32 v2, v2, v4, vcc
	v_subrev_u32_e32 v4, s3, v3
	v_cndmask_b32_e32 v3, v3, v4, vcc
	v_add_u32_e32 v4, 1, v2
	v_cmp_le_u32_e32 vcc, s3, v3
	v_cndmask_b32_e32 v4, v2, v4, vcc
	v_lshlrev_b64 v[2:3], 3, v[4:5]
	v_add_co_u32_e32 v2, vcc, s34, v2
	v_addc_co_u32_e32 v3, vcc, v8, v3, vcc
	global_load_dwordx4 v[8:11], v[2:3], off
	v_mov_b32_e32 v3, s7
	s_waitcnt vmcnt(0)
	v_subrev_co_u32_e32 v2, vcc, s6, v8
	v_subb_co_u32_e32 v3, vcc, v9, v3, vcc
	v_subrev_co_u32_e32 v12, vcc, s6, v10
	v_subb_co_u32_e32 v13, vcc, v11, v13, vcc
	v_sub_co_u32_e32 v11, vcc, v12, v2
	v_subb_co_u32_e32 v10, vcc, v13, v3, vcc
	v_mov_b32_e32 v9, v5
	v_cmp_ne_u64_e32 vcc, 0, v[9:10]
                                        ; implicit-def: $vgpr8_vgpr9
	s_and_saveexec_b64 s[0:1], vcc
	s_xor_b64 s[4:5], exec, s[0:1]
	s_cbranch_execz .LBB77_136
; %bb.135:
	s_add_u32 s0, s3, 0
	s_addc_u32 s1, 0, 0
	s_xor_b64 s[6:7], s[0:1], 0
	v_cvt_f32_u32_e32 v8, s6
	v_cvt_f32_u32_e32 v9, s7
	s_sub_u32 s9, 0, s6
	s_subb_u32 s10, 0, s7
	v_ashrrev_i32_e32 v14, 31, v10
	v_madmk_f32 v8, v9, 0x4f800000, v8
	v_rcp_f32_e32 v8, v8
	v_mul_f32_e32 v8, 0x5f7ffffc, v8
	v_mul_f32_e32 v9, 0x2f800000, v8
	v_trunc_f32_e32 v9, v9
	v_madmk_f32 v8, v9, 0xcf800000, v8
	v_cvt_u32_f32_e32 v9, v9
	v_cvt_u32_f32_e32 v8, v8
	v_readfirstlane_b32 s11, v9
	v_readfirstlane_b32 s0, v8
	s_mul_i32 s1, s9, s11
	s_mul_hi_u32 s13, s9, s0
	s_mul_i32 s12, s10, s0
	s_add_i32 s1, s13, s1
	s_mul_i32 s16, s9, s0
	s_add_i32 s1, s1, s12
	s_mul_i32 s13, s0, s1
	s_mul_hi_u32 s17, s0, s16
	s_mul_hi_u32 s12, s0, s1
	s_add_u32 s13, s17, s13
	s_addc_u32 s12, 0, s12
	s_mul_hi_u32 s18, s11, s16
	s_mul_i32 s16, s11, s16
	s_add_u32 s13, s13, s16
	s_mul_hi_u32 s17, s11, s1
	s_addc_u32 s12, s12, s18
	s_addc_u32 s13, s17, 0
	s_mul_i32 s1, s11, s1
	s_add_u32 s1, s12, s1
	s_addc_u32 s12, 0, s13
	s_add_u32 s13, s0, s1
	s_cselect_b64 s[0:1], -1, 0
	s_cmp_lg_u64 s[0:1], 0
	s_addc_u32 s11, s11, s12
	s_mul_i32 s0, s9, s11
	s_mul_hi_u32 s1, s9, s13
	s_add_i32 s0, s1, s0
	s_mul_i32 s10, s10, s13
	s_add_i32 s0, s0, s10
	s_mul_i32 s9, s9, s13
	s_mul_hi_u32 s10, s11, s9
	s_mul_i32 s12, s11, s9
	s_mul_i32 s17, s13, s0
	s_mul_hi_u32 s9, s13, s9
	s_mul_hi_u32 s16, s13, s0
	s_add_u32 s9, s9, s17
	s_addc_u32 s16, 0, s16
	s_add_u32 s9, s9, s12
	s_mul_hi_u32 s1, s11, s0
	s_addc_u32 s9, s16, s10
	s_addc_u32 s1, s1, 0
	s_mul_i32 s0, s11, s0
	s_add_u32 s0, s9, s0
	s_addc_u32 s9, 0, s1
	s_add_u32 s10, s13, s0
	s_cselect_b64 s[0:1], -1, 0
	s_cmp_lg_u64 s[0:1], 0
	v_add_co_u32_e32 v8, vcc, v11, v14
	s_addc_u32 s9, s11, s9
	v_xor_b32_e32 v15, v8, v14
	v_mad_u64_u32 v[8:9], s[0:1], v15, s9, 0
	v_mul_hi_u32 v11, v15, s10
	v_addc_co_u32_e32 v10, vcc, v10, v14, vcc
	v_xor_b32_e32 v17, v10, v14
	v_add_co_u32_e32 v18, vcc, v11, v8
	v_addc_co_u32_e32 v19, vcc, 0, v9, vcc
	v_mad_u64_u32 v[8:9], s[0:1], v17, s10, 0
	v_mad_u64_u32 v[10:11], s[0:1], v17, s9, 0
	v_add_co_u32_e32 v8, vcc, v18, v8
	v_addc_co_u32_e32 v8, vcc, v19, v9, vcc
	v_addc_co_u32_e32 v9, vcc, 0, v11, vcc
	v_add_co_u32_e32 v10, vcc, v8, v10
	v_addc_co_u32_e32 v11, vcc, 0, v9, vcc
	v_mul_lo_u32 v18, s7, v10
	v_mul_lo_u32 v19, s6, v11
	v_mad_u64_u32 v[8:9], s[0:1], s6, v10, 0
	v_add3_u32 v9, v9, v19, v18
	v_sub_u32_e32 v18, v17, v9
	v_mov_b32_e32 v19, s7
	v_sub_co_u32_e32 v8, vcc, v15, v8
	v_subb_co_u32_e64 v15, s[0:1], v18, v19, vcc
	v_subrev_co_u32_e64 v18, s[0:1], s6, v8
	v_subbrev_co_u32_e64 v15, s[0:1], 0, v15, s[0:1]
	v_cmp_le_u32_e64 s[0:1], s7, v15
	v_cndmask_b32_e64 v19, 0, -1, s[0:1]
	v_cmp_le_u32_e64 s[0:1], s6, v18
	v_cndmask_b32_e64 v18, 0, -1, s[0:1]
	v_cmp_eq_u32_e64 s[0:1], s7, v15
	v_cndmask_b32_e64 v15, v19, v18, s[0:1]
	v_add_co_u32_e64 v18, s[0:1], 2, v10
	v_subb_co_u32_e32 v9, vcc, v17, v9, vcc
	v_addc_co_u32_e64 v19, s[0:1], 0, v11, s[0:1]
	v_cmp_le_u32_e32 vcc, s7, v9
	v_add_co_u32_e64 v20, s[0:1], 1, v10
	v_cndmask_b32_e64 v17, 0, -1, vcc
	v_cmp_le_u32_e32 vcc, s6, v8
	v_addc_co_u32_e64 v21, s[0:1], 0, v11, s[0:1]
	v_cndmask_b32_e64 v8, 0, -1, vcc
	v_cmp_eq_u32_e32 vcc, s7, v9
	v_cmp_ne_u32_e64 s[0:1], 0, v15
	v_cndmask_b32_e32 v8, v17, v8, vcc
	v_cndmask_b32_e64 v15, v21, v19, s[0:1]
	v_cmp_ne_u32_e32 vcc, 0, v8
	v_cndmask_b32_e64 v9, v20, v18, s[0:1]
	v_cndmask_b32_e32 v8, v11, v15, vcc
	v_cndmask_b32_e32 v9, v10, v9, vcc
	v_xor_b32_e32 v10, v8, v14
	v_xor_b32_e32 v8, v9, v14
	v_sub_co_u32_e32 v8, vcc, v8, v14
	v_subb_co_u32_e32 v9, vcc, v10, v14, vcc
                                        ; implicit-def: $vgpr11
.LBB77_136:
	s_andn2_saveexec_b64 s[0:1], s[4:5]
	s_cbranch_execz .LBB77_138
; %bb.137:
	v_cvt_f32_u32_e32 v8, s3
	v_rcp_iflag_f32_e32 v8, v8
	v_mul_f32_e32 v8, 0x4f7ffffe, v8
	v_cvt_u32_f32_e32 v8, v8
	v_mul_lo_u32 v9, s8, v8
	v_mul_hi_u32 v9, v8, v9
	v_add_u32_e32 v8, v8, v9
	v_mul_hi_u32 v8, v11, v8
	v_mul_lo_u32 v9, v8, s3
	v_add_u32_e32 v10, 1, v8
	v_sub_u32_e32 v9, v11, v9
	v_subrev_u32_e32 v11, s3, v9
	v_cmp_le_u32_e32 vcc, s3, v9
	v_cndmask_b32_e32 v9, v9, v11, vcc
	v_cndmask_b32_e32 v8, v8, v10, vcc
	v_add_u32_e32 v10, 1, v8
	v_cmp_le_u32_e32 vcc, s3, v9
	v_cndmask_b32_e32 v8, v8, v10, vcc
	v_mov_b32_e32 v9, 0
.LBB77_138:
	s_or_b64 exec, exec, s[0:1]
	v_cmp_gt_i64_e32 vcc, s[28:29], v[4:5]
	v_mov_b32_e32 v14, 0
	s_and_saveexec_b64 s[0:1], vcc
	s_cbranch_execz .LBB77_146
; %bb.139:
	s_add_i32 s4, s3, -1
	v_and_b32_e32 v4, s4, v0
	v_cmp_lt_i64_e32 vcc, 0, v[8:9]
	s_mov_b64 s[4:5], 0
	v_mov_b32_e32 v14, 0
	v_lshlrev_b32_e32 v15, 2, v4
	s_and_saveexec_b64 s[6:7], vcc
	s_cbranch_execz .LBB77_143
; %bb.140:
	v_mov_b32_e32 v11, v9
	v_lshl_add_u32 v5, v2, 2, v15
	s_lshl_b32 s8, s3, 2
	v_mov_b32_e32 v14, 0
	v_mov_b32_e32 v10, v8
.LBB77_141:                             ; =>This Inner Loop Header: Depth=1
	ds_read_b32 v17, v5
	v_add_co_u32_e32 v10, vcc, -1, v10
	v_addc_co_u32_e32 v11, vcc, -1, v11, vcc
	v_cmp_eq_u64_e32 vcc, 0, v[10:11]
	v_add_u32_e32 v5, s8, v5
	s_or_b64 s[4:5], vcc, s[4:5]
	s_waitcnt lgkmcnt(0)
	v_add_f32_e32 v14, v14, v17
	s_andn2_b64 exec, exec, s[4:5]
	s_cbranch_execnz .LBB77_141
; %bb.142:
	s_or_b64 exec, exec, s[4:5]
.LBB77_143:
	s_or_b64 exec, exec, s[6:7]
	v_mad_u64_u32 v[2:3], s[4:5], v8, s3, v[2:3]
	v_mov_b32_e32 v5, 0
	v_mad_u64_u32 v[8:9], s[4:5], v9, s3, v[3:4]
	v_sub_co_u32_e32 v9, vcc, v12, v2
	v_subb_co_u32_e32 v10, vcc, v13, v8, vcc
	v_cmp_gt_i64_e32 vcc, v[9:10], v[4:5]
	s_and_saveexec_b64 s[4:5], vcc
	s_cbranch_execz .LBB77_145
; %bb.144:
	v_lshl_add_u32 v2, v2, 2, v15
	ds_read_b32 v2, v2
	s_waitcnt lgkmcnt(0)
	v_add_f32_e32 v14, v14, v2
.LBB77_145:
	s_or_b64 exec, exec, s[4:5]
.LBB77_146:
	s_or_b64 exec, exec, s[0:1]
	v_cmp_gt_i64_e32 vcc, s[28:29], v[0:1]
	s_barrier
	ds_write_b32 v16, v14
	s_waitcnt lgkmcnt(0)
	s_barrier
	s_and_saveexec_b64 s[0:1], vcc
	s_cbranch_execz .LBB77_151
; %bb.147:
	v_mul_lo_u32 v1, s3, v0
	v_mov_b32_e32 v3, 0
	v_lshlrev_b32_e32 v1, 2, v1
.LBB77_148:                             ; =>This Inner Loop Header: Depth=1
	ds_read_b32 v2, v1
	s_add_i32 s3, s3, -1
	v_add_u32_e32 v1, 4, v1
	s_cmp_eq_u32 s3, 0
	s_waitcnt lgkmcnt(0)
	v_add_f32_e32 v3, v3, v2
	s_cbranch_scc0 .LBB77_148
; %bb.149:
	v_lshlrev_b64 v[1:2], 2, v[6:7]
	v_mov_b32_e32 v4, s15
	v_add_co_u32_e32 v1, vcc, s14, v1
	v_addc_co_u32_e32 v2, vcc, v4, v2, vcc
	global_load_dword v4, v[1:2], off
	s_lshl_b32 s0, s2, 2
	s_addk_i32 s0, 0x1000
	v_lshl_add_u32 v0, v0, 2, s0
	ds_read_b32 v0, v0
	s_mov_b64 s[0:1], 0
	s_waitcnt lgkmcnt(0)
	v_add_f32_e32 v0, v3, v0
.LBB77_150:                             ; =>This Inner Loop Header: Depth=1
	s_waitcnt vmcnt(0)
	v_add_f32_e32 v3, v4, v0
	global_atomic_cmpswap v3, v[1:2], v[3:4], off glc
	s_waitcnt vmcnt(0)
	v_cmp_eq_u32_e32 vcc, v3, v4
	s_or_b64 s[0:1], vcc, s[0:1]
	v_mov_b32_e32 v4, v3
	s_andn2_b64 exec, exec, s[0:1]
	s_cbranch_execnz .LBB77_150
.LBB77_151:
	s_endpgm
	.section	.rodata,"a",@progbits
	.p2align	6, 0x0
	.amdhsa_kernel _ZN9rocsparseL27csrmvn_symm_adaptive_kernelIli18rocsparse_bfloat16S1_ffEEvbT_S2_PKS2_NS_24const_host_device_scalarIT4_EES4_PKT0_PKT1_PKT2_S7_PT3_21rocsparse_index_base_b
		.amdhsa_group_segment_fixed_size 4096
		.amdhsa_private_segment_fixed_size 0
		.amdhsa_kernarg_size 352
		.amdhsa_user_sgpr_count 6
		.amdhsa_user_sgpr_private_segment_buffer 1
		.amdhsa_user_sgpr_dispatch_ptr 0
		.amdhsa_user_sgpr_queue_ptr 0
		.amdhsa_user_sgpr_kernarg_segment_ptr 1
		.amdhsa_user_sgpr_dispatch_id 0
		.amdhsa_user_sgpr_flat_scratch_init 0
		.amdhsa_user_sgpr_private_segment_size 0
		.amdhsa_uses_dynamic_stack 0
		.amdhsa_system_sgpr_private_segment_wavefront_offset 0
		.amdhsa_system_sgpr_workgroup_id_x 1
		.amdhsa_system_sgpr_workgroup_id_y 0
		.amdhsa_system_sgpr_workgroup_id_z 0
		.amdhsa_system_sgpr_workgroup_info 0
		.amdhsa_system_vgpr_workitem_id 0
		.amdhsa_next_free_vgpr 22
		.amdhsa_next_free_sgpr 52
		.amdhsa_reserve_vcc 1
		.amdhsa_reserve_flat_scratch 0
		.amdhsa_float_round_mode_32 0
		.amdhsa_float_round_mode_16_64 0
		.amdhsa_float_denorm_mode_32 3
		.amdhsa_float_denorm_mode_16_64 3
		.amdhsa_dx10_clamp 1
		.amdhsa_ieee_mode 1
		.amdhsa_fp16_overflow 0
		.amdhsa_exception_fp_ieee_invalid_op 0
		.amdhsa_exception_fp_denorm_src 0
		.amdhsa_exception_fp_ieee_div_zero 0
		.amdhsa_exception_fp_ieee_overflow 0
		.amdhsa_exception_fp_ieee_underflow 0
		.amdhsa_exception_fp_ieee_inexact 0
		.amdhsa_exception_int_div_zero 0
	.end_amdhsa_kernel
	.section	.text._ZN9rocsparseL27csrmvn_symm_adaptive_kernelIli18rocsparse_bfloat16S1_ffEEvbT_S2_PKS2_NS_24const_host_device_scalarIT4_EES4_PKT0_PKT1_PKT2_S7_PT3_21rocsparse_index_base_b,"axG",@progbits,_ZN9rocsparseL27csrmvn_symm_adaptive_kernelIli18rocsparse_bfloat16S1_ffEEvbT_S2_PKS2_NS_24const_host_device_scalarIT4_EES4_PKT0_PKT1_PKT2_S7_PT3_21rocsparse_index_base_b,comdat
.Lfunc_end77:
	.size	_ZN9rocsparseL27csrmvn_symm_adaptive_kernelIli18rocsparse_bfloat16S1_ffEEvbT_S2_PKS2_NS_24const_host_device_scalarIT4_EES4_PKT0_PKT1_PKT2_S7_PT3_21rocsparse_index_base_b, .Lfunc_end77-_ZN9rocsparseL27csrmvn_symm_adaptive_kernelIli18rocsparse_bfloat16S1_ffEEvbT_S2_PKS2_NS_24const_host_device_scalarIT4_EES4_PKT0_PKT1_PKT2_S7_PT3_21rocsparse_index_base_b
                                        ; -- End function
	.set _ZN9rocsparseL27csrmvn_symm_adaptive_kernelIli18rocsparse_bfloat16S1_ffEEvbT_S2_PKS2_NS_24const_host_device_scalarIT4_EES4_PKT0_PKT1_PKT2_S7_PT3_21rocsparse_index_base_b.num_vgpr, 22
	.set _ZN9rocsparseL27csrmvn_symm_adaptive_kernelIli18rocsparse_bfloat16S1_ffEEvbT_S2_PKS2_NS_24const_host_device_scalarIT4_EES4_PKT0_PKT1_PKT2_S7_PT3_21rocsparse_index_base_b.num_agpr, 0
	.set _ZN9rocsparseL27csrmvn_symm_adaptive_kernelIli18rocsparse_bfloat16S1_ffEEvbT_S2_PKS2_NS_24const_host_device_scalarIT4_EES4_PKT0_PKT1_PKT2_S7_PT3_21rocsparse_index_base_b.numbered_sgpr, 52
	.set _ZN9rocsparseL27csrmvn_symm_adaptive_kernelIli18rocsparse_bfloat16S1_ffEEvbT_S2_PKS2_NS_24const_host_device_scalarIT4_EES4_PKT0_PKT1_PKT2_S7_PT3_21rocsparse_index_base_b.num_named_barrier, 0
	.set _ZN9rocsparseL27csrmvn_symm_adaptive_kernelIli18rocsparse_bfloat16S1_ffEEvbT_S2_PKS2_NS_24const_host_device_scalarIT4_EES4_PKT0_PKT1_PKT2_S7_PT3_21rocsparse_index_base_b.private_seg_size, 0
	.set _ZN9rocsparseL27csrmvn_symm_adaptive_kernelIli18rocsparse_bfloat16S1_ffEEvbT_S2_PKS2_NS_24const_host_device_scalarIT4_EES4_PKT0_PKT1_PKT2_S7_PT3_21rocsparse_index_base_b.uses_vcc, 1
	.set _ZN9rocsparseL27csrmvn_symm_adaptive_kernelIli18rocsparse_bfloat16S1_ffEEvbT_S2_PKS2_NS_24const_host_device_scalarIT4_EES4_PKT0_PKT1_PKT2_S7_PT3_21rocsparse_index_base_b.uses_flat_scratch, 0
	.set _ZN9rocsparseL27csrmvn_symm_adaptive_kernelIli18rocsparse_bfloat16S1_ffEEvbT_S2_PKS2_NS_24const_host_device_scalarIT4_EES4_PKT0_PKT1_PKT2_S7_PT3_21rocsparse_index_base_b.has_dyn_sized_stack, 0
	.set _ZN9rocsparseL27csrmvn_symm_adaptive_kernelIli18rocsparse_bfloat16S1_ffEEvbT_S2_PKS2_NS_24const_host_device_scalarIT4_EES4_PKT0_PKT1_PKT2_S7_PT3_21rocsparse_index_base_b.has_recursion, 0
	.set _ZN9rocsparseL27csrmvn_symm_adaptive_kernelIli18rocsparse_bfloat16S1_ffEEvbT_S2_PKS2_NS_24const_host_device_scalarIT4_EES4_PKT0_PKT1_PKT2_S7_PT3_21rocsparse_index_base_b.has_indirect_call, 0
	.section	.AMDGPU.csdata,"",@progbits
; Kernel info:
; codeLenInByte = 7240
; TotalNumSgprs: 56
; NumVgprs: 22
; ScratchSize: 0
; MemoryBound: 0
; FloatMode: 240
; IeeeMode: 1
; LDSByteSize: 4096 bytes/workgroup (compile time only)
; SGPRBlocks: 6
; VGPRBlocks: 5
; NumSGPRsForWavesPerEU: 56
; NumVGPRsForWavesPerEU: 22
; Occupancy: 10
; WaveLimiterHint : 1
; COMPUTE_PGM_RSRC2:SCRATCH_EN: 0
; COMPUTE_PGM_RSRC2:USER_SGPR: 6
; COMPUTE_PGM_RSRC2:TRAP_HANDLER: 0
; COMPUTE_PGM_RSRC2:TGID_X_EN: 1
; COMPUTE_PGM_RSRC2:TGID_Y_EN: 0
; COMPUTE_PGM_RSRC2:TGID_Z_EN: 0
; COMPUTE_PGM_RSRC2:TIDIG_COMP_CNT: 0
	.section	.text._ZL33csrmvn_symm_large_adaptive_kernelIli18rocsparse_bfloat16S0_ffEvbT_PKS1_N9rocsparse24const_host_device_scalarIT4_EES3_PKT0_PKT1_PKT2_S7_PT3_21rocsparse_index_base_b,"axG",@progbits,_ZL33csrmvn_symm_large_adaptive_kernelIli18rocsparse_bfloat16S0_ffEvbT_PKS1_N9rocsparse24const_host_device_scalarIT4_EES3_PKT0_PKT1_PKT2_S7_PT3_21rocsparse_index_base_b,comdat
	.globl	_ZL33csrmvn_symm_large_adaptive_kernelIli18rocsparse_bfloat16S0_ffEvbT_PKS1_N9rocsparse24const_host_device_scalarIT4_EES3_PKT0_PKT1_PKT2_S7_PT3_21rocsparse_index_base_b ; -- Begin function _ZL33csrmvn_symm_large_adaptive_kernelIli18rocsparse_bfloat16S0_ffEvbT_PKS1_N9rocsparse24const_host_device_scalarIT4_EES3_PKT0_PKT1_PKT2_S7_PT3_21rocsparse_index_base_b
	.p2align	8
	.type	_ZL33csrmvn_symm_large_adaptive_kernelIli18rocsparse_bfloat16S0_ffEvbT_PKS1_N9rocsparse24const_host_device_scalarIT4_EES3_PKT0_PKT1_PKT2_S7_PT3_21rocsparse_index_base_b,@function
_ZL33csrmvn_symm_large_adaptive_kernelIli18rocsparse_bfloat16S0_ffEvbT_PKS1_N9rocsparse24const_host_device_scalarIT4_EES3_PKT0_PKT1_PKT2_S7_PT3_21rocsparse_index_base_b: ; @_ZL33csrmvn_symm_large_adaptive_kernelIli18rocsparse_bfloat16S0_ffEvbT_PKS1_N9rocsparse24const_host_device_scalarIT4_EES3_PKT0_PKT1_PKT2_S7_PT3_21rocsparse_index_base_b
; %bb.0:
	s_load_dwordx2 s[10:11], s[4:5], 0x50
	s_load_dwordx2 s[24:25], s[4:5], 0x18
	;; [unrolled: 1-line block ×3, first 2 shown]
	s_waitcnt lgkmcnt(0)
	s_bitcmp1_b32 s11, 0
	s_cselect_b64 s[8:9], -1, 0
	s_xor_b64 s[2:3], s[8:9], -1
	s_and_b64 vcc, exec, s[8:9]
	s_cbranch_vccnz .LBB78_2
; %bb.1:
	s_load_dword s24, s[24:25], 0x0
.LBB78_2:
	s_andn2_b64 vcc, exec, s[2:3]
	s_cbranch_vccnz .LBB78_4
; %bb.3:
	s_load_dword s0, s[0:1], 0x0
.LBB78_4:
	s_waitcnt lgkmcnt(0)
	v_cmp_neq_f32_e64 s[2:3], s24, 0
	v_cmp_neq_f32_e64 s[0:1], s0, 1.0
	s_or_b64 s[0:1], s[2:3], s[0:1]
	s_andn2_b64 vcc, exec, s[0:1]
	s_cbranch_vccnz .LBB78_34
; %bb.5:
	s_load_dwordx2 s[0:1], s[4:5], 0x10
	s_ashr_i32 s7, s6, 31
	s_lshl_b64 s[2:3], s[6:7], 3
	v_lshlrev_b32_e32 v8, 2, v0
	v_mov_b32_e32 v9, 0
	s_waitcnt lgkmcnt(0)
	s_add_u32 s0, s0, s2
	s_addc_u32 s1, s1, s3
	ds_write2st64_b32 v8, v9, v9 offset1:4
	ds_write2st64_b32 v8, v9, v9 offset0:8 offset1:12
	s_waitcnt lgkmcnt(0)
	s_barrier
	s_load_dwordx4 s[20:23], s[0:1], 0x0
	s_load_dwordx8 s[12:19], s[4:5], 0x20
	s_load_dwordx2 s[26:27], s[4:5], 0x48
	v_subrev_co_u32_e64 v10, s[0:1], s10, v0
	s_waitcnt lgkmcnt(0)
	v_mov_b32_e32 v1, s22
	v_mov_b32_e32 v2, s23
	v_cmp_ge_i64_e32 vcc, s[20:21], v[1:2]
	v_subb_co_u32_e64 v11, s[0:1], 0, 0, s[0:1]
	s_cbranch_vccnz .LBB78_24
; %bb.6:
	v_cmp_gt_u32_e64 s[0:1], 64, v0
	v_cmp_gt_u32_e64 s[2:3], 16, v0
	;; [unrolled: 1-line block ×3, first 2 shown]
	v_cmp_eq_u32_e64 s[6:7], 0, v0
	v_mov_b32_e32 v0, s22
	v_mov_b32_e32 v1, s23
	s_movk_i32 s11, 0x100
	s_mov_b64 s[28:29], s[20:21]
	s_branch .LBB78_8
.LBB78_7:                               ;   in Loop: Header=BB78_8 Depth=1
	s_or_b64 exec, exec, s[8:9]
	s_add_u32 s28, s28, 1
	s_addc_u32 s29, s29, 0
	v_cmp_ge_i64_e32 vcc, s[28:29], v[0:1]
	s_cbranch_vccnz .LBB78_24
.LBB78_8:                               ; =>This Loop Header: Depth=1
                                        ;     Child Loop BB78_10 Depth 2
                                        ;     Child Loop BB78_23 Depth 2
	s_lshl_b64 s[8:9], s[28:29], 3
	s_add_u32 s8, s12, s8
	s_addc_u32 s9, s13, s9
	s_load_dwordx4 s[36:39], s[8:9], 0x0
	v_mov_b32_e32 v12, 0
	s_waitcnt lgkmcnt(0)
	s_sub_u32 s30, s38, s10
	v_mov_b32_e32 v3, s37
	v_add_co_u32_e32 v2, vcc, s36, v10
	s_subb_u32 s31, s39, 0
	v_addc_co_u32_e32 v3, vcc, v3, v11, vcc
	v_cmp_gt_i64_e32 vcc, s[30:31], v[2:3]
	s_and_saveexec_b64 s[34:35], vcc
	s_cbranch_execz .LBB78_12
; %bb.9:                                ;   in Loop: Header=BB78_8 Depth=1
	v_lshlrev_b64 v[4:5], 2, v[2:3]
	v_mov_b32_e32 v6, s15
	v_add_co_u32_e32 v4, vcc, s14, v4
	v_addc_co_u32_e32 v5, vcc, v6, v5, vcc
	v_lshlrev_b64 v[6:7], 1, v[2:3]
	v_mov_b32_e32 v12, s17
	v_add_co_u32_e32 v6, vcc, s16, v6
	v_addc_co_u32_e32 v7, vcc, v12, v7, vcc
	v_mov_b32_e32 v12, 0
	s_mov_b64 s[36:37], 0
.LBB78_10:                              ;   Parent Loop BB78_8 Depth=1
                                        ; =>  This Inner Loop Header: Depth=2
	global_load_dword v13, v[4:5], off
	global_load_ushort v15, v[6:7], off
	v_mov_b32_e32 v16, s19
	s_waitcnt vmcnt(1)
	v_subrev_u32_e32 v13, s10, v13
	v_ashrrev_i32_e32 v14, 31, v13
	v_lshlrev_b64 v[13:14], 1, v[13:14]
	v_add_co_u32_e32 v13, vcc, s18, v13
	v_addc_co_u32_e32 v14, vcc, v16, v14, vcc
	global_load_ushort v13, v[13:14], off
	v_add_co_u32_e32 v2, vcc, s11, v2
	v_addc_co_u32_e32 v3, vcc, 0, v3, vcc
	v_add_co_u32_e32 v4, vcc, 0x400, v4
	v_addc_co_u32_e32 v5, vcc, 0, v5, vcc
	v_cmp_le_i64_e64 s[8:9], s[30:31], v[2:3]
	v_add_co_u32_e32 v6, vcc, 0x200, v6
	s_waitcnt vmcnt(1)
	v_lshlrev_b32_e32 v14, 16, v15
	v_addc_co_u32_e32 v7, vcc, 0, v7, vcc
	s_or_b64 s[36:37], s[8:9], s[36:37]
	s_waitcnt vmcnt(0)
	v_lshlrev_b32_e32 v13, 16, v13
	v_fmac_f32_e32 v12, v14, v13
	s_andn2_b64 exec, exec, s[36:37]
	s_cbranch_execnz .LBB78_10
; %bb.11:                               ;   in Loop: Header=BB78_8 Depth=1
	s_or_b64 exec, exec, s[36:37]
.LBB78_12:                              ;   in Loop: Header=BB78_8 Depth=1
	s_or_b64 exec, exec, s[34:35]
	ds_write_b32 v8, v12
	s_waitcnt lgkmcnt(0)
	s_barrier
	ds_read2st64_b32 v[2:3], v8 offset1:4
	ds_read2st64_b32 v[4:5], v8 offset0:8 offset1:12
	s_waitcnt lgkmcnt(0)
	v_add_f32_e32 v3, v3, v4
	v_add_f32_e32 v3, v3, v5
	;; [unrolled: 1-line block ×3, first 2 shown]
	ds_write_b32 v8, v2
	s_waitcnt lgkmcnt(0)
	s_barrier
	s_and_saveexec_b64 s[8:9], s[0:1]
	s_cbranch_execz .LBB78_14
; %bb.13:                               ;   in Loop: Header=BB78_8 Depth=1
	ds_read2st64_b32 v[2:3], v8 offset1:1
	ds_read2st64_b32 v[4:5], v8 offset0:2 offset1:3
	s_waitcnt lgkmcnt(0)
	v_add_f32_e32 v3, v3, v4
	v_add_f32_e32 v3, v3, v5
	;; [unrolled: 1-line block ×3, first 2 shown]
	ds_write_b32 v8, v2
.LBB78_14:                              ;   in Loop: Header=BB78_8 Depth=1
	s_or_b64 exec, exec, s[8:9]
	s_waitcnt lgkmcnt(0)
	s_barrier
	s_and_saveexec_b64 s[8:9], s[2:3]
	s_cbranch_execz .LBB78_16
; %bb.15:                               ;   in Loop: Header=BB78_8 Depth=1
	ds_read2_b32 v[2:3], v8 offset1:16
	ds_read2_b32 v[4:5], v8 offset0:32 offset1:48
	s_waitcnt lgkmcnt(0)
	v_add_f32_e32 v3, v3, v4
	v_add_f32_e32 v3, v3, v5
	;; [unrolled: 1-line block ×3, first 2 shown]
	ds_write_b32 v8, v2
.LBB78_16:                              ;   in Loop: Header=BB78_8 Depth=1
	s_or_b64 exec, exec, s[8:9]
	s_waitcnt lgkmcnt(0)
	s_barrier
	s_and_saveexec_b64 s[8:9], s[4:5]
	s_cbranch_execz .LBB78_18
; %bb.17:                               ;   in Loop: Header=BB78_8 Depth=1
	ds_read2_b32 v[2:3], v8 offset1:4
	ds_read2_b32 v[4:5], v8 offset0:8 offset1:12
	s_waitcnt lgkmcnt(0)
	v_add_f32_e32 v3, v3, v4
	v_add_f32_e32 v3, v3, v5
	;; [unrolled: 1-line block ×3, first 2 shown]
	ds_write_b32 v8, v2
.LBB78_18:                              ;   in Loop: Header=BB78_8 Depth=1
	s_or_b64 exec, exec, s[8:9]
	s_waitcnt lgkmcnt(0)
	s_barrier
	s_and_saveexec_b64 s[8:9], s[6:7]
	s_cbranch_execz .LBB78_20
; %bb.19:                               ;   in Loop: Header=BB78_8 Depth=1
	ds_read2_b32 v[2:3], v9 offset0:1 offset1:2
	ds_read_b32 v4, v9 offset:12
	ds_read_b32 v5, v8
	s_waitcnt lgkmcnt(2)
	v_add_f32_e32 v2, v2, v3
	s_waitcnt lgkmcnt(1)
	v_add_f32_e32 v2, v2, v4
	;; [unrolled: 2-line block ×3, first 2 shown]
	ds_write_b32 v8, v2
.LBB78_20:                              ;   in Loop: Header=BB78_8 Depth=1
	s_or_b64 exec, exec, s[8:9]
	s_waitcnt lgkmcnt(0)
	s_barrier
	s_and_saveexec_b64 s[8:9], s[6:7]
	s_cbranch_execz .LBB78_7
; %bb.21:                               ;   in Loop: Header=BB78_8 Depth=1
	s_mov_b64 s[34:35], exec
	v_mbcnt_lo_u32_b32 v2, s34, 0
	v_mbcnt_hi_u32_b32 v2, s35, v2
	v_cmp_eq_u32_e32 vcc, 0, v2
	s_and_b64 s[30:31], exec, vcc
	s_mov_b64 exec, s[30:31]
	s_cbranch_execz .LBB78_7
; %bb.22:                               ;   in Loop: Header=BB78_8 Depth=1
	s_lshl_b64 s[30:31], s[28:29], 2
	s_add_u32 s30, s26, s30
	s_addc_u32 s31, s27, s31
	global_load_dword v3, v9, s[30:31]
	ds_read_b32 v2, v9
	s_bcnt1_i32_b64 s25, s[34:35]
	v_cvt_f32_ubyte0_e32 v4, s25
	s_mov_b64 s[34:35], 0
	s_waitcnt lgkmcnt(0)
	v_mul_f32_e32 v2, s24, v2
	v_mul_f32_e32 v4, v2, v4
.LBB78_23:                              ;   Parent Loop BB78_8 Depth=1
                                        ; =>  This Inner Loop Header: Depth=2
	s_waitcnt vmcnt(0)
	v_add_f32_e32 v2, v3, v4
	global_atomic_cmpswap v2, v9, v[2:3], s[30:31] glc
	s_waitcnt vmcnt(0)
	v_cmp_eq_u32_e32 vcc, v2, v3
	s_or_b64 s[34:35], vcc, s[34:35]
	v_mov_b32_e32 v3, v2
	s_andn2_b64 exec, exec, s[34:35]
	s_cbranch_execnz .LBB78_23
	s_branch .LBB78_7
.LBB78_24:
	s_lshl_b64 s[0:1], s[20:21], 3
	s_add_u32 s0, s12, s0
	s_addc_u32 s1, s13, s1
	s_lshl_b64 s[2:3], s[22:23], 3
	s_add_u32 s2, s12, s2
	s_addc_u32 s3, s13, s3
	s_load_dwordx2 s[6:7], s[0:1], 0x0
	s_load_dwordx2 s[4:5], s[2:3], 0x0
	s_waitcnt lgkmcnt(0)
	v_mov_b32_e32 v1, s7
	s_sub_u32 s4, s4, s10
	v_add_co_u32_e32 v0, vcc, s6, v10
	s_subb_u32 s5, s5, 0
	v_addc_co_u32_e32 v1, vcc, v1, v11, vcc
	v_cmp_gt_i64_e32 vcc, s[4:5], v[0:1]
	s_and_saveexec_b64 s[0:1], vcc
	s_cbranch_execz .LBB78_34
; %bb.25:
	s_add_u32 s6, s22, -1
	s_addc_u32 s7, s23, -1
	v_mov_b32_e32 v2, s6
	s_add_u32 s0, s22, -2
	v_mov_b32_e32 v3, s7
	s_addc_u32 s1, s23, -1
	v_cmp_lt_i64_e32 vcc, s[20:21], v[2:3]
	s_cmp_lg_u64 s[20:21], s[0:1]
	s_cselect_b64 s[0:1], -1, 0
	s_and_b64 s[0:1], vcc, s[0:1]
	v_cndmask_b32_e64 v2, 0, 1, s[0:1]
	s_mov_b64 s[8:9], 0
	v_cmp_ne_u32_e64 s[0:1], 1, v2
	v_mov_b32_e32 v8, s13
	v_mov_b32_e32 v9, s15
	s_branch .LBB78_27
.LBB78_26:                              ;   in Loop: Header=BB78_27 Depth=1
	s_or_b64 exec, exec, s[2:3]
	v_add_co_u32_e32 v0, vcc, 0x100, v0
	v_addc_co_u32_e32 v1, vcc, 0, v1, vcc
	v_cmp_le_i64_e32 vcc, s[4:5], v[0:1]
	s_or_b64 s[8:9], vcc, s[8:9]
	s_andn2_b64 exec, exec, s[8:9]
	s_cbranch_execz .LBB78_34
.LBB78_27:                              ; =>This Loop Header: Depth=1
                                        ;     Child Loop BB78_29 Depth 2
                                        ;     Child Loop BB78_33 Depth 2
	v_mov_b32_e32 v2, s20
	v_mov_b32_e32 v4, s6
	s_and_b64 vcc, exec, s[0:1]
	v_mov_b32_e32 v3, s21
	v_mov_b32_e32 v5, s7
	s_cbranch_vccnz .LBB78_31
; %bb.28:                               ;   in Loop: Header=BB78_27 Depth=1
	v_mov_b32_e32 v2, s20
	v_mov_b32_e32 v4, s6
	s_mov_b64 s[22:23], 0
	v_mov_b32_e32 v3, s21
	v_mov_b32_e32 v5, s7
.LBB78_29:                              ;   Parent Loop BB78_27 Depth=1
                                        ; =>  This Inner Loop Header: Depth=2
	v_add_co_u32_e32 v6, vcc, v4, v2
	v_addc_co_u32_e32 v7, vcc, v5, v3, vcc
	v_lshrrev_b32_e32 v10, 31, v7
	v_add_co_u32_e32 v6, vcc, v6, v10
	v_addc_co_u32_e32 v7, vcc, 0, v7, vcc
	v_ashrrev_i64 v[6:7], 1, v[6:7]
	v_mov_b32_e32 v12, s13
	v_lshlrev_b64 v[10:11], 3, v[6:7]
	v_add_co_u32_e32 v10, vcc, s12, v10
	v_addc_co_u32_e32 v11, vcc, v12, v11, vcc
	global_load_dwordx2 v[10:11], v[10:11], off
	s_waitcnt vmcnt(0)
	v_subrev_co_u32_e32 v10, vcc, s10, v10
	v_subbrev_co_u32_e32 v11, vcc, 0, v11, vcc
	v_cmp_lt_i64_e32 vcc, v[0:1], v[10:11]
	v_cndmask_b32_e32 v4, v4, v6, vcc
	v_cndmask_b32_e32 v5, v5, v7, vcc
	v_cndmask_b32_e32 v2, v6, v2, vcc
	v_add_co_u32_e64 v6, s[2:3], -1, v4
	v_cndmask_b32_e32 v3, v7, v3, vcc
	v_addc_co_u32_e64 v7, s[2:3], -1, v5, s[2:3]
	v_cmp_ge_i64_e32 vcc, v[2:3], v[4:5]
	v_cmp_eq_u64_e64 s[2:3], v[2:3], v[6:7]
	s_or_b64 s[2:3], vcc, s[2:3]
	s_and_b64 s[2:3], exec, s[2:3]
	s_or_b64 s[22:23], s[2:3], s[22:23]
	s_andn2_b64 exec, exec, s[22:23]
	s_cbranch_execnz .LBB78_29
; %bb.30:                               ;   in Loop: Header=BB78_27 Depth=1
	s_or_b64 exec, exec, s[22:23]
.LBB78_31:                              ;   in Loop: Header=BB78_27 Depth=1
	v_lshlrev_b64 v[6:7], 3, v[4:5]
	v_lshlrev_b64 v[10:11], 2, v[0:1]
	v_add_co_u32_e32 v6, vcc, s12, v6
	v_addc_co_u32_e32 v7, vcc, v8, v7, vcc
	global_load_dwordx2 v[6:7], v[6:7], off
	v_add_co_u32_e32 v10, vcc, s14, v10
	v_addc_co_u32_e32 v11, vcc, v9, v11, vcc
	global_load_dword v12, v[10:11], off
	s_waitcnt vmcnt(1)
	v_subrev_co_u32_e32 v10, vcc, s10, v6
	v_subbrev_co_u32_e32 v11, vcc, 0, v7, vcc
	v_cmp_lt_i64_e32 vcc, v[0:1], v[10:11]
	s_waitcnt vmcnt(0)
	v_subrev_u32_e32 v6, s10, v12
	v_cndmask_b32_e32 v3, v5, v3, vcc
	v_cndmask_b32_e32 v2, v4, v2, vcc
	v_ashrrev_i32_e32 v7, 31, v6
	v_cmp_ne_u64_e32 vcc, v[2:3], v[6:7]
	s_and_saveexec_b64 s[2:3], vcc
	s_cbranch_execz .LBB78_26
; %bb.32:                               ;   in Loop: Header=BB78_27 Depth=1
	v_lshlrev_b64 v[4:5], 2, v[6:7]
	v_lshlrev_b64 v[6:7], 1, v[0:1]
	v_mov_b32_e32 v11, s17
	v_add_co_u32_e32 v6, vcc, s16, v6
	v_lshlrev_b64 v[2:3], 1, v[2:3]
	v_addc_co_u32_e32 v7, vcc, v11, v7, vcc
	global_load_ushort v6, v[6:7], off
	v_mov_b32_e32 v7, s19
	v_add_co_u32_e32 v2, vcc, s18, v2
	v_addc_co_u32_e32 v3, vcc, v7, v3, vcc
	v_mov_b32_e32 v10, s27
	global_load_ushort v7, v[2:3], off
	v_add_co_u32_e32 v2, vcc, s26, v4
	v_addc_co_u32_e32 v3, vcc, v10, v5, vcc
	global_load_dword v5, v[2:3], off
	s_mov_b64 s[22:23], 0
	s_waitcnt vmcnt(2)
	v_lshlrev_b32_e32 v4, 16, v6
	v_mul_f32_e32 v4, s24, v4
	s_waitcnt vmcnt(1)
	v_lshlrev_b32_e32 v6, 16, v7
	v_mul_f32_e32 v6, v4, v6
.LBB78_33:                              ;   Parent Loop BB78_27 Depth=1
                                        ; =>  This Inner Loop Header: Depth=2
	s_waitcnt vmcnt(0)
	v_add_f32_e32 v4, v5, v6
	global_atomic_cmpswap v4, v[2:3], v[4:5], off glc
	s_waitcnt vmcnt(0)
	v_cmp_eq_u32_e32 vcc, v4, v5
	s_or_b64 s[22:23], vcc, s[22:23]
	v_mov_b32_e32 v5, v4
	s_andn2_b64 exec, exec, s[22:23]
	s_cbranch_execnz .LBB78_33
	s_branch .LBB78_26
.LBB78_34:
	s_endpgm
	.section	.rodata,"a",@progbits
	.p2align	6, 0x0
	.amdhsa_kernel _ZL33csrmvn_symm_large_adaptive_kernelIli18rocsparse_bfloat16S0_ffEvbT_PKS1_N9rocsparse24const_host_device_scalarIT4_EES3_PKT0_PKT1_PKT2_S7_PT3_21rocsparse_index_base_b
		.amdhsa_group_segment_fixed_size 4096
		.amdhsa_private_segment_fixed_size 0
		.amdhsa_kernarg_size 88
		.amdhsa_user_sgpr_count 6
		.amdhsa_user_sgpr_private_segment_buffer 1
		.amdhsa_user_sgpr_dispatch_ptr 0
		.amdhsa_user_sgpr_queue_ptr 0
		.amdhsa_user_sgpr_kernarg_segment_ptr 1
		.amdhsa_user_sgpr_dispatch_id 0
		.amdhsa_user_sgpr_flat_scratch_init 0
		.amdhsa_user_sgpr_private_segment_size 0
		.amdhsa_uses_dynamic_stack 0
		.amdhsa_system_sgpr_private_segment_wavefront_offset 0
		.amdhsa_system_sgpr_workgroup_id_x 1
		.amdhsa_system_sgpr_workgroup_id_y 0
		.amdhsa_system_sgpr_workgroup_id_z 0
		.amdhsa_system_sgpr_workgroup_info 0
		.amdhsa_system_vgpr_workitem_id 0
		.amdhsa_next_free_vgpr 17
		.amdhsa_next_free_sgpr 40
		.amdhsa_reserve_vcc 1
		.amdhsa_reserve_flat_scratch 0
		.amdhsa_float_round_mode_32 0
		.amdhsa_float_round_mode_16_64 0
		.amdhsa_float_denorm_mode_32 3
		.amdhsa_float_denorm_mode_16_64 3
		.amdhsa_dx10_clamp 1
		.amdhsa_ieee_mode 1
		.amdhsa_fp16_overflow 0
		.amdhsa_exception_fp_ieee_invalid_op 0
		.amdhsa_exception_fp_denorm_src 0
		.amdhsa_exception_fp_ieee_div_zero 0
		.amdhsa_exception_fp_ieee_overflow 0
		.amdhsa_exception_fp_ieee_underflow 0
		.amdhsa_exception_fp_ieee_inexact 0
		.amdhsa_exception_int_div_zero 0
	.end_amdhsa_kernel
	.section	.text._ZL33csrmvn_symm_large_adaptive_kernelIli18rocsparse_bfloat16S0_ffEvbT_PKS1_N9rocsparse24const_host_device_scalarIT4_EES3_PKT0_PKT1_PKT2_S7_PT3_21rocsparse_index_base_b,"axG",@progbits,_ZL33csrmvn_symm_large_adaptive_kernelIli18rocsparse_bfloat16S0_ffEvbT_PKS1_N9rocsparse24const_host_device_scalarIT4_EES3_PKT0_PKT1_PKT2_S7_PT3_21rocsparse_index_base_b,comdat
.Lfunc_end78:
	.size	_ZL33csrmvn_symm_large_adaptive_kernelIli18rocsparse_bfloat16S0_ffEvbT_PKS1_N9rocsparse24const_host_device_scalarIT4_EES3_PKT0_PKT1_PKT2_S7_PT3_21rocsparse_index_base_b, .Lfunc_end78-_ZL33csrmvn_symm_large_adaptive_kernelIli18rocsparse_bfloat16S0_ffEvbT_PKS1_N9rocsparse24const_host_device_scalarIT4_EES3_PKT0_PKT1_PKT2_S7_PT3_21rocsparse_index_base_b
                                        ; -- End function
	.set _ZL33csrmvn_symm_large_adaptive_kernelIli18rocsparse_bfloat16S0_ffEvbT_PKS1_N9rocsparse24const_host_device_scalarIT4_EES3_PKT0_PKT1_PKT2_S7_PT3_21rocsparse_index_base_b.num_vgpr, 17
	.set _ZL33csrmvn_symm_large_adaptive_kernelIli18rocsparse_bfloat16S0_ffEvbT_PKS1_N9rocsparse24const_host_device_scalarIT4_EES3_PKT0_PKT1_PKT2_S7_PT3_21rocsparse_index_base_b.num_agpr, 0
	.set _ZL33csrmvn_symm_large_adaptive_kernelIli18rocsparse_bfloat16S0_ffEvbT_PKS1_N9rocsparse24const_host_device_scalarIT4_EES3_PKT0_PKT1_PKT2_S7_PT3_21rocsparse_index_base_b.numbered_sgpr, 40
	.set _ZL33csrmvn_symm_large_adaptive_kernelIli18rocsparse_bfloat16S0_ffEvbT_PKS1_N9rocsparse24const_host_device_scalarIT4_EES3_PKT0_PKT1_PKT2_S7_PT3_21rocsparse_index_base_b.num_named_barrier, 0
	.set _ZL33csrmvn_symm_large_adaptive_kernelIli18rocsparse_bfloat16S0_ffEvbT_PKS1_N9rocsparse24const_host_device_scalarIT4_EES3_PKT0_PKT1_PKT2_S7_PT3_21rocsparse_index_base_b.private_seg_size, 0
	.set _ZL33csrmvn_symm_large_adaptive_kernelIli18rocsparse_bfloat16S0_ffEvbT_PKS1_N9rocsparse24const_host_device_scalarIT4_EES3_PKT0_PKT1_PKT2_S7_PT3_21rocsparse_index_base_b.uses_vcc, 1
	.set _ZL33csrmvn_symm_large_adaptive_kernelIli18rocsparse_bfloat16S0_ffEvbT_PKS1_N9rocsparse24const_host_device_scalarIT4_EES3_PKT0_PKT1_PKT2_S7_PT3_21rocsparse_index_base_b.uses_flat_scratch, 0
	.set _ZL33csrmvn_symm_large_adaptive_kernelIli18rocsparse_bfloat16S0_ffEvbT_PKS1_N9rocsparse24const_host_device_scalarIT4_EES3_PKT0_PKT1_PKT2_S7_PT3_21rocsparse_index_base_b.has_dyn_sized_stack, 0
	.set _ZL33csrmvn_symm_large_adaptive_kernelIli18rocsparse_bfloat16S0_ffEvbT_PKS1_N9rocsparse24const_host_device_scalarIT4_EES3_PKT0_PKT1_PKT2_S7_PT3_21rocsparse_index_base_b.has_recursion, 0
	.set _ZL33csrmvn_symm_large_adaptive_kernelIli18rocsparse_bfloat16S0_ffEvbT_PKS1_N9rocsparse24const_host_device_scalarIT4_EES3_PKT0_PKT1_PKT2_S7_PT3_21rocsparse_index_base_b.has_indirect_call, 0
	.section	.AMDGPU.csdata,"",@progbits
; Kernel info:
; codeLenInByte = 1620
; TotalNumSgprs: 44
; NumVgprs: 17
; ScratchSize: 0
; MemoryBound: 0
; FloatMode: 240
; IeeeMode: 1
; LDSByteSize: 4096 bytes/workgroup (compile time only)
; SGPRBlocks: 5
; VGPRBlocks: 4
; NumSGPRsForWavesPerEU: 44
; NumVGPRsForWavesPerEU: 17
; Occupancy: 10
; WaveLimiterHint : 1
; COMPUTE_PGM_RSRC2:SCRATCH_EN: 0
; COMPUTE_PGM_RSRC2:USER_SGPR: 6
; COMPUTE_PGM_RSRC2:TRAP_HANDLER: 0
; COMPUTE_PGM_RSRC2:TGID_X_EN: 1
; COMPUTE_PGM_RSRC2:TGID_Y_EN: 0
; COMPUTE_PGM_RSRC2:TGID_Z_EN: 0
; COMPUTE_PGM_RSRC2:TIDIG_COMP_CNT: 0
	.section	.text._ZN9rocsparseL22csrmvn_adaptive_kernelIll18rocsparse_bfloat16S1_ffEEvbT_PKS2_PjPKT0_NS_24const_host_device_scalarIT4_EES4_S8_PKT1_PKT2_SB_PT3_21rocsparse_index_base_b,"axG",@progbits,_ZN9rocsparseL22csrmvn_adaptive_kernelIll18rocsparse_bfloat16S1_ffEEvbT_PKS2_PjPKT0_NS_24const_host_device_scalarIT4_EES4_S8_PKT1_PKT2_SB_PT3_21rocsparse_index_base_b,comdat
	.globl	_ZN9rocsparseL22csrmvn_adaptive_kernelIll18rocsparse_bfloat16S1_ffEEvbT_PKS2_PjPKT0_NS_24const_host_device_scalarIT4_EES4_S8_PKT1_PKT2_SB_PT3_21rocsparse_index_base_b ; -- Begin function _ZN9rocsparseL22csrmvn_adaptive_kernelIll18rocsparse_bfloat16S1_ffEEvbT_PKS2_PjPKT0_NS_24const_host_device_scalarIT4_EES4_S8_PKT1_PKT2_SB_PT3_21rocsparse_index_base_b
	.p2align	8
	.type	_ZN9rocsparseL22csrmvn_adaptive_kernelIll18rocsparse_bfloat16S1_ffEEvbT_PKS2_PjPKT0_NS_24const_host_device_scalarIT4_EES4_S8_PKT1_PKT2_SB_PT3_21rocsparse_index_base_b,@function
_ZN9rocsparseL22csrmvn_adaptive_kernelIll18rocsparse_bfloat16S1_ffEEvbT_PKS2_PjPKT0_NS_24const_host_device_scalarIT4_EES4_S8_PKT1_PKT2_SB_PT3_21rocsparse_index_base_b: ; @_ZN9rocsparseL22csrmvn_adaptive_kernelIll18rocsparse_bfloat16S1_ffEEvbT_PKS2_PjPKT0_NS_24const_host_device_scalarIT4_EES4_S8_PKT1_PKT2_SB_PT3_21rocsparse_index_base_b
; %bb.0:
	s_load_dwordx2 s[50:51], s[4:5], 0x60
	s_load_dwordx2 s[48:49], s[4:5], 0x28
	;; [unrolled: 1-line block ×3, first 2 shown]
	s_waitcnt lgkmcnt(0)
	s_bitcmp1_b32 s51, 0
	s_cselect_b64 s[2:3], -1, 0
	s_xor_b64 s[0:1], s[2:3], -1
	s_and_b64 vcc, exec, s[2:3]
	s_cbranch_vccnz .LBB79_2
; %bb.1:
	s_load_dword s48, s[48:49], 0x0
.LBB79_2:
	s_andn2_b64 vcc, exec, s[0:1]
	s_cbranch_vccnz .LBB79_4
; %bb.3:
	s_load_dword s34, s[34:35], 0x0
.LBB79_4:
	s_waitcnt lgkmcnt(0)
	v_cmp_neq_f32_e64 s[0:1], s48, 0
	v_cmp_neq_f32_e64 s[2:3], s34, 1.0
	s_or_b64 s[0:1], s[0:1], s[2:3]
	s_andn2_b64 vcc, exec, s[0:1]
	s_cbranch_vccnz .LBB79_115
; %bb.5:
	s_load_dwordx2 s[0:1], s[4:5], 0x10
	s_load_dwordx2 s[2:3], s[4:5], 0x20
	s_ashr_i32 s7, s6, 31
	s_lshl_b64 s[8:9], s[6:7], 3
	s_waitcnt lgkmcnt(0)
	s_add_u32 s0, s0, s8
	s_addc_u32 s1, s1, s9
	s_load_dwordx4 s[36:39], s[0:1], 0x0
	s_load_dwordx2 s[40:41], s[4:5], 0x58
	s_load_dwordx8 s[24:31], s[4:5], 0x30
	s_waitcnt lgkmcnt(0)
	s_sub_u32 s0, s38, s36
	s_subb_u32 s1, s39, s37
	s_add_u32 s2, s2, s8
	s_addc_u32 s3, s3, s9
	s_lshl_b64 s[8:9], s[36:37], 3
	s_add_u32 s46, s24, s8
	s_addc_u32 s47, s25, s9
	s_load_dwordx2 s[42:43], s[2:3], 0x0
	s_load_dwordx2 s[44:45], s[46:47], 0x0
	v_cmp_lt_i64_e64 s[8:9], s[0:1], 2
	s_mov_b64 s[2:3], -1
	s_and_b64 vcc, exec, s[8:9]
	s_cbranch_vccz .LBB79_71
; %bb.6:
	s_cmp_lg_u64 s[0:1], 1
	s_cselect_b64 s[0:1], -1, 0
	s_waitcnt lgkmcnt(0)
	s_cmp_lg_u64 s[42:43], 0
	s_cselect_b64 s[2:3], -1, 0
	s_or_b64 s[0:1], s[0:1], s[2:3]
	s_mov_b64 s[18:19], -1
	s_and_b64 vcc, exec, s[0:1]
	v_cmp_gt_u32_e64 s[0:1], 64, v0
	v_cmp_gt_u32_e64 s[2:3], 32, v0
	;; [unrolled: 1-line block ×6, first 2 shown]
	v_cmp_eq_u32_e64 s[16:17], 0, v0
	s_cbranch_vccnz .LBB79_34
; %bb.7:
	v_subrev_co_u32_e32 v10, vcc, s50, v0
	v_cmp_neq_f32_e64 s[20:21], s34, 0
	v_subb_co_u32_e64 v11, s[18:19], 0, 0, vcc
	v_cndmask_b32_e64 v1, 0, 1, s[20:21]
	s_movk_i32 s18, 0x80
	v_cmp_ne_u32_e64 s[20:21], 1, v1
	v_mov_b32_e32 v1, s38
	v_mov_b32_e32 v9, 0
	v_lshlrev_b32_e32 v12, 2, v0
	v_cmp_gt_u32_e64 s[18:19], s18, v0
	v_mov_b32_e32 v2, s39
	s_movk_i32 s33, 0x100
	s_mov_b64 s[52:53], s[36:37]
	s_branch .LBB79_10
.LBB79_8:                               ;   in Loop: Header=BB79_10 Depth=1
	s_lshl_b64 s[54:55], s[52:53], 2
	s_add_u32 s54, s40, s54
	s_addc_u32 s55, s41, s55
	s_waitcnt lgkmcnt(0)
	global_store_dword v9, v3, s[54:55]
.LBB79_9:                               ;   in Loop: Header=BB79_10 Depth=1
	s_or_b64 exec, exec, s[22:23]
	s_add_u32 s52, s52, 1
	s_addc_u32 s53, s53, 0
	v_cmp_ge_i64_e32 vcc, s[52:53], v[1:2]
	s_cbranch_vccnz .LBB79_33
.LBB79_10:                              ; =>This Loop Header: Depth=1
                                        ;     Child Loop BB79_12 Depth 2
	s_lshl_b64 s[22:23], s[52:53], 3
	s_add_u32 s22, s24, s22
	s_addc_u32 s23, s25, s23
	s_load_dwordx4 s[56:59], s[22:23], 0x0
	v_mov_b32_e32 v13, 0
	s_waitcnt lgkmcnt(0)
	s_sub_u32 s54, s58, s50
	v_mov_b32_e32 v4, s57
	v_add_co_u32_e32 v3, vcc, s56, v10
	s_subb_u32 s55, s59, 0
	v_addc_co_u32_e32 v4, vcc, v4, v11, vcc
	v_cmp_gt_i64_e32 vcc, s[54:55], v[3:4]
	s_and_saveexec_b64 s[56:57], vcc
	s_cbranch_execz .LBB79_14
; %bb.11:                               ;   in Loop: Header=BB79_10 Depth=1
	v_lshlrev_b64 v[5:6], 1, v[3:4]
	v_mov_b32_e32 v7, s29
	v_add_co_u32_e32 v5, vcc, s28, v5
	v_addc_co_u32_e32 v6, vcc, v7, v6, vcc
	v_lshlrev_b64 v[7:8], 3, v[3:4]
	v_mov_b32_e32 v13, s27
	v_add_co_u32_e32 v7, vcc, s26, v7
	v_addc_co_u32_e32 v8, vcc, v13, v8, vcc
	v_mov_b32_e32 v13, 0
	s_mov_b64 s[58:59], 0
.LBB79_12:                              ;   Parent Loop BB79_10 Depth=1
                                        ; =>  This Inner Loop Header: Depth=2
	global_load_dwordx2 v[14:15], v[7:8], off
	global_load_ushort v16, v[5:6], off
	v_mov_b32_e32 v17, s31
	s_waitcnt vmcnt(1)
	v_subrev_co_u32_e32 v14, vcc, s50, v14
	v_subbrev_co_u32_e32 v15, vcc, 0, v15, vcc
	v_lshlrev_b64 v[14:15], 1, v[14:15]
	v_add_co_u32_e32 v14, vcc, s30, v14
	v_addc_co_u32_e32 v15, vcc, v17, v15, vcc
	global_load_ushort v14, v[14:15], off
	v_add_co_u32_e32 v3, vcc, s33, v3
	v_addc_co_u32_e32 v4, vcc, 0, v4, vcc
	v_add_co_u32_e32 v5, vcc, 0x200, v5
	v_addc_co_u32_e32 v6, vcc, 0, v6, vcc
	v_cmp_le_i64_e64 s[22:23], s[54:55], v[3:4]
	s_waitcnt vmcnt(1)
	v_lshlrev_b32_e32 v15, 16, v16
	v_add_co_u32_e32 v7, vcc, 0x800, v7
	v_mul_f32_e32 v15, s48, v15
	v_addc_co_u32_e32 v8, vcc, 0, v8, vcc
	s_or_b64 s[58:59], s[22:23], s[58:59]
	s_waitcnt vmcnt(0)
	v_lshlrev_b32_e32 v14, 16, v14
	v_fmac_f32_e32 v13, v15, v14
	s_andn2_b64 exec, exec, s[58:59]
	s_cbranch_execnz .LBB79_12
; %bb.13:                               ;   in Loop: Header=BB79_10 Depth=1
	s_or_b64 exec, exec, s[58:59]
.LBB79_14:                              ;   in Loop: Header=BB79_10 Depth=1
	s_or_b64 exec, exec, s[56:57]
	ds_write_b32 v12, v13
	s_waitcnt vmcnt(0) lgkmcnt(0)
	s_barrier
	s_and_saveexec_b64 s[22:23], s[18:19]
	s_cbranch_execz .LBB79_16
; %bb.15:                               ;   in Loop: Header=BB79_10 Depth=1
	ds_read2st64_b32 v[3:4], v12 offset1:2
	s_waitcnt lgkmcnt(0)
	v_add_f32_e32 v3, v3, v4
	ds_write_b32 v12, v3
.LBB79_16:                              ;   in Loop: Header=BB79_10 Depth=1
	s_or_b64 exec, exec, s[22:23]
	s_waitcnt lgkmcnt(0)
	s_barrier
	s_and_saveexec_b64 s[22:23], s[0:1]
	s_cbranch_execz .LBB79_18
; %bb.17:                               ;   in Loop: Header=BB79_10 Depth=1
	ds_read2st64_b32 v[3:4], v12 offset1:1
	s_waitcnt lgkmcnt(0)
	v_add_f32_e32 v3, v3, v4
	ds_write_b32 v12, v3
.LBB79_18:                              ;   in Loop: Header=BB79_10 Depth=1
	s_or_b64 exec, exec, s[22:23]
	s_waitcnt lgkmcnt(0)
	s_barrier
	s_and_saveexec_b64 s[22:23], s[2:3]
	s_cbranch_execz .LBB79_20
; %bb.19:                               ;   in Loop: Header=BB79_10 Depth=1
	ds_read2_b32 v[3:4], v12 offset1:32
	s_waitcnt lgkmcnt(0)
	v_add_f32_e32 v3, v3, v4
	ds_write_b32 v12, v3
.LBB79_20:                              ;   in Loop: Header=BB79_10 Depth=1
	s_or_b64 exec, exec, s[22:23]
	s_waitcnt lgkmcnt(0)
	s_barrier
	s_and_saveexec_b64 s[22:23], s[8:9]
	s_cbranch_execz .LBB79_22
; %bb.21:                               ;   in Loop: Header=BB79_10 Depth=1
	ds_read2_b32 v[3:4], v12 offset1:16
	s_waitcnt lgkmcnt(0)
	v_add_f32_e32 v3, v3, v4
	ds_write_b32 v12, v3
.LBB79_22:                              ;   in Loop: Header=BB79_10 Depth=1
	;; [unrolled: 11-line block ×5, first 2 shown]
	s_or_b64 exec, exec, s[22:23]
	s_waitcnt lgkmcnt(0)
	s_barrier
	s_and_saveexec_b64 s[22:23], s[16:17]
	s_cbranch_execz .LBB79_30
; %bb.29:                               ;   in Loop: Header=BB79_10 Depth=1
	ds_read_b64 v[3:4], v9
	s_waitcnt lgkmcnt(0)
	v_add_f32_e32 v3, v3, v4
	ds_write_b32 v9, v3
.LBB79_30:                              ;   in Loop: Header=BB79_10 Depth=1
	s_or_b64 exec, exec, s[22:23]
	s_waitcnt lgkmcnt(0)
	s_barrier
	s_and_saveexec_b64 s[22:23], s[16:17]
	s_cbranch_execz .LBB79_9
; %bb.31:                               ;   in Loop: Header=BB79_10 Depth=1
	ds_read_b32 v3, v9
	s_and_b64 vcc, exec, s[20:21]
	s_cbranch_vccnz .LBB79_8
; %bb.32:                               ;   in Loop: Header=BB79_10 Depth=1
	s_lshl_b64 s[54:55], s[52:53], 2
	s_add_u32 s54, s40, s54
	s_addc_u32 s55, s41, s55
	global_load_dword v4, v9, s[54:55]
	s_waitcnt vmcnt(0) lgkmcnt(0)
	v_fmac_f32_e32 v3, s34, v4
	s_branch .LBB79_8
.LBB79_33:
	s_mov_b64 s[18:19], 0
.LBB79_34:
	s_and_b64 vcc, exec, s[18:19]
	s_cbranch_vccz .LBB79_70
; %bb.35:
	s_load_dwordx2 s[8:9], s[4:5], 0x18
	s_sub_u32 s10, s6, s42
	s_subb_u32 s11, s7, s43
	s_lshl_b64 s[0:1], s[6:7], 2
	v_mov_b32_e32 v8, 0
	s_waitcnt lgkmcnt(0)
	s_add_u32 s6, s8, s0
	s_addc_u32 s7, s9, s1
	global_load_dword v7, v8, s[6:7]
	s_cmp_lg_u64 s[42:43], 0
	s_cselect_b64 s[12:13], -1, 0
	s_cmp_eq_u64 s[42:43], 0
	s_cselect_b64 s[2:3], -1, 0
	v_cmp_eq_u32_e64 s[0:1], 0, v0
	s_and_b64 s[14:15], s[0:1], s[2:3]
	s_and_saveexec_b64 s[2:3], s[14:15]
	s_cbranch_execz .LBB79_39
; %bb.36:
	s_lshl_b64 s[16:17], s[36:37], 2
	s_add_u32 s16, s40, s16
	s_addc_u32 s17, s41, s17
	v_mov_b32_e32 v3, 0
	global_load_dword v1, v3, s[16:17]
	s_mov_b64 s[14:15], exec
	v_mbcnt_lo_u32_b32 v4, s14, 0
	v_mbcnt_hi_u32_b32 v4, s15, v4
	v_add_f32_e64 v2, s34, -1.0
	v_cmp_eq_u32_e32 vcc, 0, v4
	s_waitcnt vmcnt(0) expcnt(0) lgkmcnt(0)
	s_and_saveexec_b64 s[16:17], vcc
	s_cbranch_execz .LBB79_38
; %bb.37:
	s_lshl_b64 s[18:19], s[10:11], 2
	s_add_u32 s18, s8, s18
	s_addc_u32 s19, s9, s19
	s_bcnt1_i32_b64 s14, s[14:15]
	s_and_b32 s14, s14, 1
	v_mov_b32_e32 v4, s14
	global_atomic_xor v3, v4, s[18:19]
.LBB79_38:
	s_or_b64 exec, exec, s[16:17]
	v_mul_f32_e32 v8, v2, v1
.LBB79_39:
	s_or_b64 exec, exec, s[2:3]
	s_mul_i32 s2, s43, 0xc00
	s_mul_hi_u32 s3, s42, 0xc00
	s_add_i32 s14, s3, s2
	s_load_dwordx2 s[2:3], s[46:47], 0x8
	s_sub_u32 s16, s44, s50
	s_mul_i32 s15, s42, 0xc00
	s_subb_u32 s17, s45, 0
	s_add_u32 s16, s16, s15
	s_addc_u32 s17, s17, s14
	s_waitcnt lgkmcnt(0)
	s_sub_u32 s2, s2, s50
	v_mov_b32_e32 v2, s17
	v_add_co_u32_e32 v1, vcc, s16, v0
	s_subb_u32 s3, s3, 0
	v_addc_co_u32_e32 v2, vcc, 0, v2, vcc
	v_cmp_gt_i64_e32 vcc, s[2:3], v[1:2]
	s_and_saveexec_b64 s[14:15], vcc
	s_cbranch_execz .LBB79_43
; %bb.40:
	s_add_u32 s16, s16, 0xc00
	v_mov_b32_e32 v4, s3
	s_addc_u32 s17, s17, 0
	v_mov_b32_e32 v3, s2
	v_cmp_lt_i64_e32 vcc, s[16:17], v[3:4]
	v_lshlrev_b64 v[3:4], 1, v[1:2]
	s_and_b64 s[18:19], vcc, exec
	v_mov_b32_e32 v5, s29
	v_add_co_u32_e32 v3, vcc, s28, v3
	v_addc_co_u32_e32 v4, vcc, v5, v4, vcc
	v_lshlrev_b64 v[5:6], 3, v[1:2]
	v_mov_b32_e32 v9, s27
	v_add_co_u32_e32 v5, vcc, s26, v5
	s_cselect_b32 s17, s17, s3
	s_cselect_b32 s16, s16, s2
	v_addc_co_u32_e32 v6, vcc, v9, v6, vcc
	s_mov_b64 s[18:19], 0
	v_mov_b32_e32 v9, s31
	s_movk_i32 s20, 0x100
.LBB79_41:                              ; =>This Inner Loop Header: Depth=1
	global_load_dwordx2 v[10:11], v[5:6], off
	global_load_ushort v12, v[3:4], off
	s_waitcnt vmcnt(1)
	v_subrev_co_u32_e32 v10, vcc, s50, v10
	v_subbrev_co_u32_e32 v11, vcc, 0, v11, vcc
	v_lshlrev_b64 v[10:11], 1, v[10:11]
	v_add_co_u32_e32 v10, vcc, s30, v10
	v_addc_co_u32_e32 v11, vcc, v9, v11, vcc
	global_load_ushort v10, v[10:11], off
	v_add_co_u32_e32 v1, vcc, s20, v1
	v_addc_co_u32_e32 v2, vcc, 0, v2, vcc
	v_add_co_u32_e32 v3, vcc, 0x200, v3
	v_addc_co_u32_e32 v4, vcc, 0, v4, vcc
	v_cmp_le_i64_e64 s[2:3], s[16:17], v[1:2]
	s_waitcnt vmcnt(1)
	v_lshlrev_b32_e32 v11, 16, v12
	v_add_co_u32_e32 v5, vcc, 0x800, v5
	v_mul_f32_e32 v11, s48, v11
	v_addc_co_u32_e32 v6, vcc, 0, v6, vcc
	s_or_b64 s[18:19], s[2:3], s[18:19]
	s_waitcnt vmcnt(0)
	v_lshlrev_b32_e32 v10, 16, v10
	v_fmac_f32_e32 v8, v11, v10
	s_andn2_b64 exec, exec, s[18:19]
	s_cbranch_execnz .LBB79_41
; %bb.42:
	s_or_b64 exec, exec, s[18:19]
.LBB79_43:
	s_or_b64 exec, exec, s[14:15]
	s_movk_i32 s2, 0x80
	v_lshlrev_b32_e32 v1, 2, v0
	v_cmp_gt_u32_e32 vcc, s2, v0
	ds_write_b32 v1, v8
	s_waitcnt vmcnt(0) lgkmcnt(0)
	s_barrier
	s_and_saveexec_b64 s[2:3], vcc
	s_cbranch_execz .LBB79_45
; %bb.44:
	ds_read2st64_b32 v[2:3], v1 offset1:2
	s_waitcnt lgkmcnt(0)
	v_add_f32_e32 v2, v2, v3
	ds_write_b32 v1, v2
.LBB79_45:
	s_or_b64 exec, exec, s[2:3]
	v_cmp_gt_u32_e32 vcc, 64, v0
	s_waitcnt lgkmcnt(0)
	s_barrier
	s_and_saveexec_b64 s[2:3], vcc
	s_cbranch_execz .LBB79_47
; %bb.46:
	ds_read2st64_b32 v[2:3], v1 offset1:1
	s_waitcnt lgkmcnt(0)
	v_add_f32_e32 v2, v2, v3
	ds_write_b32 v1, v2
.LBB79_47:
	s_or_b64 exec, exec, s[2:3]
	v_cmp_gt_u32_e32 vcc, 32, v0
	s_waitcnt lgkmcnt(0)
	s_barrier
	s_and_saveexec_b64 s[2:3], vcc
	s_cbranch_execz .LBB79_49
; %bb.48:
	ds_read2_b32 v[2:3], v1 offset1:32
	s_waitcnt lgkmcnt(0)
	v_add_f32_e32 v2, v2, v3
	ds_write_b32 v1, v2
.LBB79_49:
	s_or_b64 exec, exec, s[2:3]
	v_cmp_gt_u32_e32 vcc, 16, v0
	s_waitcnt lgkmcnt(0)
	s_barrier
	s_and_saveexec_b64 s[2:3], vcc
	s_cbranch_execz .LBB79_51
; %bb.50:
	ds_read2_b32 v[2:3], v1 offset1:16
	s_waitcnt lgkmcnt(0)
	v_add_f32_e32 v2, v2, v3
	ds_write_b32 v1, v2
.LBB79_51:
	;; [unrolled: 12-line block ×5, first 2 shown]
	s_or_b64 exec, exec, s[2:3]
	s_waitcnt lgkmcnt(0)
	s_barrier
	s_and_saveexec_b64 s[2:3], s[0:1]
	s_cbranch_execz .LBB79_59
; %bb.58:
	v_mov_b32_e32 v3, 0
	ds_read_b64 v[1:2], v3
	s_waitcnt lgkmcnt(0)
	v_add_f32_e32 v1, v1, v2
	ds_write_b32 v3, v1
.LBB79_59:
	s_or_b64 exec, exec, s[2:3]
	s_waitcnt lgkmcnt(0)
	s_barrier
	s_and_saveexec_b64 s[2:3], s[0:1]
	s_cbranch_execz .LBB79_69
; %bb.60:
	s_andn2_b64 vcc, exec, s[12:13]
	s_cbranch_vccnz .LBB79_66
; %bb.61:
	s_lshl_b64 s[0:1], s[10:11], 2
	s_add_u32 s0, s8, s0
	s_addc_u32 s1, s9, s1
	v_mov_b32_e32 v1, 0
	s_branch .LBB79_63
.LBB79_62:                              ;   in Loop: Header=BB79_63 Depth=1
	s_or_b64 exec, exec, s[8:9]
	s_waitcnt vmcnt(0)
	v_readfirstlane_b32 s8, v2
	v_cmp_eq_u32_e32 vcc, s8, v7
	s_cbranch_vccz .LBB79_65
.LBB79_63:                              ; =>This Inner Loop Header: Depth=1
	v_mbcnt_lo_u32_b32 v2, exec_lo, 0
	v_mbcnt_hi_u32_b32 v2, exec_hi, v2
	v_cmp_eq_u32_e32 vcc, 0, v2
                                        ; implicit-def: $vgpr2
	s_and_saveexec_b64 s[8:9], vcc
	s_cbranch_execz .LBB79_62
; %bb.64:                               ;   in Loop: Header=BB79_63 Depth=1
	global_load_dword v2, v1, s[0:1] glc
	s_branch .LBB79_62
.LBB79_65:
	v_mov_b32_e32 v1, 0
	global_load_ushort v2, v1, s[6:7]
	s_waitcnt vmcnt(0)
	v_xor_b32_e32 v2, 1, v2
	global_store_short v1, v2, s[6:7]
.LBB79_66:
	s_mov_b64 s[6:7], exec
	v_mbcnt_lo_u32_b32 v1, s6, 0
	v_mbcnt_hi_u32_b32 v1, s7, v1
	v_cmp_eq_u32_e32 vcc, 0, v1
	s_and_b64 s[0:1], exec, vcc
	s_mov_b64 exec, s[0:1]
	s_cbranch_execz .LBB79_69
; %bb.67:
	s_lshl_b64 s[0:1], s[36:37], 2
	s_add_u32 s0, s40, s0
	s_addc_u32 s1, s41, s1
	v_mov_b32_e32 v3, 0
	global_load_dword v2, v3, s[0:1]
	ds_read_b32 v1, v3
	s_bcnt1_i32_b64 s6, s[6:7]
	v_cvt_f32_ubyte0_e32 v4, s6
	s_mov_b64 s[6:7], 0
	s_waitcnt lgkmcnt(0)
	v_mul_f32_e32 v4, v1, v4
.LBB79_68:                              ; =>This Inner Loop Header: Depth=1
	s_waitcnt vmcnt(0)
	v_add_f32_e32 v1, v2, v4
	global_atomic_cmpswap v1, v3, v[1:2], s[0:1] glc
	s_waitcnt vmcnt(0)
	v_cmp_eq_u32_e32 vcc, v1, v2
	s_or_b64 s[6:7], vcc, s[6:7]
	v_mov_b32_e32 v2, v1
	s_andn2_b64 exec, exec, s[6:7]
	s_cbranch_execnz .LBB79_68
.LBB79_69:
	s_or_b64 exec, exec, s[2:3]
.LBB79_70:
	s_mov_b64 s[2:3], 0
.LBB79_71:
	s_andn2_b64 vcc, exec, s[2:3]
	s_cbranch_vccnz .LBB79_115
; %bb.72:
	s_load_dwordx2 s[0:1], s[4:5], 0x8
	v_subrev_co_u32_e32 v1, vcc, s50, v0
	v_subb_co_u32_e64 v2, s[2:3], 0, 0, vcc
	s_waitcnt lgkmcnt(0)
	v_mov_b32_e32 v3, s45
	v_add_co_u32_e32 v1, vcc, s44, v1
	v_addc_co_u32_e32 v2, vcc, v3, v2, vcc
	v_add_co_u32_e32 v3, vcc, 0x300, v1
	v_addc_co_u32_e32 v4, vcc, 0, v2, vcc
	v_cmp_le_i64_e32 vcc, s[0:1], v[3:4]
	s_and_saveexec_b64 s[0:1], vcc
	s_xor_b64 s[2:3], exec, s[0:1]
	s_cbranch_execz .LBB79_77
; %bb.73:
	s_lshl_b64 s[0:1], s[38:39], 3
	s_add_u32 s0, s24, s0
	s_addc_u32 s1, s25, s1
	s_load_dwordx2 s[0:1], s[0:1], 0x0
	s_waitcnt lgkmcnt(0)
	s_sub_u32 s4, s0, s50
	s_subb_u32 s5, s1, 0
	v_cmp_gt_i64_e32 vcc, s[4:5], v[1:2]
	s_and_saveexec_b64 s[6:7], vcc
	s_cbranch_execz .LBB79_76
; %bb.74:
	v_lshlrev_b64 v[3:4], 1, v[1:2]
	v_mov_b32_e32 v5, s29
	v_add_co_u32_e32 v3, vcc, s28, v3
	v_addc_co_u32_e32 v4, vcc, v5, v4, vcc
	v_lshlrev_b64 v[5:6], 3, v[1:2]
	v_mov_b32_e32 v8, s27
	v_add_co_u32_e32 v5, vcc, s26, v5
	v_lshlrev_b32_e32 v7, 2, v0
	v_addc_co_u32_e32 v6, vcc, v8, v6, vcc
	s_mov_b64 s[8:9], 0
	v_mov_b32_e32 v8, s31
	s_movk_i32 s10, 0x100
.LBB79_75:                              ; =>This Inner Loop Header: Depth=1
	global_load_dwordx2 v[9:10], v[5:6], off
	global_load_ushort v11, v[3:4], off
	s_waitcnt vmcnt(1)
	v_subrev_co_u32_e32 v9, vcc, s50, v9
	v_subbrev_co_u32_e32 v10, vcc, 0, v10, vcc
	v_lshlrev_b64 v[9:10], 1, v[9:10]
	v_add_co_u32_e32 v9, vcc, s30, v9
	v_addc_co_u32_e32 v10, vcc, v8, v10, vcc
	global_load_ushort v9, v[9:10], off
	v_add_co_u32_e32 v1, vcc, s10, v1
	v_addc_co_u32_e32 v2, vcc, 0, v2, vcc
	v_add_co_u32_e32 v3, vcc, 0x200, v3
	s_waitcnt vmcnt(1)
	v_lshlrev_b32_e32 v10, 16, v11
	v_addc_co_u32_e32 v4, vcc, 0, v4, vcc
	v_cmp_le_i64_e64 s[0:1], s[4:5], v[1:2]
	v_mul_f32_e32 v10, s48, v10
	v_add_co_u32_e32 v5, vcc, 0x800, v5
	v_addc_co_u32_e32 v6, vcc, 0, v6, vcc
	s_or_b64 s[8:9], s[0:1], s[8:9]
	s_waitcnt vmcnt(0)
	v_lshlrev_b32_e32 v9, 16, v9
	v_mul_f32_e32 v9, v10, v9
	ds_write_b32 v7, v9
	v_add_u32_e32 v7, 0x400, v7
	s_andn2_b64 exec, exec, s[8:9]
	s_cbranch_execnz .LBB79_75
.LBB79_76:
	s_or_b64 exec, exec, s[6:7]
                                        ; implicit-def: $vgpr1_vgpr2
.LBB79_77:
	s_or_saveexec_b64 s[0:1], s[2:3]
	v_lshlrev_b32_e32 v9, 2, v0
	s_xor_b64 exec, exec, s[0:1]
	s_cbranch_execz .LBB79_79
; %bb.78:
	v_lshlrev_b64 v[3:4], 3, v[1:2]
	v_mov_b32_e32 v5, s27
	v_add_co_u32_e32 v3, vcc, s26, v3
	v_addc_co_u32_e32 v4, vcc, v5, v4, vcc
	global_load_dwordx2 v[5:6], v[3:4], off
	global_load_dwordx2 v[7:8], v[3:4], off offset:2048
	s_movk_i32 s2, 0x1000
	v_add_co_u32_e32 v3, vcc, s2, v3
	v_addc_co_u32_e32 v4, vcc, 0, v4, vcc
	global_load_dwordx2 v[10:11], v[3:4], off
	global_load_dwordx2 v[12:13], v[3:4], off offset:2048
	v_lshlrev_b64 v[1:2], 1, v[1:2]
	v_mov_b32_e32 v3, s29
	v_add_co_u32_e32 v1, vcc, s28, v1
	v_addc_co_u32_e32 v2, vcc, v3, v2, vcc
	global_load_ushort v18, v[1:2], off
	global_load_ushort v19, v[1:2], off offset:512
	global_load_ushort v20, v[1:2], off offset:1024
	;; [unrolled: 1-line block ×3, first 2 shown]
	v_mov_b32_e32 v14, s31
	v_mov_b32_e32 v15, s31
	;; [unrolled: 1-line block ×4, first 2 shown]
	s_waitcnt vmcnt(7)
	v_subrev_co_u32_e32 v1, vcc, s50, v5
	v_subbrev_co_u32_e32 v2, vcc, 0, v6, vcc
	s_waitcnt vmcnt(6)
	v_subrev_co_u32_e32 v3, vcc, s50, v7
	v_subbrev_co_u32_e32 v4, vcc, 0, v8, vcc
	;; [unrolled: 3-line block ×3, first 2 shown]
	v_lshlrev_b64 v[1:2], 1, v[1:2]
	s_waitcnt vmcnt(4)
	v_subrev_co_u32_e32 v7, vcc, s50, v12
	v_subbrev_co_u32_e32 v8, vcc, 0, v13, vcc
	v_lshlrev_b64 v[3:4], 1, v[3:4]
	v_add_co_u32_e32 v1, vcc, s30, v1
	v_addc_co_u32_e32 v2, vcc, v14, v2, vcc
	v_lshlrev_b64 v[5:6], 1, v[5:6]
	v_add_co_u32_e32 v3, vcc, s30, v3
	v_addc_co_u32_e32 v4, vcc, v15, v4, vcc
	v_lshlrev_b64 v[7:8], 1, v[7:8]
	global_load_ushort v10, v[1:2], off
	global_load_ushort v11, v[3:4], off
	v_add_co_u32_e32 v1, vcc, s30, v5
	v_addc_co_u32_e32 v2, vcc, v16, v6, vcc
	v_add_co_u32_e32 v3, vcc, s30, v7
	v_addc_co_u32_e32 v4, vcc, v17, v8, vcc
	global_load_ushort v5, v[1:2], off
	global_load_ushort v6, v[3:4], off
	s_waitcnt vmcnt(7)
	v_lshlrev_b32_e32 v1, 16, v18
	s_waitcnt vmcnt(6)
	v_lshlrev_b32_e32 v2, 16, v19
	;; [unrolled: 2-line block ×4, first 2 shown]
	v_mul_f32_e32 v1, s48, v1
	v_mul_f32_e32 v2, s48, v2
	;; [unrolled: 1-line block ×4, first 2 shown]
	s_waitcnt vmcnt(3)
	v_lshlrev_b32_e32 v7, 16, v10
	s_waitcnt vmcnt(2)
	v_lshlrev_b32_e32 v8, 16, v11
	v_mul_f32_e32 v1, v1, v7
	v_mul_f32_e32 v2, v2, v8
	ds_write2st64_b32 v9, v1, v2 offset1:4
	s_waitcnt vmcnt(1)
	v_lshlrev_b32_e32 v5, 16, v5
	s_waitcnt vmcnt(0)
	v_lshlrev_b32_e32 v6, 16, v6
	v_mul_f32_e32 v1, v3, v5
	v_mul_f32_e32 v2, v4, v6
	ds_write2st64_b32 v9, v1, v2 offset0:8 offset1:12
.LBB79_79:
	s_or_b64 exec, exec, s[0:1]
	v_cmp_lt_i64_e64 s[2:3], s[42:43], 2
	s_mov_b64 s[0:1], -1
	s_and_b64 vcc, exec, s[2:3]
	s_waitcnt vmcnt(0) lgkmcnt(0)
	s_barrier
	s_cbranch_vccz .LBB79_90
; %bb.80:
	v_mov_b32_e32 v1, s37
	v_add_co_u32_e32 v5, vcc, s36, v0
	v_addc_co_u32_e32 v6, vcc, 0, v1, vcc
	v_cmp_gt_i64_e32 vcc, s[38:39], v[5:6]
	s_and_saveexec_b64 s[2:3], vcc
	s_cbranch_execz .LBB79_89
; %bb.81:
	s_lshl_b32 s0, s44, 2
	v_cmp_neq_f32_e64 s[4:5], s34, 0
	s_sub_i32 s10, 0, s0
	s_mov_b64 s[6:7], 0
	v_mov_b32_e32 v10, s25
	v_mov_b32_e32 v11, s41
	s_branch .LBB79_83
.LBB79_82:                              ;   in Loop: Header=BB79_83 Depth=1
	v_add_co_u32_e32 v5, vcc, 0x100, v5
	v_addc_co_u32_e32 v6, vcc, 0, v6, vcc
	v_cmp_le_i64_e32 vcc, s[38:39], v[5:6]
	v_add_co_u32_e64 v1, s[0:1], s40, v1
	v_addc_co_u32_e64 v2, s[0:1], v11, v2, s[0:1]
	s_or_b64 s[6:7], vcc, s[6:7]
	global_store_dword v[1:2], v12, off
	s_andn2_b64 exec, exec, s[6:7]
	s_cbranch_execz .LBB79_89
.LBB79_83:                              ; =>This Loop Header: Depth=1
                                        ;     Child Loop BB79_85 Depth 2
	v_lshlrev_b64 v[1:2], 3, v[5:6]
	v_mov_b32_e32 v12, 0
	v_add_co_u32_e32 v1, vcc, s24, v1
	v_addc_co_u32_e32 v2, vcc, v10, v2, vcc
	global_load_dwordx4 v[1:4], v[1:2], off
	s_waitcnt vmcnt(0)
	v_cmp_lt_i64_e32 vcc, v[1:2], v[3:4]
	s_and_saveexec_b64 s[0:1], vcc
	s_cbranch_execz .LBB79_87
; %bb.84:                               ;   in Loop: Header=BB79_83 Depth=1
	v_mov_b32_e32 v7, s45
	v_subrev_co_u32_e32 v3, vcc, s44, v3
	v_subb_co_u32_e32 v4, vcc, v4, v7, vcc
	v_mov_b32_e32 v8, s45
	v_subrev_co_u32_e32 v7, vcc, s44, v1
	v_subb_co_u32_e32 v8, vcc, v2, v8, vcc
	v_lshl_add_u32 v1, v1, 2, s10
	v_mov_b32_e32 v12, 0
	s_mov_b64 s[8:9], 0
.LBB79_85:                              ;   Parent Loop BB79_83 Depth=1
                                        ; =>  This Inner Loop Header: Depth=2
	ds_read_b32 v2, v1
	v_add_co_u32_e32 v7, vcc, 1, v7
	v_addc_co_u32_e32 v8, vcc, 0, v8, vcc
	v_cmp_ge_i64_e32 vcc, v[7:8], v[3:4]
	v_add_u32_e32 v1, 4, v1
	s_or_b64 s[8:9], vcc, s[8:9]
	s_waitcnt lgkmcnt(0)
	v_add_f32_e32 v12, v12, v2
	s_andn2_b64 exec, exec, s[8:9]
	s_cbranch_execnz .LBB79_85
; %bb.86:                               ;   in Loop: Header=BB79_83 Depth=1
	s_or_b64 exec, exec, s[8:9]
.LBB79_87:                              ;   in Loop: Header=BB79_83 Depth=1
	s_or_b64 exec, exec, s[0:1]
	v_lshlrev_b64 v[1:2], 2, v[5:6]
	s_and_b64 vcc, exec, s[4:5]
	s_cbranch_vccz .LBB79_82
; %bb.88:                               ;   in Loop: Header=BB79_83 Depth=1
	v_mov_b32_e32 v4, s41
	v_add_co_u32_e32 v3, vcc, s40, v1
	v_addc_co_u32_e32 v4, vcc, v4, v2, vcc
	global_load_dword v3, v[3:4], off
	s_waitcnt vmcnt(0)
	v_fmac_f32_e32 v12, s34, v3
	s_branch .LBB79_82
.LBB79_89:
	s_or_b64 exec, exec, s[2:3]
	s_mov_b64 s[0:1], 0
.LBB79_90:
	s_andn2_b64 vcc, exec, s[0:1]
	s_cbranch_vccnz .LBB79_115
; %bb.91:
	s_flbit_i32_b32 s0, s42
	s_min_u32 s0, s0, 32
	s_sub_i32 s0, 31, s0
	v_lshrrev_b32_e32 v5, s0, v0
	v_mov_b32_e32 v2, s37
	v_add_co_u32_e32 v1, vcc, s36, v5
	v_addc_co_u32_e32 v2, vcc, 0, v2, vcc
	s_add_i32 s0, s42, -1
	v_mov_b32_e32 v4, 0
	v_and_b32_e32 v3, s0, v0
	v_cmp_le_i64_e64 s[0:1], s[38:39], v[1:2]
	v_cmp_gt_i64_e32 vcc, s[38:39], v[1:2]
	v_mov_b32_e32 v0, v4
	s_and_saveexec_b64 s[2:3], vcc
	s_cbranch_execz .LBB79_97
; %bb.92:
	v_lshlrev_b32_e32 v0, 3, v5
	global_load_dwordx4 v[10:13], v0, s[46:47]
	v_mov_b32_e32 v5, s45
	v_subrev_co_u32_e32 v7, vcc, s44, v3
	v_subb_co_u32_e32 v8, vcc, 0, v5, vcc
	v_mov_b32_e32 v0, s45
	s_waitcnt vmcnt(0)
	v_subrev_co_u32_e32 v5, vcc, s44, v12
	v_subb_co_u32_e32 v6, vcc, v13, v0, vcc
	v_add_co_u32_e32 v7, vcc, v10, v7
	v_addc_co_u32_e32 v8, vcc, v11, v8, vcc
	v_cmp_lt_i64_e32 vcc, v[7:8], v[5:6]
	v_mov_b32_e32 v0, 0
	s_and_saveexec_b64 s[4:5], vcc
	s_cbranch_execz .LBB79_96
; %bb.93:
	v_lshlrev_b32_e32 v10, 2, v7
	s_lshl_b32 s8, s42, 2
	v_mov_b32_e32 v0, 0
	s_mov_b64 s[6:7], 0
	v_mov_b32_e32 v11, s43
.LBB79_94:                              ; =>This Inner Loop Header: Depth=1
	ds_read_b32 v12, v10
	v_add_co_u32_e32 v7, vcc, s42, v7
	v_addc_co_u32_e32 v8, vcc, v8, v11, vcc
	v_cmp_ge_i64_e32 vcc, v[7:8], v[5:6]
	v_add_u32_e32 v10, s8, v10
	s_or_b64 s[6:7], vcc, s[6:7]
	s_waitcnt lgkmcnt(0)
	v_add_f32_e32 v0, v0, v12
	s_andn2_b64 exec, exec, s[6:7]
	s_cbranch_execnz .LBB79_94
; %bb.95:
	s_or_b64 exec, exec, s[6:7]
.LBB79_96:
	s_or_b64 exec, exec, s[4:5]
.LBB79_97:
	s_or_b64 exec, exec, s[2:3]
	v_mov_b32_e32 v5, 0x81
	v_mov_b32_e32 v6, 0
	v_cmp_lt_u64_e32 vcc, s[42:43], v[5:6]
	s_and_b64 vcc, exec, vcc
	s_waitcnt vmcnt(0)
	s_barrier
	ds_write_b32 v9, v0
	s_waitcnt lgkmcnt(0)
	s_barrier
	s_cbranch_vccnz .LBB79_99
; %bb.98:
	ds_read_b32 v5, v9 offset:512
	s_waitcnt lgkmcnt(0)
	s_barrier
	v_add_f32_e32 v0, v0, v5
	ds_write_b32 v9, v0
.LBB79_99:
	v_mov_b32_e32 v5, 0x41
	v_mov_b32_e32 v6, 0
	v_cmp_lt_u64_e32 vcc, s[42:43], v[5:6]
	s_waitcnt lgkmcnt(0)
	s_barrier
	s_cbranch_vccnz .LBB79_101
; %bb.100:
	ds_read_b32 v5, v9 offset:256
	s_waitcnt lgkmcnt(0)
	s_barrier
	v_add_f32_e32 v0, v0, v5
	ds_write_b32 v9, v0
.LBB79_101:
	v_cmp_lt_u64_e64 s[2:3], s[42:43], 33
	s_waitcnt lgkmcnt(0)
	s_and_b64 vcc, exec, s[2:3]
	s_barrier
	s_cbranch_vccnz .LBB79_103
; %bb.102:
	ds_read_b32 v5, v9 offset:128
	s_waitcnt lgkmcnt(0)
	s_barrier
	v_add_f32_e32 v0, v0, v5
	ds_write_b32 v9, v0
.LBB79_103:
	v_cmp_lt_u64_e64 s[2:3], s[42:43], 17
	s_waitcnt lgkmcnt(0)
	s_and_b64 vcc, exec, s[2:3]
	;; [unrolled: 12-line block ×4, first 2 shown]
	s_barrier
	s_cbranch_vccnz .LBB79_109
; %bb.108:
	ds_read_b32 v5, v9 offset:16
	s_waitcnt lgkmcnt(0)
	s_barrier
	v_add_f32_e32 v0, v0, v5
	ds_write_b32 v9, v0
.LBB79_109:
	s_cmp_eq_u64 s[42:43], 2
	s_waitcnt lgkmcnt(0)
	s_barrier
	s_cbranch_scc1 .LBB79_111
; %bb.110:
	ds_read_b32 v5, v9 offset:8
	s_waitcnt lgkmcnt(0)
	s_barrier
	v_add_f32_e32 v0, v0, v5
	ds_write_b32 v9, v0
.LBB79_111:
	s_waitcnt lgkmcnt(0)
	s_barrier
	ds_read_b32 v5, v9 offset:4
	v_cmp_eq_u64_e32 vcc, 0, v[3:4]
	s_xor_b64 s[0:1], s[0:1], -1
	s_and_b64 s[0:1], vcc, s[0:1]
	s_waitcnt lgkmcnt(0)
	v_add_f32_e32 v5, v0, v5
	s_barrier
	ds_write_b32 v9, v5
	s_and_saveexec_b64 s[2:3], s[0:1]
	s_cbranch_execz .LBB79_115
; %bb.112:
	v_cmp_eq_f32_e64 s[0:1], s34, 0
	v_lshlrev_b64 v[0:1], 2, v[1:2]
	s_and_b64 vcc, exec, s[0:1]
	s_cbranch_vccnz .LBB79_114
; %bb.113:
	v_mov_b32_e32 v3, s41
	v_add_co_u32_e32 v2, vcc, s40, v0
	v_addc_co_u32_e32 v3, vcc, v3, v1, vcc
	global_load_dword v2, v[2:3], off
	s_waitcnt vmcnt(0)
	v_fmac_f32_e32 v5, s34, v2
.LBB79_114:
	v_mov_b32_e32 v2, s41
	v_add_co_u32_e32 v0, vcc, s40, v0
	v_addc_co_u32_e32 v1, vcc, v2, v1, vcc
	global_store_dword v[0:1], v5, off
.LBB79_115:
	s_endpgm
	.section	.rodata,"a",@progbits
	.p2align	6, 0x0
	.amdhsa_kernel _ZN9rocsparseL22csrmvn_adaptive_kernelIll18rocsparse_bfloat16S1_ffEEvbT_PKS2_PjPKT0_NS_24const_host_device_scalarIT4_EES4_S8_PKT1_PKT2_SB_PT3_21rocsparse_index_base_b
		.amdhsa_group_segment_fixed_size 4096
		.amdhsa_private_segment_fixed_size 0
		.amdhsa_kernarg_size 104
		.amdhsa_user_sgpr_count 6
		.amdhsa_user_sgpr_private_segment_buffer 1
		.amdhsa_user_sgpr_dispatch_ptr 0
		.amdhsa_user_sgpr_queue_ptr 0
		.amdhsa_user_sgpr_kernarg_segment_ptr 1
		.amdhsa_user_sgpr_dispatch_id 0
		.amdhsa_user_sgpr_flat_scratch_init 0
		.amdhsa_user_sgpr_private_segment_size 0
		.amdhsa_uses_dynamic_stack 0
		.amdhsa_system_sgpr_private_segment_wavefront_offset 0
		.amdhsa_system_sgpr_workgroup_id_x 1
		.amdhsa_system_sgpr_workgroup_id_y 0
		.amdhsa_system_sgpr_workgroup_id_z 0
		.amdhsa_system_sgpr_workgroup_info 0
		.amdhsa_system_vgpr_workitem_id 0
		.amdhsa_next_free_vgpr 22
		.amdhsa_next_free_sgpr 60
		.amdhsa_reserve_vcc 1
		.amdhsa_reserve_flat_scratch 0
		.amdhsa_float_round_mode_32 0
		.amdhsa_float_round_mode_16_64 0
		.amdhsa_float_denorm_mode_32 3
		.amdhsa_float_denorm_mode_16_64 3
		.amdhsa_dx10_clamp 1
		.amdhsa_ieee_mode 1
		.amdhsa_fp16_overflow 0
		.amdhsa_exception_fp_ieee_invalid_op 0
		.amdhsa_exception_fp_denorm_src 0
		.amdhsa_exception_fp_ieee_div_zero 0
		.amdhsa_exception_fp_ieee_overflow 0
		.amdhsa_exception_fp_ieee_underflow 0
		.amdhsa_exception_fp_ieee_inexact 0
		.amdhsa_exception_int_div_zero 0
	.end_amdhsa_kernel
	.section	.text._ZN9rocsparseL22csrmvn_adaptive_kernelIll18rocsparse_bfloat16S1_ffEEvbT_PKS2_PjPKT0_NS_24const_host_device_scalarIT4_EES4_S8_PKT1_PKT2_SB_PT3_21rocsparse_index_base_b,"axG",@progbits,_ZN9rocsparseL22csrmvn_adaptive_kernelIll18rocsparse_bfloat16S1_ffEEvbT_PKS2_PjPKT0_NS_24const_host_device_scalarIT4_EES4_S8_PKT1_PKT2_SB_PT3_21rocsparse_index_base_b,comdat
.Lfunc_end79:
	.size	_ZN9rocsparseL22csrmvn_adaptive_kernelIll18rocsparse_bfloat16S1_ffEEvbT_PKS2_PjPKT0_NS_24const_host_device_scalarIT4_EES4_S8_PKT1_PKT2_SB_PT3_21rocsparse_index_base_b, .Lfunc_end79-_ZN9rocsparseL22csrmvn_adaptive_kernelIll18rocsparse_bfloat16S1_ffEEvbT_PKS2_PjPKT0_NS_24const_host_device_scalarIT4_EES4_S8_PKT1_PKT2_SB_PT3_21rocsparse_index_base_b
                                        ; -- End function
	.set _ZN9rocsparseL22csrmvn_adaptive_kernelIll18rocsparse_bfloat16S1_ffEEvbT_PKS2_PjPKT0_NS_24const_host_device_scalarIT4_EES4_S8_PKT1_PKT2_SB_PT3_21rocsparse_index_base_b.num_vgpr, 22
	.set _ZN9rocsparseL22csrmvn_adaptive_kernelIll18rocsparse_bfloat16S1_ffEEvbT_PKS2_PjPKT0_NS_24const_host_device_scalarIT4_EES4_S8_PKT1_PKT2_SB_PT3_21rocsparse_index_base_b.num_agpr, 0
	.set _ZN9rocsparseL22csrmvn_adaptive_kernelIll18rocsparse_bfloat16S1_ffEEvbT_PKS2_PjPKT0_NS_24const_host_device_scalarIT4_EES4_S8_PKT1_PKT2_SB_PT3_21rocsparse_index_base_b.numbered_sgpr, 60
	.set _ZN9rocsparseL22csrmvn_adaptive_kernelIll18rocsparse_bfloat16S1_ffEEvbT_PKS2_PjPKT0_NS_24const_host_device_scalarIT4_EES4_S8_PKT1_PKT2_SB_PT3_21rocsparse_index_base_b.num_named_barrier, 0
	.set _ZN9rocsparseL22csrmvn_adaptive_kernelIll18rocsparse_bfloat16S1_ffEEvbT_PKS2_PjPKT0_NS_24const_host_device_scalarIT4_EES4_S8_PKT1_PKT2_SB_PT3_21rocsparse_index_base_b.private_seg_size, 0
	.set _ZN9rocsparseL22csrmvn_adaptive_kernelIll18rocsparse_bfloat16S1_ffEEvbT_PKS2_PjPKT0_NS_24const_host_device_scalarIT4_EES4_S8_PKT1_PKT2_SB_PT3_21rocsparse_index_base_b.uses_vcc, 1
	.set _ZN9rocsparseL22csrmvn_adaptive_kernelIll18rocsparse_bfloat16S1_ffEEvbT_PKS2_PjPKT0_NS_24const_host_device_scalarIT4_EES4_S8_PKT1_PKT2_SB_PT3_21rocsparse_index_base_b.uses_flat_scratch, 0
	.set _ZN9rocsparseL22csrmvn_adaptive_kernelIll18rocsparse_bfloat16S1_ffEEvbT_PKS2_PjPKT0_NS_24const_host_device_scalarIT4_EES4_S8_PKT1_PKT2_SB_PT3_21rocsparse_index_base_b.has_dyn_sized_stack, 0
	.set _ZN9rocsparseL22csrmvn_adaptive_kernelIll18rocsparse_bfloat16S1_ffEEvbT_PKS2_PjPKT0_NS_24const_host_device_scalarIT4_EES4_S8_PKT1_PKT2_SB_PT3_21rocsparse_index_base_b.has_recursion, 0
	.set _ZN9rocsparseL22csrmvn_adaptive_kernelIll18rocsparse_bfloat16S1_ffEEvbT_PKS2_PjPKT0_NS_24const_host_device_scalarIT4_EES4_S8_PKT1_PKT2_SB_PT3_21rocsparse_index_base_b.has_indirect_call, 0
	.section	.AMDGPU.csdata,"",@progbits
; Kernel info:
; codeLenInByte = 4084
; TotalNumSgprs: 64
; NumVgprs: 22
; ScratchSize: 0
; MemoryBound: 0
; FloatMode: 240
; IeeeMode: 1
; LDSByteSize: 4096 bytes/workgroup (compile time only)
; SGPRBlocks: 7
; VGPRBlocks: 5
; NumSGPRsForWavesPerEU: 64
; NumVGPRsForWavesPerEU: 22
; Occupancy: 10
; WaveLimiterHint : 1
; COMPUTE_PGM_RSRC2:SCRATCH_EN: 0
; COMPUTE_PGM_RSRC2:USER_SGPR: 6
; COMPUTE_PGM_RSRC2:TRAP_HANDLER: 0
; COMPUTE_PGM_RSRC2:TGID_X_EN: 1
; COMPUTE_PGM_RSRC2:TGID_Y_EN: 0
; COMPUTE_PGM_RSRC2:TGID_Z_EN: 0
; COMPUTE_PGM_RSRC2:TIDIG_COMP_CNT: 0
	.section	.text._ZN9rocsparseL27csrmvn_symm_adaptive_kernelIll18rocsparse_bfloat16S1_ffEEvbT_S2_PKS2_NS_24const_host_device_scalarIT4_EES4_PKT0_PKT1_PKT2_S7_PT3_21rocsparse_index_base_b,"axG",@progbits,_ZN9rocsparseL27csrmvn_symm_adaptive_kernelIll18rocsparse_bfloat16S1_ffEEvbT_S2_PKS2_NS_24const_host_device_scalarIT4_EES4_PKT0_PKT1_PKT2_S7_PT3_21rocsparse_index_base_b,comdat
	.globl	_ZN9rocsparseL27csrmvn_symm_adaptive_kernelIll18rocsparse_bfloat16S1_ffEEvbT_S2_PKS2_NS_24const_host_device_scalarIT4_EES4_PKT0_PKT1_PKT2_S7_PT3_21rocsparse_index_base_b ; -- Begin function _ZN9rocsparseL27csrmvn_symm_adaptive_kernelIll18rocsparse_bfloat16S1_ffEEvbT_S2_PKS2_NS_24const_host_device_scalarIT4_EES4_PKT0_PKT1_PKT2_S7_PT3_21rocsparse_index_base_b
	.p2align	8
	.type	_ZN9rocsparseL27csrmvn_symm_adaptive_kernelIll18rocsparse_bfloat16S1_ffEEvbT_S2_PKS2_NS_24const_host_device_scalarIT4_EES4_PKT0_PKT1_PKT2_S7_PT3_21rocsparse_index_base_b,@function
_ZN9rocsparseL27csrmvn_symm_adaptive_kernelIll18rocsparse_bfloat16S1_ffEEvbT_S2_PKS2_NS_24const_host_device_scalarIT4_EES4_PKT0_PKT1_PKT2_S7_PT3_21rocsparse_index_base_b: ; @_ZN9rocsparseL27csrmvn_symm_adaptive_kernelIll18rocsparse_bfloat16S1_ffEEvbT_S2_PKS2_NS_24const_host_device_scalarIT4_EES4_PKT0_PKT1_PKT2_S7_PT3_21rocsparse_index_base_b
; %bb.0:
	s_load_dwordx2 s[30:31], s[4:5], 0x58
	s_load_dwordx2 s[38:39], s[4:5], 0x20
	;; [unrolled: 1-line block ×3, first 2 shown]
	s_waitcnt lgkmcnt(0)
	s_bitcmp1_b32 s31, 0
	s_cselect_b64 s[8:9], -1, 0
	s_xor_b64 s[2:3], s[8:9], -1
	s_and_b64 vcc, exec, s[8:9]
	s_cbranch_vccnz .LBB80_2
; %bb.1:
	s_load_dword s38, s[38:39], 0x0
.LBB80_2:
	s_andn2_b64 vcc, exec, s[2:3]
	s_cbranch_vccnz .LBB80_4
; %bb.3:
	s_load_dword s0, s[0:1], 0x0
.LBB80_4:
	s_waitcnt lgkmcnt(0)
	v_cmp_neq_f32_e64 s[2:3], s38, 0
	v_cmp_neq_f32_e64 s[0:1], s0, 1.0
	s_or_b64 s[0:1], s[2:3], s[0:1]
	s_andn2_b64 vcc, exec, s[0:1]
	s_cbranch_vccnz .LBB80_151
; %bb.5:
	s_load_dwordx2 s[0:1], s[4:5], 0x18
	s_ashr_i32 s7, s6, 31
	s_lshl_b64 s[2:3], s[6:7], 3
	v_lshlrev_b32_e32 v14, 2, v0
	v_mov_b32_e32 v1, 0
	s_waitcnt lgkmcnt(0)
	s_add_u32 s0, s0, s2
	s_addc_u32 s1, s1, s3
	ds_write2st64_b32 v14, v1, v1 offset1:4
	ds_write2st64_b32 v14, v1, v1 offset0:8 offset1:12
	s_waitcnt lgkmcnt(0)
	s_barrier
	s_load_dwordx4 s[24:27], s[0:1], 0x0
	s_load_dwordx8 s[16:23], s[4:5], 0x28
	s_load_dwordx2 s[14:15], s[4:5], 0x50
	s_mov_b64 s[0:1], -1
	s_waitcnt lgkmcnt(0)
	s_sub_u32 s28, s26, s24
	s_subb_u32 s29, s27, s25
	v_cmp_gt_i64_e64 s[2:3], s[28:29], 2
	s_and_b64 vcc, exec, s[2:3]
	s_cbranch_vccnz .LBB80_38
; %bb.6:
	v_mov_b32_e32 v1, s24
	v_mov_b32_e32 v2, s25
	v_cmp_le_i64_e32 vcc, s[26:27], v[1:2]
	v_subrev_co_u32_e64 v9, s[0:1], s30, v0
	v_subb_co_u32_e64 v10, s[0:1], 0, 0, s[0:1]
	s_cbranch_vccnz .LBB80_27
; %bb.7:
	s_movk_i32 s31, 0x100
	v_mov_b32_e32 v1, s26
	v_cmp_gt_u32_e64 s[0:1], s31, v0
	v_cmp_gt_u32_e64 s[2:3], 64, v0
	;; [unrolled: 1-line block ×4, first 2 shown]
	v_cmp_eq_u32_e64 s[10:11], 0, v0
	v_mov_b32_e32 v11, 0
	v_mov_b32_e32 v2, s27
	s_mov_b64 s[34:35], s[24:25]
	s_branch .LBB80_9
.LBB80_8:                               ;   in Loop: Header=BB80_9 Depth=1
	s_or_b64 exec, exec, s[12:13]
	s_add_u32 s34, s34, 1
	s_addc_u32 s35, s35, 0
	v_cmp_ge_i64_e32 vcc, s[34:35], v[1:2]
	s_cbranch_vccnz .LBB80_27
.LBB80_9:                               ; =>This Loop Header: Depth=1
                                        ;     Child Loop BB80_11 Depth 2
                                        ;     Child Loop BB80_26 Depth 2
	s_lshl_b64 s[12:13], s[34:35], 3
	s_add_u32 s12, s16, s12
	s_addc_u32 s13, s17, s13
	s_load_dwordx4 s[40:43], s[12:13], 0x0
	v_mov_b32_e32 v12, 0
	s_waitcnt lgkmcnt(0)
	s_sub_u32 s36, s42, s30
	v_mov_b32_e32 v4, s41
	v_add_co_u32_e32 v3, vcc, s40, v9
	s_subb_u32 s37, s43, 0
	v_addc_co_u32_e32 v4, vcc, v4, v10, vcc
	v_cmp_gt_i64_e32 vcc, s[36:37], v[3:4]
	s_and_saveexec_b64 s[40:41], vcc
	s_cbranch_execz .LBB80_13
; %bb.10:                               ;   in Loop: Header=BB80_9 Depth=1
	v_lshlrev_b64 v[5:6], 3, v[3:4]
	v_mov_b32_e32 v7, s19
	v_add_co_u32_e32 v5, vcc, s18, v5
	v_addc_co_u32_e32 v6, vcc, v7, v6, vcc
	v_lshlrev_b64 v[7:8], 1, v[3:4]
	v_mov_b32_e32 v12, s21
	v_add_co_u32_e32 v7, vcc, s20, v7
	v_addc_co_u32_e32 v8, vcc, v12, v8, vcc
	v_mov_b32_e32 v12, 0
	s_mov_b64 s[42:43], 0
.LBB80_11:                              ;   Parent Loop BB80_9 Depth=1
                                        ; =>  This Inner Loop Header: Depth=2
	global_load_dwordx2 v[15:16], v[5:6], off
	global_load_ushort v13, v[7:8], off
	v_mov_b32_e32 v17, s23
	s_waitcnt vmcnt(1)
	v_subrev_co_u32_e32 v15, vcc, s30, v15
	v_subbrev_co_u32_e32 v16, vcc, 0, v16, vcc
	v_lshlrev_b64 v[15:16], 1, v[15:16]
	s_waitcnt vmcnt(0)
	v_lshlrev_b32_e32 v13, 16, v13
	v_add_co_u32_e32 v15, vcc, s22, v15
	v_addc_co_u32_e32 v16, vcc, v17, v16, vcc
	global_load_ushort v15, v[15:16], off
	v_add_co_u32_e32 v3, vcc, s31, v3
	v_addc_co_u32_e32 v4, vcc, 0, v4, vcc
	v_add_co_u32_e32 v5, vcc, 0x800, v5
	v_addc_co_u32_e32 v6, vcc, 0, v6, vcc
	v_cmp_le_i64_e64 s[12:13], s[36:37], v[3:4]
	v_add_co_u32_e32 v7, vcc, 0x200, v7
	v_addc_co_u32_e32 v8, vcc, 0, v8, vcc
	s_or_b64 s[42:43], s[12:13], s[42:43]
	s_waitcnt vmcnt(0)
	v_lshlrev_b32_e32 v15, 16, v15
	v_fmac_f32_e32 v12, v13, v15
	s_andn2_b64 exec, exec, s[42:43]
	s_cbranch_execnz .LBB80_11
; %bb.12:                               ;   in Loop: Header=BB80_9 Depth=1
	s_or_b64 exec, exec, s[42:43]
.LBB80_13:                              ;   in Loop: Header=BB80_9 Depth=1
	s_or_b64 exec, exec, s[40:41]
	ds_write_b32 v14, v12
	s_waitcnt lgkmcnt(0)
	s_barrier
	s_and_saveexec_b64 s[12:13], s[0:1]
	s_cbranch_execz .LBB80_15
; %bb.14:                               ;   in Loop: Header=BB80_9 Depth=1
	ds_read2st64_b32 v[3:4], v14 offset1:4
	ds_read2st64_b32 v[5:6], v14 offset0:8 offset1:12
	s_waitcnt lgkmcnt(0)
	v_add_f32_e32 v4, v4, v5
	v_add_f32_e32 v4, v4, v6
	;; [unrolled: 1-line block ×3, first 2 shown]
	ds_write_b32 v14, v3
.LBB80_15:                              ;   in Loop: Header=BB80_9 Depth=1
	s_or_b64 exec, exec, s[12:13]
	s_waitcnt lgkmcnt(0)
	s_barrier
	s_and_saveexec_b64 s[12:13], s[2:3]
	s_cbranch_execz .LBB80_17
; %bb.16:                               ;   in Loop: Header=BB80_9 Depth=1
	ds_read2st64_b32 v[3:4], v14 offset1:1
	ds_read2st64_b32 v[5:6], v14 offset0:2 offset1:3
	s_waitcnt lgkmcnt(0)
	v_add_f32_e32 v4, v4, v5
	v_add_f32_e32 v4, v4, v6
	v_add_f32_e32 v3, v3, v4
	ds_write_b32 v14, v3
.LBB80_17:                              ;   in Loop: Header=BB80_9 Depth=1
	s_or_b64 exec, exec, s[12:13]
	s_waitcnt lgkmcnt(0)
	s_barrier
	s_and_saveexec_b64 s[12:13], s[6:7]
	s_cbranch_execz .LBB80_19
; %bb.18:                               ;   in Loop: Header=BB80_9 Depth=1
	ds_read2_b32 v[3:4], v14 offset1:16
	ds_read2_b32 v[5:6], v14 offset0:32 offset1:48
	s_waitcnt lgkmcnt(0)
	v_add_f32_e32 v4, v4, v5
	v_add_f32_e32 v4, v4, v6
	;; [unrolled: 1-line block ×3, first 2 shown]
	ds_write_b32 v14, v3
.LBB80_19:                              ;   in Loop: Header=BB80_9 Depth=1
	s_or_b64 exec, exec, s[12:13]
	s_waitcnt lgkmcnt(0)
	s_barrier
	s_and_saveexec_b64 s[12:13], s[8:9]
	s_cbranch_execz .LBB80_21
; %bb.20:                               ;   in Loop: Header=BB80_9 Depth=1
	ds_read2_b32 v[3:4], v14 offset1:4
	ds_read2_b32 v[5:6], v14 offset0:8 offset1:12
	s_waitcnt lgkmcnt(0)
	v_add_f32_e32 v4, v4, v5
	v_add_f32_e32 v4, v4, v6
	v_add_f32_e32 v3, v3, v4
	ds_write_b32 v14, v3
.LBB80_21:                              ;   in Loop: Header=BB80_9 Depth=1
	s_or_b64 exec, exec, s[12:13]
	s_waitcnt lgkmcnt(0)
	s_barrier
	s_and_saveexec_b64 s[12:13], s[10:11]
	s_cbranch_execz .LBB80_23
; %bb.22:                               ;   in Loop: Header=BB80_9 Depth=1
	ds_read2_b32 v[3:4], v11 offset0:1 offset1:2
	ds_read_b32 v5, v11 offset:12
	ds_read_b32 v6, v14
	s_waitcnt lgkmcnt(2)
	v_add_f32_e32 v3, v3, v4
	s_waitcnt lgkmcnt(1)
	v_add_f32_e32 v3, v3, v5
	s_waitcnt lgkmcnt(0)
	v_add_f32_e32 v3, v6, v3
	ds_write_b32 v14, v3
.LBB80_23:                              ;   in Loop: Header=BB80_9 Depth=1
	s_or_b64 exec, exec, s[12:13]
	s_waitcnt lgkmcnt(0)
	s_barrier
	s_and_saveexec_b64 s[12:13], s[10:11]
	s_cbranch_execz .LBB80_8
; %bb.24:                               ;   in Loop: Header=BB80_9 Depth=1
	s_mov_b64 s[40:41], exec
	v_mbcnt_lo_u32_b32 v3, s40, 0
	v_mbcnt_hi_u32_b32 v3, s41, v3
	v_cmp_eq_u32_e32 vcc, 0, v3
	s_and_b64 s[36:37], exec, vcc
	s_mov_b64 exec, s[36:37]
	s_cbranch_execz .LBB80_8
; %bb.25:                               ;   in Loop: Header=BB80_9 Depth=1
	s_lshl_b64 s[36:37], s[34:35], 2
	s_add_u32 s36, s14, s36
	s_addc_u32 s37, s15, s37
	global_load_dword v4, v11, s[36:37]
	ds_read_b32 v3, v11
	s_bcnt1_i32_b64 s33, s[40:41]
	v_cvt_f32_ubyte0_e32 v5, s33
	s_mov_b64 s[40:41], 0
	s_waitcnt lgkmcnt(0)
	v_mul_f32_e32 v3, s38, v3
	v_mul_f32_e32 v5, v3, v5
.LBB80_26:                              ;   Parent Loop BB80_9 Depth=1
                                        ; =>  This Inner Loop Header: Depth=2
	s_waitcnt vmcnt(0)
	v_add_f32_e32 v3, v4, v5
	global_atomic_cmpswap v3, v11, v[3:4], s[36:37] glc
	s_waitcnt vmcnt(0)
	v_cmp_eq_u32_e32 vcc, v3, v4
	s_or_b64 s[40:41], vcc, s[40:41]
	v_mov_b32_e32 v4, v3
	s_andn2_b64 exec, exec, s[40:41]
	s_cbranch_execnz .LBB80_26
	s_branch .LBB80_8
.LBB80_27:
	s_lshl_b64 s[0:1], s[24:25], 3
	s_add_u32 s0, s16, s0
	s_addc_u32 s1, s17, s1
	s_lshl_b64 s[2:3], s[26:27], 3
	s_add_u32 s2, s16, s2
	s_addc_u32 s3, s17, s3
	s_load_dwordx2 s[8:9], s[0:1], 0x0
	s_load_dwordx2 s[6:7], s[2:3], 0x0
	s_waitcnt lgkmcnt(0)
	v_mov_b32_e32 v2, s9
	s_sub_u32 s6, s6, s30
	v_add_co_u32_e32 v1, vcc, s8, v9
	s_subb_u32 s7, s7, 0
	v_addc_co_u32_e32 v2, vcc, v2, v10, vcc
	v_cmp_gt_i64_e32 vcc, s[6:7], v[1:2]
	s_and_saveexec_b64 s[8:9], vcc
	s_cbranch_execz .LBB80_37
; %bb.28:
	s_add_u32 s10, s26, -1
	s_addc_u32 s11, s27, -1
	v_mov_b32_e32 v3, s10
	s_add_u32 s0, s26, -2
	v_mov_b32_e32 v4, s11
	s_addc_u32 s1, s27, -1
	v_cmp_lt_i64_e32 vcc, s[24:25], v[3:4]
	s_cmp_lg_u64 s[24:25], s[0:1]
	s_cselect_b64 s[0:1], -1, 0
	s_and_b64 s[0:1], vcc, s[0:1]
	v_cndmask_b32_e64 v3, 0, 1, s[0:1]
	s_mov_b64 s[12:13], 0
	v_cmp_ne_u32_e64 s[0:1], 1, v3
	v_mov_b32_e32 v7, s17
	v_mov_b32_e32 v8, s19
	s_branch .LBB80_30
.LBB80_29:                              ;   in Loop: Header=BB80_30 Depth=1
	s_or_b64 exec, exec, s[2:3]
	v_add_co_u32_e32 v1, vcc, 0x100, v1
	v_addc_co_u32_e32 v2, vcc, 0, v2, vcc
	v_cmp_le_i64_e32 vcc, s[6:7], v[1:2]
	s_or_b64 s[12:13], vcc, s[12:13]
	s_andn2_b64 exec, exec, s[12:13]
	s_cbranch_execz .LBB80_37
.LBB80_30:                              ; =>This Loop Header: Depth=1
                                        ;     Child Loop BB80_32 Depth 2
                                        ;     Child Loop BB80_36 Depth 2
	v_mov_b32_e32 v3, s24
	v_mov_b32_e32 v5, s10
	s_and_b64 vcc, exec, s[0:1]
	v_mov_b32_e32 v4, s25
	v_mov_b32_e32 v6, s11
	s_cbranch_vccnz .LBB80_34
; %bb.31:                               ;   in Loop: Header=BB80_30 Depth=1
	v_mov_b32_e32 v3, s24
	v_mov_b32_e32 v5, s10
	s_mov_b64 s[34:35], 0
	v_mov_b32_e32 v4, s25
	v_mov_b32_e32 v6, s11
.LBB80_32:                              ;   Parent Loop BB80_30 Depth=1
                                        ; =>  This Inner Loop Header: Depth=2
	v_add_co_u32_e32 v9, vcc, v5, v3
	v_addc_co_u32_e32 v10, vcc, v6, v4, vcc
	v_lshrrev_b32_e32 v11, 31, v10
	v_add_co_u32_e32 v9, vcc, v9, v11
	v_addc_co_u32_e32 v10, vcc, 0, v10, vcc
	v_ashrrev_i64 v[9:10], 1, v[9:10]
	v_mov_b32_e32 v13, s17
	v_lshlrev_b64 v[11:12], 3, v[9:10]
	v_add_co_u32_e32 v11, vcc, s16, v11
	v_addc_co_u32_e32 v12, vcc, v13, v12, vcc
	global_load_dwordx2 v[11:12], v[11:12], off
	s_waitcnt vmcnt(0)
	v_subrev_co_u32_e32 v11, vcc, s30, v11
	v_subbrev_co_u32_e32 v12, vcc, 0, v12, vcc
	v_cmp_lt_i64_e32 vcc, v[1:2], v[11:12]
	v_cndmask_b32_e32 v5, v5, v9, vcc
	v_cndmask_b32_e32 v6, v6, v10, vcc
	;; [unrolled: 1-line block ×3, first 2 shown]
	v_add_co_u32_e64 v9, s[2:3], -1, v5
	v_cndmask_b32_e32 v4, v10, v4, vcc
	v_addc_co_u32_e64 v10, s[2:3], -1, v6, s[2:3]
	v_cmp_ge_i64_e32 vcc, v[3:4], v[5:6]
	v_cmp_eq_u64_e64 s[2:3], v[3:4], v[9:10]
	s_or_b64 s[2:3], vcc, s[2:3]
	s_and_b64 s[2:3], exec, s[2:3]
	s_or_b64 s[34:35], s[2:3], s[34:35]
	s_andn2_b64 exec, exec, s[34:35]
	s_cbranch_execnz .LBB80_32
; %bb.33:                               ;   in Loop: Header=BB80_30 Depth=1
	s_or_b64 exec, exec, s[34:35]
.LBB80_34:                              ;   in Loop: Header=BB80_30 Depth=1
	v_lshlrev_b64 v[9:10], 3, v[5:6]
	v_lshlrev_b64 v[11:12], 3, v[1:2]
	v_add_co_u32_e32 v9, vcc, s16, v9
	v_addc_co_u32_e32 v10, vcc, v7, v10, vcc
	global_load_dwordx2 v[9:10], v[9:10], off
	v_add_co_u32_e32 v11, vcc, s18, v11
	v_addc_co_u32_e32 v12, vcc, v8, v12, vcc
	global_load_dwordx2 v[11:12], v[11:12], off
	s_waitcnt vmcnt(1)
	v_subrev_co_u32_e32 v9, vcc, s30, v9
	v_subbrev_co_u32_e32 v10, vcc, 0, v10, vcc
	v_cmp_lt_i64_e32 vcc, v[1:2], v[9:10]
	v_cndmask_b32_e32 v4, v6, v4, vcc
	v_cndmask_b32_e32 v3, v5, v3, vcc
	s_waitcnt vmcnt(0)
	v_subrev_co_u32_e32 v5, vcc, s30, v11
	v_subbrev_co_u32_e32 v6, vcc, 0, v12, vcc
	v_cmp_ne_u64_e32 vcc, v[5:6], v[3:4]
	s_and_saveexec_b64 s[2:3], vcc
	s_cbranch_execz .LBB80_29
; %bb.35:                               ;   in Loop: Header=BB80_30 Depth=1
	v_lshlrev_b64 v[9:10], 1, v[1:2]
	v_mov_b32_e32 v12, s21
	v_add_co_u32_e32 v9, vcc, s20, v9
	v_lshlrev_b64 v[3:4], 1, v[3:4]
	v_addc_co_u32_e32 v10, vcc, v12, v10, vcc
	v_lshlrev_b64 v[5:6], 2, v[5:6]
	global_load_ushort v9, v[9:10], off
	v_mov_b32_e32 v10, s23
	v_add_co_u32_e32 v3, vcc, s22, v3
	v_addc_co_u32_e32 v4, vcc, v10, v4, vcc
	v_mov_b32_e32 v11, s15
	global_load_ushort v10, v[3:4], off
	v_add_co_u32_e32 v3, vcc, s14, v5
	v_addc_co_u32_e32 v4, vcc, v11, v6, vcc
	global_load_dword v6, v[3:4], off
	s_mov_b64 s[34:35], 0
	s_waitcnt vmcnt(2)
	v_lshlrev_b32_e32 v5, 16, v9
	v_mul_f32_e32 v5, s38, v5
	s_waitcnt vmcnt(1)
	v_lshlrev_b32_e32 v9, 16, v10
	v_mul_f32_e32 v9, v5, v9
.LBB80_36:                              ;   Parent Loop BB80_30 Depth=1
                                        ; =>  This Inner Loop Header: Depth=2
	s_waitcnt vmcnt(0)
	v_add_f32_e32 v5, v6, v9
	global_atomic_cmpswap v5, v[3:4], v[5:6], off glc
	s_waitcnt vmcnt(0)
	v_cmp_eq_u32_e32 vcc, v5, v6
	s_or_b64 s[34:35], vcc, s[34:35]
	v_mov_b32_e32 v6, v5
	s_andn2_b64 exec, exec, s[34:35]
	s_cbranch_execnz .LBB80_36
	s_branch .LBB80_29
.LBB80_37:
	s_or_b64 exec, exec, s[8:9]
	s_mov_b64 s[0:1], 0
.LBB80_38:
	s_and_b64 vcc, exec, s[0:1]
	s_cbranch_vccz .LBB80_151
; %bb.39:
	s_load_dword s0, s[4:5], 0x6c
	v_mov_b32_e32 v1, s28
	s_mov_b32 s13, 0
	v_mov_b32_e32 v2, s29
	s_mov_b64 s[36:37], 0
	s_waitcnt lgkmcnt(0)
	s_and_b32 s12, s0, 0xffff
	v_cmp_lt_u64_e32 vcc, s[12:13], v[1:2]
	s_cbranch_vccnz .LBB80_41
; %bb.40:
	v_cvt_f32_u32_e32 v1, s28
	s_sub_i32 s0, 0, s28
	v_rcp_iflag_f32_e32 v1, v1
	v_mul_f32_e32 v1, 0x4f7ffffe, v1
	v_cvt_u32_f32_e32 v1, v1
	v_readfirstlane_b32 s1, v1
	s_mul_i32 s0, s0, s1
	s_mul_hi_u32 s0, s1, s0
	s_add_i32 s1, s1, s0
	s_mul_hi_u32 s0, s12, s1
	s_mul_i32 s2, s0, s28
	s_sub_i32 s2, s12, s2
	s_add_i32 s1, s0, 1
	s_sub_i32 s3, s2, s28
	s_cmp_ge_u32 s2, s28
	s_cselect_b32 s0, s1, s0
	s_cselect_b32 s2, s3, s2
	s_add_i32 s1, s0, 1
	s_cmp_ge_u32 s2, s28
	s_cselect_b32 s36, s1, s0
.LBB80_41:
	s_lshl_b64 s[0:1], s[24:25], 3
	s_add_u32 s34, s16, s0
	s_addc_u32 s35, s17, s1
	s_load_dwordx2 s[6:7], s[34:35], 0x0
	s_load_dwordx4 s[8:11], s[4:5], 0x8
	v_subrev_co_u32_e32 v1, vcc, s30, v0
	v_subb_co_u32_e64 v2, s[0:1], 0, 0, vcc
	s_waitcnt lgkmcnt(0)
	v_mov_b32_e32 v3, s7
	v_add_co_u32_e32 v4, vcc, s6, v1
	v_addc_co_u32_e32 v5, vcc, v3, v2, vcc
	v_add_co_u32_e32 v2, vcc, 0x300, v4
	v_addc_co_u32_e32 v3, vcc, 0, v5, vcc
	v_cmp_le_i64_e64 s[0:1], s[8:9], v[2:3]
	v_mov_b32_e32 v1, 0
	s_and_saveexec_b64 s[2:3], s[0:1]
	s_xor_b64 s[2:3], exec, s[2:3]
	s_cbranch_execnz .LBB80_44
; %bb.42:
	s_andn2_saveexec_b64 s[2:3], s[2:3]
	s_cbranch_execnz .LBB80_48
.LBB80_43:
	s_or_b64 exec, exec, s[2:3]
	v_cmp_gt_i64_e32 vcc, s[10:11], v[0:1]
	s_and_saveexec_b64 s[2:3], vcc
	s_cbranch_execnz .LBB80_49
	s_branch .LBB80_51
.LBB80_44:
	s_lshl_b64 s[4:5], s[26:27], 3
	s_add_u32 s4, s16, s4
	s_addc_u32 s5, s17, s5
	s_load_dwordx2 s[4:5], s[4:5], 0x0
	s_waitcnt lgkmcnt(0)
	s_sub_u32 s4, s4, s6
	s_subb_u32 s5, s5, s7
	v_cmp_gt_i64_e32 vcc, s[4:5], v[0:1]
	s_and_saveexec_b64 s[8:9], vcc
	s_cbranch_execz .LBB80_47
; %bb.45:
	v_lshlrev_b64 v[6:7], 1, v[4:5]
	v_mov_b32_e32 v8, s21
	v_add_co_u32_e32 v6, vcc, s20, v6
	v_addc_co_u32_e32 v7, vcc, v8, v7, vcc
	v_mov_b32_e32 v9, v1
	s_mov_b64 s[40:41], 0
	v_mov_b32_e32 v10, v14
	v_mov_b32_e32 v8, v0
.LBB80_46:                              ; =>This Inner Loop Header: Depth=1
	global_load_ushort v11, v[6:7], off
	v_add_co_u32_e32 v6, vcc, 0x200, v6
	v_addc_co_u32_e32 v7, vcc, 0, v7, vcc
	v_add_co_u32_e32 v8, vcc, 0x100, v8
	v_addc_co_u32_e32 v9, vcc, 0, v9, vcc
	v_cmp_le_i64_e32 vcc, s[4:5], v[8:9]
	s_or_b64 s[40:41], vcc, s[40:41]
	s_waitcnt vmcnt(0)
	v_lshlrev_b32_e32 v11, 16, v11
	v_mul_f32_e32 v11, s38, v11
	ds_write_b32 v10, v11
	v_add_u32_e32 v10, 0x400, v10
	s_andn2_b64 exec, exec, s[40:41]
	s_cbranch_execnz .LBB80_46
.LBB80_47:
	s_or_b64 exec, exec, s[8:9]
	s_andn2_saveexec_b64 s[2:3], s[2:3]
	s_cbranch_execz .LBB80_43
.LBB80_48:
	v_lshlrev_b64 v[6:7], 1, v[4:5]
	v_mov_b32_e32 v8, s21
	v_add_co_u32_e32 v6, vcc, s20, v6
	v_addc_co_u32_e32 v7, vcc, v8, v7, vcc
	global_load_ushort v8, v[6:7], off
	global_load_ushort v9, v[6:7], off offset:512
	global_load_ushort v10, v[6:7], off offset:1024
	;; [unrolled: 1-line block ×3, first 2 shown]
	s_waitcnt vmcnt(3)
	v_lshlrev_b32_e32 v6, 16, v8
	s_waitcnt vmcnt(2)
	v_lshlrev_b32_e32 v7, 16, v9
	;; [unrolled: 2-line block ×4, first 2 shown]
	v_mul_f32_e32 v6, s38, v6
	v_mul_f32_e32 v7, s38, v7
	;; [unrolled: 1-line block ×4, first 2 shown]
	ds_write2st64_b32 v14, v6, v7 offset1:4
	ds_write2st64_b32 v14, v8, v9 offset0:8 offset1:12
	s_or_b64 exec, exec, s[2:3]
	v_cmp_gt_i64_e32 vcc, s[10:11], v[0:1]
	s_and_saveexec_b64 s[2:3], vcc
	s_cbranch_execz .LBB80_51
.LBB80_49:
	v_mov_b32_e32 v6, 0x1000
	v_lshl_add_u32 v8, v0, 2, v6
	v_mov_b32_e32 v7, v1
	s_mov_b64 s[4:5], 0
	v_mov_b32_e32 v9, 0
	v_mov_b32_e32 v6, v0
.LBB80_50:                              ; =>This Inner Loop Header: Depth=1
	v_add_co_u32_e32 v6, vcc, 0x100, v6
	v_addc_co_u32_e32 v7, vcc, 0, v7, vcc
	v_cmp_le_i64_e32 vcc, s[10:11], v[6:7]
	ds_write_b32 v8, v9
	s_or_b64 s[4:5], vcc, s[4:5]
	v_add_u32_e32 v8, 0x400, v8
	s_andn2_b64 exec, exec, s[4:5]
	s_cbranch_execnz .LBB80_50
.LBB80_51:
	s_or_b64 exec, exec, s[2:3]
	v_mov_b32_e32 v6, s10
	v_mov_b32_e32 v7, s11
	s_sub_u32 s4, s26, s10
	v_cmp_ge_i64_e32 vcc, s[26:27], v[6:7]
	s_subb_u32 s5, s27, s11
	s_and_b64 s[2:3], vcc, exec
	s_cselect_b32 s9, s5, 0
	s_cselect_b32 s8, s4, 0
	s_waitcnt lgkmcnt(0)
	s_barrier
	s_and_saveexec_b64 s[2:3], s[0:1]
	s_xor_b64 s[20:21], exec, s[2:3]
	s_cbranch_execz .LBB80_67
; %bb.52:
	s_lshl_b64 s[0:1], s[26:27], 3
	s_add_u32 s0, s16, s0
	s_addc_u32 s1, s17, s1
	s_load_dwordx2 s[0:1], s[0:1], 0x0
	s_waitcnt lgkmcnt(0)
	s_sub_u32 s38, s0, s6
	s_subb_u32 s39, s1, s7
	v_cmp_gt_i64_e32 vcc, s[38:39], v[0:1]
	s_and_saveexec_b64 s[40:41], vcc
	s_cbranch_execz .LBB80_66
; %bb.53:
	s_add_u32 s42, s26, -1
	s_addc_u32 s43, s27, -1
	s_add_u32 s2, s26, -2
	s_addc_u32 s3, s27, -1
	s_cmp_lg_u64 s[24:25], s[2:3]
	s_cselect_b64 s[2:3], -1, 0
	s_sub_u32 s44, s0, s30
	v_cndmask_b32_e64 v2, 0, 1, s[2:3]
	s_subb_u32 s45, s1, 0
	s_mov_b64 s[46:47], 0
	v_cmp_ne_u32_e64 s[0:1], 1, v2
	v_mov_b32_e32 v12, s17
	v_mov_b32_e32 v13, s19
	;; [unrolled: 1-line block ×3, first 2 shown]
	s_mov_b64 s[48:49], 0
	s_branch .LBB80_55
.LBB80_54:                              ;   in Loop: Header=BB80_55 Depth=1
	s_or_b64 exec, exec, s[50:51]
	s_add_u32 s48, s48, 0x100
	s_addc_u32 s49, s49, 0
	v_mov_b32_e32 v3, s49
	v_add_co_u32_e32 v2, vcc, s48, v0
	v_addc_co_u32_e32 v3, vcc, 0, v3, vcc
	v_cmp_le_i64_e32 vcc, s[38:39], v[2:3]
	s_or_b64 s[46:47], vcc, s[46:47]
	s_andn2_b64 exec, exec, s[46:47]
	s_cbranch_execz .LBB80_66
.LBB80_55:                              ; =>This Loop Header: Depth=1
                                        ;     Child Loop BB80_57 Depth 2
                                        ;     Child Loop BB80_62 Depth 2
	v_mov_b32_e32 v3, s49
	v_add_co_u32_e32 v2, vcc, s48, v4
	v_addc_co_u32_e32 v3, vcc, v3, v5, vcc
	v_mov_b32_e32 v6, s24
	v_mov_b32_e32 v8, s42
	s_and_b64 vcc, exec, s[0:1]
	v_mov_b32_e32 v7, s25
	v_mov_b32_e32 v9, s43
	s_cbranch_vccnz .LBB80_59
; %bb.56:                               ;   in Loop: Header=BB80_55 Depth=1
	v_mov_b32_e32 v6, s24
	v_mov_b32_e32 v8, s42
	s_mov_b64 s[4:5], 0
	v_mov_b32_e32 v7, s25
	v_mov_b32_e32 v9, s43
.LBB80_57:                              ;   Parent Loop BB80_55 Depth=1
                                        ; =>  This Inner Loop Header: Depth=2
	v_add_co_u32_e32 v10, vcc, v8, v6
	v_addc_co_u32_e32 v11, vcc, v9, v7, vcc
	v_lshrrev_b32_e32 v16, 31, v11
	v_add_co_u32_e32 v10, vcc, v10, v16
	v_addc_co_u32_e32 v11, vcc, 0, v11, vcc
	v_ashrrev_i64 v[10:11], 1, v[10:11]
	v_mov_b32_e32 v18, s17
	v_lshlrev_b64 v[16:17], 3, v[10:11]
	v_add_co_u32_e32 v16, vcc, s16, v16
	v_addc_co_u32_e32 v17, vcc, v18, v17, vcc
	global_load_dwordx2 v[16:17], v[16:17], off
	s_waitcnt vmcnt(0)
	v_subrev_co_u32_e32 v16, vcc, s30, v16
	v_subbrev_co_u32_e32 v17, vcc, 0, v17, vcc
	v_cmp_lt_i64_e32 vcc, v[2:3], v[16:17]
	v_cndmask_b32_e32 v8, v8, v10, vcc
	v_cndmask_b32_e32 v9, v9, v11, vcc
	;; [unrolled: 1-line block ×3, first 2 shown]
	v_add_co_u32_e64 v10, s[2:3], -1, v8
	v_cndmask_b32_e32 v7, v11, v7, vcc
	v_addc_co_u32_e64 v11, s[2:3], -1, v9, s[2:3]
	v_cmp_ge_i64_e32 vcc, v[6:7], v[8:9]
	v_cmp_eq_u64_e64 s[2:3], v[6:7], v[10:11]
	s_or_b64 s[2:3], vcc, s[2:3]
	s_and_b64 s[2:3], exec, s[2:3]
	s_or_b64 s[4:5], s[2:3], s[4:5]
	s_andn2_b64 exec, exec, s[4:5]
	s_cbranch_execnz .LBB80_57
; %bb.58:                               ;   in Loop: Header=BB80_55 Depth=1
	s_or_b64 exec, exec, s[4:5]
.LBB80_59:                              ;   in Loop: Header=BB80_55 Depth=1
	v_lshlrev_b64 v[10:11], 3, v[8:9]
	v_lshlrev_b64 v[16:17], 3, v[2:3]
	v_add_co_u32_e32 v10, vcc, s16, v10
	v_addc_co_u32_e32 v11, vcc, v12, v11, vcc
	global_load_dwordx2 v[10:11], v[10:11], off
	v_add_co_u32_e32 v16, vcc, s18, v16
	v_addc_co_u32_e32 v17, vcc, v13, v17, vcc
	global_load_dwordx2 v[16:17], v[16:17], off
	v_cmp_gt_i64_e64 s[2:3], s[44:45], v[2:3]
	s_waitcnt vmcnt(1)
	v_subrev_co_u32_e32 v18, vcc, s30, v10
	v_subbrev_co_u32_e32 v19, vcc, 0, v11, vcc
	s_waitcnt vmcnt(0)
	v_subrev_co_u32_e32 v10, vcc, s30, v16
	v_subbrev_co_u32_e32 v11, vcc, 0, v17, vcc
	v_cmp_lt_i64_e32 vcc, v[2:3], v[18:19]
	v_cndmask_b32_e32 v7, v9, v7, vcc
	v_cndmask_b32_e32 v6, v8, v6, vcc
	v_cmp_ne_u64_e32 vcc, v[10:11], v[6:7]
	s_and_b64 s[2:3], vcc, s[2:3]
	s_and_saveexec_b64 s[50:51], s[2:3]
	s_cbranch_execz .LBB80_54
; %bb.60:                               ;   in Loop: Header=BB80_55 Depth=1
	v_cmp_gt_i64_e32 vcc, s[8:9], v[10:11]
	v_cmp_le_i64_e64 s[2:3], s[26:27], v[10:11]
	v_add_co_u32_e64 v8, s[4:5], s48, v0
	v_lshlrev_b64 v[2:3], 1, v[6:7]
	s_or_b64 s[2:3], vcc, s[2:3]
	v_lshlrev_b32_e32 v6, 2, v8
	s_and_saveexec_b64 s[4:5], s[2:3]
	s_xor_b64 s[2:3], exec, s[4:5]
	s_cbranch_execz .LBB80_64
; %bb.61:                               ;   in Loop: Header=BB80_55 Depth=1
	v_lshlrev_b64 v[7:8], 2, v[10:11]
	v_mov_b32_e32 v10, s23
	v_add_co_u32_e32 v2, vcc, s22, v2
	v_addc_co_u32_e32 v3, vcc, v10, v3, vcc
	v_mov_b32_e32 v9, s15
	global_load_ushort v10, v[2:3], off
	v_add_co_u32_e32 v2, vcc, s14, v7
	v_addc_co_u32_e32 v3, vcc, v9, v8, vcc
	global_load_dword v7, v[2:3], off
	ds_read_b32 v6, v6
	s_mov_b64 s[4:5], 0
	s_waitcnt vmcnt(1)
	v_lshlrev_b32_e32 v8, 16, v10
	s_waitcnt lgkmcnt(0)
	v_mul_f32_e32 v8, v6, v8
.LBB80_62:                              ;   Parent Loop BB80_55 Depth=1
                                        ; =>  This Inner Loop Header: Depth=2
	s_waitcnt vmcnt(0)
	v_add_f32_e32 v6, v7, v8
	global_atomic_cmpswap v6, v[2:3], v[6:7], off glc
	s_waitcnt vmcnt(0)
	v_cmp_eq_u32_e32 vcc, v6, v7
	s_or_b64 s[4:5], vcc, s[4:5]
	v_mov_b32_e32 v7, v6
	s_andn2_b64 exec, exec, s[4:5]
	s_cbranch_execnz .LBB80_62
; %bb.63:                               ;   in Loop: Header=BB80_55 Depth=1
	s_or_b64 exec, exec, s[4:5]
                                        ; implicit-def: $vgpr10
                                        ; implicit-def: $vgpr6
                                        ; implicit-def: $vgpr2_vgpr3
.LBB80_64:                              ;   in Loop: Header=BB80_55 Depth=1
	s_andn2_saveexec_b64 s[2:3], s[2:3]
	s_cbranch_execz .LBB80_54
; %bb.65:                               ;   in Loop: Header=BB80_55 Depth=1
	v_mov_b32_e32 v7, s23
	v_add_co_u32_e32 v2, vcc, s22, v2
	v_addc_co_u32_e32 v3, vcc, v7, v3, vcc
	global_load_ushort v2, v[2:3], off
	ds_read_b32 v3, v6
	v_subrev_u32_e32 v6, s8, v10
	v_lshl_add_u32 v6, v6, 2, v15
	s_waitcnt vmcnt(0)
	v_lshlrev_b32_e32 v2, 16, v2
	s_waitcnt lgkmcnt(0)
	v_mul_f32_e32 v2, v3, v2
	ds_add_f32 v6, v2
	s_branch .LBB80_54
.LBB80_66:
	s_or_b64 exec, exec, s[40:41]
                                        ; implicit-def: $vgpr2_vgpr3
                                        ; implicit-def: $vgpr4
.LBB80_67:
	s_andn2_saveexec_b64 s[4:5], s[20:21]
	s_cbranch_execz .LBB80_117
; %bb.68:
	s_add_u32 s20, s26, -1
	s_addc_u32 s21, s27, -1
	s_add_u32 s0, s26, -2
	s_addc_u32 s1, s27, -1
	s_cmp_lg_u64 s[24:25], s[0:1]
	v_mov_b32_e32 v8, s24
	v_mov_b32_e32 v10, s20
	s_cselect_b64 s[2:3], -1, 0
	s_cmp_eq_u64 s[24:25], s[0:1]
	v_mov_b32_e32 v9, s25
	v_mov_b32_e32 v11, s21
	s_cbranch_scc1 .LBB80_72
; %bb.69:
	v_mov_b32_e32 v8, s24
	v_mov_b32_e32 v10, s20
	s_mov_b64 s[38:39], 0
	v_mov_b32_e32 v9, s25
	v_mov_b32_e32 v11, s21
	;; [unrolled: 1-line block ×3, first 2 shown]
.LBB80_70:                              ; =>This Inner Loop Header: Depth=1
	v_add_co_u32_e32 v7, vcc, v10, v8
	v_addc_co_u32_e32 v13, vcc, v11, v9, vcc
	v_lshrrev_b32_e32 v12, 31, v13
	v_add_co_u32_e32 v12, vcc, v7, v12
	v_addc_co_u32_e32 v13, vcc, 0, v13, vcc
	v_ashrrev_i64 v[12:13], 1, v[12:13]
	v_lshlrev_b64 v[15:16], 3, v[12:13]
	v_add_co_u32_e32 v15, vcc, s16, v15
	v_addc_co_u32_e32 v16, vcc, v6, v16, vcc
	global_load_dwordx2 v[15:16], v[15:16], off
	s_waitcnt vmcnt(0)
	v_subrev_co_u32_e32 v15, vcc, s30, v15
	v_subbrev_co_u32_e32 v16, vcc, 0, v16, vcc
	v_cmp_lt_i64_e32 vcc, v[4:5], v[15:16]
	v_cndmask_b32_e32 v10, v10, v12, vcc
	v_cndmask_b32_e32 v11, v11, v13, vcc
	;; [unrolled: 1-line block ×3, first 2 shown]
	v_add_co_u32_e64 v12, s[0:1], -1, v10
	v_cndmask_b32_e32 v9, v13, v9, vcc
	v_addc_co_u32_e64 v13, s[0:1], -1, v11, s[0:1]
	v_cmp_ge_i64_e32 vcc, v[8:9], v[10:11]
	v_cmp_eq_u64_e64 s[0:1], v[8:9], v[12:13]
	s_or_b64 s[0:1], vcc, s[0:1]
	s_and_b64 s[0:1], exec, s[0:1]
	s_or_b64 s[38:39], s[0:1], s[38:39]
	s_andn2_b64 exec, exec, s[38:39]
	s_cbranch_execnz .LBB80_70
; %bb.71:
	s_or_b64 exec, exec, s[38:39]
.LBB80_72:
	v_lshlrev_b64 v[6:7], 3, v[10:11]
	v_mov_b32_e32 v12, s17
	v_add_co_u32_e32 v6, vcc, s16, v6
	v_addc_co_u32_e32 v7, vcc, v12, v7, vcc
	global_load_dwordx2 v[12:13], v[6:7], off
	v_lshlrev_b64 v[6:7], 3, v[4:5]
	v_mov_b32_e32 v15, s19
	v_add_co_u32_e32 v6, vcc, s18, v6
	v_addc_co_u32_e32 v7, vcc, v15, v7, vcc
	global_load_dwordx2 v[15:16], v[6:7], off
	s_lshl_b64 s[0:1], s[26:27], 3
	s_add_u32 s18, s16, s0
	s_addc_u32 s19, s17, s1
	s_waitcnt vmcnt(1)
	v_subrev_co_u32_e32 v12, vcc, s30, v12
	v_subbrev_co_u32_e32 v13, vcc, 0, v13, vcc
	v_cmp_lt_i64_e32 vcc, v[4:5], v[12:13]
	v_cndmask_b32_e32 v11, v11, v9, vcc
	v_cndmask_b32_e32 v10, v10, v8, vcc
	s_waitcnt vmcnt(0)
	v_subrev_co_u32_e32 v8, vcc, s30, v15
	v_subbrev_co_u32_e32 v9, vcc, 0, v16, vcc
	v_cmp_ne_u64_e32 vcc, v[8:9], v[10:11]
	s_and_saveexec_b64 s[38:39], vcc
	s_cbranch_execz .LBB80_80
; %bb.73:
	s_load_dwordx2 s[0:1], s[18:19], 0x0
	s_waitcnt lgkmcnt(0)
	s_sub_u32 s0, s0, s30
	s_subb_u32 s1, s1, 0
	v_cmp_gt_i64_e32 vcc, s[0:1], v[4:5]
	s_and_b64 exec, exec, vcc
	s_cbranch_execz .LBB80_80
; %bb.74:
	v_cmp_gt_i64_e32 vcc, s[8:9], v[8:9]
	v_cmp_le_i64_e64 s[0:1], s[26:27], v[8:9]
	v_lshlrev_b64 v[10:11], 1, v[10:11]
	s_or_b64 s[0:1], vcc, s[0:1]
	s_and_saveexec_b64 s[40:41], s[0:1]
	s_xor_b64 s[0:1], exec, s[40:41]
	s_cbranch_execz .LBB80_78
; %bb.75:
	v_lshlrev_b64 v[8:9], 2, v[8:9]
	v_mov_b32_e32 v13, s23
	v_add_co_u32_e32 v10, vcc, s22, v10
	v_addc_co_u32_e32 v11, vcc, v13, v11, vcc
	v_mov_b32_e32 v12, s15
	global_load_ushort v10, v[10:11], off
	v_add_co_u32_e32 v8, vcc, s14, v8
	v_addc_co_u32_e32 v9, vcc, v12, v9, vcc
	global_load_dword v11, v[8:9], off
	ds_read_b32 v12, v14
	s_mov_b64 s[40:41], 0
	s_waitcnt vmcnt(1)
	v_lshlrev_b32_e32 v10, 16, v10
	s_waitcnt lgkmcnt(0)
	v_mul_f32_e32 v12, v12, v10
.LBB80_76:                              ; =>This Inner Loop Header: Depth=1
	s_waitcnt vmcnt(0)
	v_add_f32_e32 v10, v11, v12
	global_atomic_cmpswap v10, v[8:9], v[10:11], off glc
	s_waitcnt vmcnt(0)
	v_cmp_eq_u32_e32 vcc, v10, v11
	s_or_b64 s[40:41], vcc, s[40:41]
	v_mov_b32_e32 v11, v10
	s_andn2_b64 exec, exec, s[40:41]
	s_cbranch_execnz .LBB80_76
; %bb.77:
	s_or_b64 exec, exec, s[40:41]
                                        ; implicit-def: $vgpr8
                                        ; implicit-def: $vgpr10_vgpr11
.LBB80_78:
	s_andn2_saveexec_b64 s[0:1], s[0:1]
	s_cbranch_execz .LBB80_80
; %bb.79:
	v_mov_b32_e32 v12, s23
	v_add_co_u32_e32 v9, vcc, s22, v10
	v_addc_co_u32_e32 v10, vcc, v12, v11, vcc
	global_load_ushort v9, v[9:10], off
	ds_read_b32 v10, v14
	v_subrev_u32_e32 v8, s8, v8
	v_mov_b32_e32 v11, 0x1000
	v_lshl_add_u32 v8, v8, 2, v11
	s_waitcnt vmcnt(0)
	v_lshlrev_b32_e32 v9, 16, v9
	s_waitcnt lgkmcnt(0)
	v_mul_f32_e32 v9, v10, v9
	ds_add_f32 v8, v9
.LBB80_80:
	s_or_b64 exec, exec, s[38:39]
	v_add_co_u32_e32 v8, vcc, 0x100, v4
	v_cndmask_b32_e64 v10, 0, 1, s[2:3]
	v_addc_co_u32_e32 v9, vcc, 0, v5, vcc
	v_cmp_ne_u32_e64 s[0:1], 1, v10
	v_mov_b32_e32 v10, s24
	v_mov_b32_e32 v12, s20
	s_andn2_b64 vcc, exec, s[2:3]
	v_mov_b32_e32 v11, s25
	v_mov_b32_e32 v13, s21
	s_cbranch_vccnz .LBB80_84
; %bb.81:
	v_mov_b32_e32 v10, s24
	v_mov_b32_e32 v12, s20
	s_mov_b64 s[38:39], 0
	v_mov_b32_e32 v11, s25
	v_mov_b32_e32 v13, s21
	;; [unrolled: 1-line block ×3, first 2 shown]
.LBB80_82:                              ; =>This Inner Loop Header: Depth=1
	v_add_co_u32_e32 v16, vcc, v12, v10
	v_addc_co_u32_e32 v17, vcc, v13, v11, vcc
	v_lshrrev_b32_e32 v18, 31, v17
	v_add_co_u32_e32 v16, vcc, v16, v18
	v_addc_co_u32_e32 v17, vcc, 0, v17, vcc
	v_ashrrev_i64 v[16:17], 1, v[16:17]
	v_lshlrev_b64 v[18:19], 3, v[16:17]
	v_add_co_u32_e32 v18, vcc, s16, v18
	v_addc_co_u32_e32 v19, vcc, v15, v19, vcc
	global_load_dwordx2 v[18:19], v[18:19], off
	s_waitcnt vmcnt(0)
	v_subrev_co_u32_e32 v18, vcc, s30, v18
	v_subbrev_co_u32_e32 v19, vcc, 0, v19, vcc
	v_cmp_lt_i64_e32 vcc, v[8:9], v[18:19]
	v_cndmask_b32_e32 v12, v12, v16, vcc
	v_cndmask_b32_e32 v13, v13, v17, vcc
	;; [unrolled: 1-line block ×3, first 2 shown]
	v_add_co_u32_e64 v16, s[2:3], -1, v12
	v_cndmask_b32_e32 v11, v17, v11, vcc
	v_addc_co_u32_e64 v17, s[2:3], -1, v13, s[2:3]
	v_cmp_ge_i64_e32 vcc, v[10:11], v[12:13]
	v_cmp_eq_u64_e64 s[2:3], v[10:11], v[16:17]
	s_or_b64 s[2:3], vcc, s[2:3]
	s_and_b64 s[2:3], exec, s[2:3]
	s_or_b64 s[38:39], s[2:3], s[38:39]
	s_andn2_b64 exec, exec, s[38:39]
	s_cbranch_execnz .LBB80_82
; %bb.83:
	s_or_b64 exec, exec, s[38:39]
.LBB80_84:
	v_lshlrev_b64 v[15:16], 3, v[12:13]
	v_mov_b32_e32 v17, s17
	v_add_co_u32_e32 v15, vcc, s16, v15
	v_addc_co_u32_e32 v16, vcc, v17, v16, vcc
	global_load_dwordx2 v[17:18], v[15:16], off
	global_load_dwordx2 v[19:20], v[6:7], off offset:2048
	s_waitcnt vmcnt(1)
	v_subrev_co_u32_e32 v15, vcc, s30, v17
	v_subbrev_co_u32_e32 v16, vcc, 0, v18, vcc
	v_cmp_lt_i64_e32 vcc, v[8:9], v[15:16]
	v_cndmask_b32_e32 v13, v13, v11, vcc
	v_cndmask_b32_e32 v12, v12, v10, vcc
	s_waitcnt vmcnt(0)
	v_subrev_co_u32_e32 v10, vcc, s30, v19
	v_subbrev_co_u32_e32 v11, vcc, 0, v20, vcc
	v_cmp_ne_u64_e32 vcc, v[10:11], v[12:13]
	s_and_saveexec_b64 s[38:39], vcc
	s_cbranch_execz .LBB80_92
; %bb.85:
	s_load_dwordx2 s[2:3], s[18:19], 0x0
	s_waitcnt lgkmcnt(0)
	s_sub_u32 s2, s2, s30
	s_subb_u32 s3, s3, 0
	v_cmp_gt_i64_e32 vcc, s[2:3], v[8:9]
	s_and_b64 exec, exec, vcc
	s_cbranch_execz .LBB80_92
; %bb.86:
	v_cmp_gt_i64_e32 vcc, s[8:9], v[10:11]
	v_cmp_le_i64_e64 s[2:3], s[26:27], v[10:11]
	v_lshlrev_b64 v[8:9], 1, v[12:13]
	s_or_b64 s[2:3], vcc, s[2:3]
	s_and_saveexec_b64 s[40:41], s[2:3]
	s_xor_b64 s[2:3], exec, s[40:41]
	s_cbranch_execz .LBB80_90
; %bb.87:
	v_lshlrev_b64 v[10:11], 2, v[10:11]
	v_mov_b32_e32 v13, s23
	v_add_co_u32_e32 v8, vcc, s22, v8
	v_addc_co_u32_e32 v9, vcc, v13, v9, vcc
	v_mov_b32_e32 v12, s15
	global_load_ushort v13, v[8:9], off
	v_add_co_u32_e32 v8, vcc, s14, v10
	v_addc_co_u32_e32 v9, vcc, v12, v11, vcc
	global_load_dword v11, v[8:9], off
	ds_read_b32 v10, v14 offset:1024
	s_mov_b64 s[40:41], 0
	s_waitcnt vmcnt(1)
	v_lshlrev_b32_e32 v12, 16, v13
	s_waitcnt lgkmcnt(0)
	v_mul_f32_e32 v12, v10, v12
.LBB80_88:                              ; =>This Inner Loop Header: Depth=1
	s_waitcnt vmcnt(0)
	v_add_f32_e32 v10, v11, v12
	global_atomic_cmpswap v10, v[8:9], v[10:11], off glc
	s_waitcnt vmcnt(0)
	v_cmp_eq_u32_e32 vcc, v10, v11
	s_or_b64 s[40:41], vcc, s[40:41]
	v_mov_b32_e32 v11, v10
	s_andn2_b64 exec, exec, s[40:41]
	s_cbranch_execnz .LBB80_88
; %bb.89:
	s_or_b64 exec, exec, s[40:41]
                                        ; implicit-def: $vgpr10
                                        ; implicit-def: $vgpr8_vgpr9
.LBB80_90:
	s_andn2_saveexec_b64 s[2:3], s[2:3]
	s_cbranch_execz .LBB80_92
; %bb.91:
	v_mov_b32_e32 v11, s23
	v_add_co_u32_e32 v8, vcc, s22, v8
	v_addc_co_u32_e32 v9, vcc, v11, v9, vcc
	global_load_ushort v8, v[8:9], off
	ds_read_b32 v9, v14 offset:1024
	v_subrev_u32_e32 v10, s8, v10
	v_mov_b32_e32 v11, 0x1000
	v_lshl_add_u32 v10, v10, 2, v11
	s_waitcnt vmcnt(0)
	v_lshlrev_b32_e32 v8, 16, v8
	s_waitcnt lgkmcnt(0)
	v_mul_f32_e32 v8, v9, v8
	ds_add_f32 v10, v8
.LBB80_92:
	s_or_b64 exec, exec, s[38:39]
	v_add_co_u32_e32 v4, vcc, 0x200, v4
	v_addc_co_u32_e32 v5, vcc, 0, v5, vcc
	v_mov_b32_e32 v8, s24
	v_mov_b32_e32 v10, s20
	s_and_b64 vcc, exec, s[0:1]
	v_mov_b32_e32 v9, s25
	v_mov_b32_e32 v11, s21
	s_cbranch_vccnz .LBB80_96
; %bb.93:
	v_mov_b32_e32 v8, s24
	v_mov_b32_e32 v10, s20
	s_mov_b64 s[38:39], 0
	v_mov_b32_e32 v9, s25
	v_mov_b32_e32 v11, s21
	;; [unrolled: 1-line block ×3, first 2 shown]
.LBB80_94:                              ; =>This Inner Loop Header: Depth=1
	v_add_co_u32_e32 v13, vcc, v10, v8
	v_addc_co_u32_e32 v16, vcc, v11, v9, vcc
	v_lshrrev_b32_e32 v15, 31, v16
	v_add_co_u32_e32 v15, vcc, v13, v15
	v_addc_co_u32_e32 v16, vcc, 0, v16, vcc
	v_ashrrev_i64 v[15:16], 1, v[15:16]
	v_lshlrev_b64 v[17:18], 3, v[15:16]
	v_add_co_u32_e32 v17, vcc, s16, v17
	v_addc_co_u32_e32 v18, vcc, v12, v18, vcc
	global_load_dwordx2 v[17:18], v[17:18], off
	s_waitcnt vmcnt(0)
	v_subrev_co_u32_e32 v17, vcc, s30, v17
	v_subbrev_co_u32_e32 v18, vcc, 0, v18, vcc
	v_cmp_lt_i64_e32 vcc, v[4:5], v[17:18]
	v_cndmask_b32_e32 v10, v10, v15, vcc
	v_cndmask_b32_e32 v11, v11, v16, vcc
	;; [unrolled: 1-line block ×3, first 2 shown]
	v_add_co_u32_e64 v15, s[2:3], -1, v10
	v_cndmask_b32_e32 v9, v16, v9, vcc
	v_addc_co_u32_e64 v16, s[2:3], -1, v11, s[2:3]
	v_cmp_ge_i64_e32 vcc, v[8:9], v[10:11]
	v_cmp_eq_u64_e64 s[2:3], v[8:9], v[15:16]
	s_or_b64 s[2:3], vcc, s[2:3]
	s_and_b64 s[2:3], exec, s[2:3]
	s_or_b64 s[38:39], s[2:3], s[38:39]
	s_andn2_b64 exec, exec, s[38:39]
	s_cbranch_execnz .LBB80_94
; %bb.95:
	s_or_b64 exec, exec, s[38:39]
.LBB80_96:
	v_lshlrev_b64 v[12:13], 3, v[10:11]
	v_mov_b32_e32 v15, s17
	v_add_co_u32_e32 v12, vcc, s16, v12
	v_addc_co_u32_e32 v13, vcc, v15, v13, vcc
	global_load_dwordx2 v[12:13], v[12:13], off
	v_add_co_u32_e32 v15, vcc, 0x1000, v6
	v_addc_co_u32_e32 v16, vcc, 0, v7, vcc
	global_load_dwordx2 v[15:16], v[15:16], off
	s_waitcnt vmcnt(1)
	v_subrev_co_u32_e32 v12, vcc, s30, v12
	v_subbrev_co_u32_e32 v13, vcc, 0, v13, vcc
	v_cmp_lt_i64_e32 vcc, v[4:5], v[12:13]
	v_cndmask_b32_e32 v11, v11, v9, vcc
	v_cndmask_b32_e32 v10, v10, v8, vcc
	s_waitcnt vmcnt(0)
	v_subrev_co_u32_e32 v8, vcc, s30, v15
	v_subbrev_co_u32_e32 v9, vcc, 0, v16, vcc
	v_cmp_ne_u64_e32 vcc, v[8:9], v[10:11]
	s_and_saveexec_b64 s[38:39], vcc
	s_cbranch_execz .LBB80_104
; %bb.97:
	s_load_dwordx2 s[2:3], s[18:19], 0x0
	s_waitcnt lgkmcnt(0)
	s_sub_u32 s2, s2, s30
	s_subb_u32 s3, s3, 0
	v_cmp_gt_i64_e32 vcc, s[2:3], v[4:5]
	s_and_b64 exec, exec, vcc
	s_cbranch_execz .LBB80_104
; %bb.98:
	v_cmp_gt_i64_e32 vcc, s[8:9], v[8:9]
	v_cmp_le_i64_e64 s[2:3], s[26:27], v[8:9]
	v_lshlrev_b64 v[4:5], 1, v[10:11]
	s_or_b64 s[2:3], vcc, s[2:3]
	s_and_saveexec_b64 s[40:41], s[2:3]
	s_xor_b64 s[2:3], exec, s[40:41]
	s_cbranch_execz .LBB80_102
; %bb.99:
	v_lshlrev_b64 v[8:9], 2, v[8:9]
	v_mov_b32_e32 v11, s23
	v_add_co_u32_e32 v4, vcc, s22, v4
	v_addc_co_u32_e32 v5, vcc, v11, v5, vcc
	v_mov_b32_e32 v10, s15
	global_load_ushort v11, v[4:5], off
	v_add_co_u32_e32 v4, vcc, s14, v8
	v_addc_co_u32_e32 v5, vcc, v10, v9, vcc
	global_load_dword v9, v[4:5], off
	ds_read_b32 v8, v14 offset:2048
	s_mov_b64 s[40:41], 0
	s_waitcnt vmcnt(1)
	v_lshlrev_b32_e32 v10, 16, v11
	s_waitcnt lgkmcnt(0)
	v_mul_f32_e32 v10, v8, v10
.LBB80_100:                             ; =>This Inner Loop Header: Depth=1
	s_waitcnt vmcnt(0)
	v_add_f32_e32 v8, v9, v10
	global_atomic_cmpswap v8, v[4:5], v[8:9], off glc
	s_waitcnt vmcnt(0)
	v_cmp_eq_u32_e32 vcc, v8, v9
	s_or_b64 s[40:41], vcc, s[40:41]
	v_mov_b32_e32 v9, v8
	s_andn2_b64 exec, exec, s[40:41]
	s_cbranch_execnz .LBB80_100
; %bb.101:
	s_or_b64 exec, exec, s[40:41]
                                        ; implicit-def: $vgpr8
                                        ; implicit-def: $vgpr4_vgpr5
.LBB80_102:
	s_andn2_saveexec_b64 s[2:3], s[2:3]
	s_cbranch_execz .LBB80_104
; %bb.103:
	v_mov_b32_e32 v9, s23
	v_add_co_u32_e32 v4, vcc, s22, v4
	v_addc_co_u32_e32 v5, vcc, v9, v5, vcc
	global_load_ushort v4, v[4:5], off
	ds_read_b32 v5, v14 offset:2048
	v_subrev_u32_e32 v8, s8, v8
	v_mov_b32_e32 v9, 0x1000
	v_lshl_add_u32 v8, v8, 2, v9
	s_waitcnt vmcnt(0)
	v_lshlrev_b32_e32 v4, 16, v4
	s_waitcnt lgkmcnt(0)
	v_mul_f32_e32 v4, v5, v4
	ds_add_f32 v8, v4
.LBB80_104:
	s_or_b64 exec, exec, s[38:39]
	v_mov_b32_e32 v4, s24
	v_mov_b32_e32 v8, s20
	s_and_b64 vcc, exec, s[0:1]
	v_mov_b32_e32 v5, s25
	v_mov_b32_e32 v9, s21
	s_cbranch_vccnz .LBB80_108
; %bb.105:
	v_mov_b32_e32 v4, s24
	v_mov_b32_e32 v8, s20
	s_mov_b64 s[2:3], 0
	v_mov_b32_e32 v5, s25
	v_mov_b32_e32 v9, s21
	;; [unrolled: 1-line block ×3, first 2 shown]
.LBB80_106:                             ; =>This Inner Loop Header: Depth=1
	v_add_co_u32_e32 v11, vcc, v8, v4
	v_addc_co_u32_e32 v12, vcc, v9, v5, vcc
	v_lshrrev_b32_e32 v13, 31, v12
	v_add_co_u32_e32 v11, vcc, v11, v13
	v_addc_co_u32_e32 v12, vcc, 0, v12, vcc
	v_ashrrev_i64 v[11:12], 1, v[11:12]
	v_lshlrev_b64 v[15:16], 3, v[11:12]
	v_add_co_u32_e32 v15, vcc, s16, v15
	v_addc_co_u32_e32 v16, vcc, v10, v16, vcc
	global_load_dwordx2 v[15:16], v[15:16], off
	s_waitcnt vmcnt(0)
	v_subrev_co_u32_e32 v15, vcc, s30, v15
	v_subbrev_co_u32_e32 v16, vcc, 0, v16, vcc
	v_cmp_lt_i64_e32 vcc, v[2:3], v[15:16]
	v_cndmask_b32_e32 v8, v8, v11, vcc
	v_cndmask_b32_e32 v9, v9, v12, vcc
	;; [unrolled: 1-line block ×3, first 2 shown]
	v_add_co_u32_e64 v11, s[0:1], -1, v8
	v_cndmask_b32_e32 v5, v12, v5, vcc
	v_addc_co_u32_e64 v12, s[0:1], -1, v9, s[0:1]
	v_cmp_ge_i64_e32 vcc, v[4:5], v[8:9]
	v_cmp_eq_u64_e64 s[0:1], v[4:5], v[11:12]
	s_or_b64 s[0:1], vcc, s[0:1]
	s_and_b64 s[0:1], exec, s[0:1]
	s_or_b64 s[2:3], s[0:1], s[2:3]
	s_andn2_b64 exec, exec, s[2:3]
	s_cbranch_execnz .LBB80_106
; %bb.107:
	s_or_b64 exec, exec, s[2:3]
.LBB80_108:
	v_lshlrev_b64 v[10:11], 3, v[8:9]
	v_mov_b32_e32 v12, s17
	v_add_co_u32_e32 v10, vcc, s16, v10
	v_addc_co_u32_e32 v11, vcc, v12, v11, vcc
	global_load_dwordx2 v[10:11], v[10:11], off
	v_add_co_u32_e32 v6, vcc, 0x1000, v6
	v_addc_co_u32_e32 v7, vcc, 0, v7, vcc
	global_load_dwordx2 v[12:13], v[6:7], off offset:2048
	s_waitcnt vmcnt(1)
	v_subrev_co_u32_e32 v6, vcc, s30, v10
	v_subbrev_co_u32_e32 v7, vcc, 0, v11, vcc
	v_cmp_lt_i64_e32 vcc, v[2:3], v[6:7]
	v_cndmask_b32_e32 v7, v9, v5, vcc
	v_cndmask_b32_e32 v6, v8, v4, vcc
	s_waitcnt vmcnt(0)
	v_subrev_co_u32_e32 v4, vcc, s30, v12
	v_subbrev_co_u32_e32 v5, vcc, 0, v13, vcc
	v_cmp_ne_u64_e32 vcc, v[4:5], v[6:7]
	s_and_saveexec_b64 s[2:3], vcc
	s_cbranch_execz .LBB80_116
; %bb.109:
	s_load_dwordx2 s[0:1], s[18:19], 0x0
	s_waitcnt lgkmcnt(0)
	s_sub_u32 s0, s0, s30
	s_subb_u32 s1, s1, 0
	v_cmp_gt_i64_e32 vcc, s[0:1], v[2:3]
	s_and_b64 exec, exec, vcc
	s_cbranch_execz .LBB80_116
; %bb.110:
	v_cmp_gt_i64_e32 vcc, s[8:9], v[4:5]
	v_cmp_le_i64_e64 s[0:1], s[26:27], v[4:5]
	v_lshlrev_b64 v[2:3], 1, v[6:7]
	s_or_b64 s[0:1], vcc, s[0:1]
	s_and_saveexec_b64 s[18:19], s[0:1]
	s_xor_b64 s[0:1], exec, s[18:19]
	s_cbranch_execz .LBB80_114
; %bb.111:
	v_lshlrev_b64 v[4:5], 2, v[4:5]
	v_mov_b32_e32 v7, s23
	v_add_co_u32_e32 v2, vcc, s22, v2
	v_addc_co_u32_e32 v3, vcc, v7, v3, vcc
	v_mov_b32_e32 v6, s15
	global_load_ushort v7, v[2:3], off
	v_add_co_u32_e32 v2, vcc, s14, v4
	v_addc_co_u32_e32 v3, vcc, v6, v5, vcc
	global_load_dword v5, v[2:3], off
	ds_read_b32 v4, v14 offset:3072
	s_mov_b64 s[18:19], 0
	s_waitcnt vmcnt(1)
	v_lshlrev_b32_e32 v6, 16, v7
	s_waitcnt lgkmcnt(0)
	v_mul_f32_e32 v6, v4, v6
.LBB80_112:                             ; =>This Inner Loop Header: Depth=1
	s_waitcnt vmcnt(0)
	v_add_f32_e32 v4, v5, v6
	global_atomic_cmpswap v4, v[2:3], v[4:5], off glc
	s_waitcnt vmcnt(0)
	v_cmp_eq_u32_e32 vcc, v4, v5
	s_or_b64 s[18:19], vcc, s[18:19]
	v_mov_b32_e32 v5, v4
	s_andn2_b64 exec, exec, s[18:19]
	s_cbranch_execnz .LBB80_112
; %bb.113:
	s_or_b64 exec, exec, s[18:19]
                                        ; implicit-def: $vgpr4
                                        ; implicit-def: $vgpr2_vgpr3
.LBB80_114:
	s_andn2_saveexec_b64 s[0:1], s[0:1]
	s_cbranch_execz .LBB80_116
; %bb.115:
	v_mov_b32_e32 v5, s23
	v_add_co_u32_e32 v2, vcc, s22, v2
	v_addc_co_u32_e32 v3, vcc, v5, v3, vcc
	global_load_ushort v2, v[2:3], off
	ds_read_b32 v3, v14 offset:3072
	v_subrev_u32_e32 v4, s8, v4
	v_mov_b32_e32 v5, 0x1000
	v_lshl_add_u32 v4, v4, 2, v5
	s_waitcnt vmcnt(0)
	v_lshlrev_b32_e32 v2, 16, v2
	s_waitcnt lgkmcnt(0)
	v_mul_f32_e32 v2, v3, v2
	ds_add_f32 v4, v2
.LBB80_116:
	s_or_b64 exec, exec, s[2:3]
.LBB80_117:
	s_or_b64 exec, exec, s[4:5]
	v_mov_b32_e32 v2, s10
	v_mov_b32_e32 v3, s11
	v_cmp_lt_i64_e32 vcc, s[26:27], v[2:3]
	s_waitcnt lgkmcnt(0)
	s_and_b64 s[0:1], vcc, exec
	s_cselect_b32 s10, s26, s10
	s_cselect_b32 s0, s27, s11
	s_sub_u32 s2, s10, s28
	s_subb_u32 s3, s0, s29
	v_cmp_gt_i64_e32 vcc, s[2:3], v[0:1]
	s_barrier
	s_and_saveexec_b64 s[0:1], vcc
	s_cbranch_execz .LBB80_122
; %bb.118:
	s_lshl_b64 s[4:5], s[8:9], 2
	s_add_u32 s11, s14, s4
	s_addc_u32 s8, s15, s5
	v_mov_b32_e32 v3, v1
	s_mov_b64 s[4:5], 0
	v_mov_b32_e32 v8, s8
	v_mov_b32_e32 v9, 0x1000
	;; [unrolled: 1-line block ×3, first 2 shown]
.LBB80_119:                             ; =>This Loop Header: Depth=1
                                        ;     Child Loop BB80_120 Depth 2
	v_lshlrev_b64 v[4:5], 2, v[2:3]
	v_lshl_add_u32 v6, v2, 2, v9
	v_add_co_u32_e32 v4, vcc, s11, v4
	v_addc_co_u32_e32 v5, vcc, v8, v5, vcc
	global_load_dword v7, v[4:5], off
	ds_read_b32 v10, v6
	s_mov_b64 s[8:9], 0
.LBB80_120:                             ;   Parent Loop BB80_119 Depth=1
                                        ; =>  This Inner Loop Header: Depth=2
	s_waitcnt vmcnt(0) lgkmcnt(0)
	v_add_f32_e32 v6, v7, v10
	global_atomic_cmpswap v6, v[4:5], v[6:7], off glc
	s_waitcnt vmcnt(0)
	v_cmp_eq_u32_e32 vcc, v6, v7
	s_or_b64 s[8:9], vcc, s[8:9]
	v_mov_b32_e32 v7, v6
	s_andn2_b64 exec, exec, s[8:9]
	s_cbranch_execnz .LBB80_120
; %bb.121:                              ;   in Loop: Header=BB80_119 Depth=1
	s_or_b64 exec, exec, s[8:9]
	v_add_co_u32_e32 v2, vcc, 0x100, v2
	v_addc_co_u32_e32 v3, vcc, 0, v3, vcc
	v_cmp_le_i64_e32 vcc, s[2:3], v[2:3]
	s_or_b64 s[4:5], vcc, s[4:5]
	s_andn2_b64 exec, exec, s[4:5]
	s_cbranch_execnz .LBB80_119
.LBB80_122:
	s_or_b64 exec, exec, s[0:1]
	s_add_i32 s0, s36, -1
	s_ashr_i32 s1, s0, 1
	s_or_b32 s0, s1, s0
	s_ashr_i32 s1, s0, 2
	s_or_b32 s0, s1, s0
	;; [unrolled: 2-line block ×5, first 2 shown]
	s_add_i32 s0, s0, 1
	s_ashr_i32 s3, s0, 1
	v_mov_b32_e32 v2, s25
	v_add_co_u32_e32 v6, vcc, s24, v0
	v_addc_co_u32_e32 v7, vcc, 0, v2, vcc
	s_cmp_gt_i32 s3, 1
	s_mov_b64 s[0:1], -1
	s_barrier
	s_cbranch_scc1 .LBB80_133
; %bb.123:
	v_cmp_gt_i64_e32 vcc, s[26:27], v[6:7]
	s_and_saveexec_b64 s[0:1], vcc
	s_cbranch_execz .LBB80_132
; %bb.124:
	s_sub_i32 s4, s10, s26
	s_lshl_b32 s4, s4, 2
	s_add_i32 s13, s4, 0x1000
	s_lshl_b32 s4, s6, 2
	v_mov_b32_e32 v9, v7
	s_sub_i32 s18, 0, s4
	s_mov_b64 s[4:5], 0
	v_mov_b32_e32 v12, s17
	v_mov_b32_e32 v13, s15
	v_mov_b32_e32 v8, v6
.LBB80_125:                             ; =>This Loop Header: Depth=1
                                        ;     Child Loop BB80_127 Depth 2
                                        ;     Child Loop BB80_130 Depth 2
	v_lshlrev_b64 v[2:3], 3, v[8:9]
	v_mov_b32_e32 v15, 0
	v_add_co_u32_e32 v2, vcc, s16, v2
	v_addc_co_u32_e32 v3, vcc, v12, v3, vcc
	global_load_dwordx4 v[2:5], v[2:3], off
	s_waitcnt vmcnt(0)
	v_cmp_lt_i64_e32 vcc, v[2:3], v[4:5]
	s_and_saveexec_b64 s[8:9], vcc
	s_cbranch_execz .LBB80_129
; %bb.126:                              ;   in Loop: Header=BB80_125 Depth=1
	v_mov_b32_e32 v10, s7
	v_subrev_co_u32_e32 v4, vcc, s6, v4
	v_subb_co_u32_e32 v5, vcc, v5, v10, vcc
	v_mov_b32_e32 v11, s7
	v_subrev_co_u32_e32 v10, vcc, s6, v2
	v_subb_co_u32_e32 v11, vcc, v3, v11, vcc
	v_lshl_add_u32 v2, v2, 2, s18
	v_mov_b32_e32 v15, 0
	s_mov_b64 s[10:11], 0
.LBB80_127:                             ;   Parent Loop BB80_125 Depth=1
                                        ; =>  This Inner Loop Header: Depth=2
	ds_read_b32 v3, v2
	v_add_co_u32_e32 v10, vcc, 1, v10
	v_addc_co_u32_e32 v11, vcc, 0, v11, vcc
	v_cmp_ge_i64_e32 vcc, v[10:11], v[4:5]
	v_add_u32_e32 v2, 4, v2
	s_or_b64 s[10:11], vcc, s[10:11]
	s_waitcnt lgkmcnt(0)
	v_add_f32_e32 v15, v15, v3
	s_andn2_b64 exec, exec, s[10:11]
	s_cbranch_execnz .LBB80_127
; %bb.128:                              ;   in Loop: Header=BB80_125 Depth=1
	s_or_b64 exec, exec, s[10:11]
.LBB80_129:                             ;   in Loop: Header=BB80_125 Depth=1
	s_or_b64 exec, exec, s[8:9]
	v_lshlrev_b64 v[2:3], 2, v[8:9]
	v_lshl_add_u32 v4, v8, 2, s13
	v_add_co_u32_e32 v2, vcc, s14, v2
	v_addc_co_u32_e32 v3, vcc, v13, v3, vcc
	global_load_dword v5, v[2:3], off
	ds_read_b32 v4, v4
	s_mov_b64 s[8:9], 0
	s_waitcnt lgkmcnt(0)
	v_add_f32_e32 v10, v15, v4
.LBB80_130:                             ;   Parent Loop BB80_125 Depth=1
                                        ; =>  This Inner Loop Header: Depth=2
	s_waitcnt vmcnt(0)
	v_add_f32_e32 v4, v5, v10
	global_atomic_cmpswap v4, v[2:3], v[4:5], off glc
	s_waitcnt vmcnt(0)
	v_cmp_eq_u32_e32 vcc, v4, v5
	s_or_b64 s[8:9], vcc, s[8:9]
	v_mov_b32_e32 v5, v4
	s_andn2_b64 exec, exec, s[8:9]
	s_cbranch_execnz .LBB80_130
; %bb.131:                              ;   in Loop: Header=BB80_125 Depth=1
	s_or_b64 exec, exec, s[8:9]
	v_add_co_u32_e32 v8, vcc, s12, v8
	v_addc_co_u32_e32 v9, vcc, 0, v9, vcc
	v_cmp_le_i64_e32 vcc, s[26:27], v[8:9]
	s_or_b64 s[4:5], vcc, s[4:5]
	s_andn2_b64 exec, exec, s[4:5]
	s_cbranch_execnz .LBB80_125
.LBB80_132:
	s_or_b64 exec, exec, s[0:1]
	s_mov_b64 s[0:1], 0
.LBB80_133:
	s_andn2_b64 vcc, exec, s[0:1]
	s_cbranch_vccnz .LBB80_151
; %bb.134:
	v_cvt_f32_u32_e32 v2, s3
	s_sub_i32 s8, 0, s3
	v_mov_b32_e32 v5, 0
	v_mov_b32_e32 v8, s35
	v_rcp_iflag_f32_e32 v2, v2
	v_mov_b32_e32 v13, s7
	v_mul_f32_e32 v2, 0x4f7ffffe, v2
	v_cvt_u32_f32_e32 v2, v2
	v_mul_lo_u32 v3, s8, v2
	v_mul_hi_u32 v3, v2, v3
	v_add_u32_e32 v2, v2, v3
	v_mul_hi_u32 v2, v0, v2
	v_mul_lo_u32 v3, v2, s3
	v_add_u32_e32 v4, 1, v2
	v_sub_u32_e32 v3, v0, v3
	v_cmp_le_u32_e32 vcc, s3, v3
	v_cndmask_b32_e32 v2, v2, v4, vcc
	v_subrev_u32_e32 v4, s3, v3
	v_cndmask_b32_e32 v3, v3, v4, vcc
	v_add_u32_e32 v4, 1, v2
	v_cmp_le_u32_e32 vcc, s3, v3
	v_cndmask_b32_e32 v4, v2, v4, vcc
	v_lshlrev_b64 v[2:3], 3, v[4:5]
	v_add_co_u32_e32 v2, vcc, s34, v2
	v_addc_co_u32_e32 v3, vcc, v8, v3, vcc
	global_load_dwordx4 v[8:11], v[2:3], off
	v_mov_b32_e32 v3, s7
	s_waitcnt vmcnt(0)
	v_subrev_co_u32_e32 v2, vcc, s6, v8
	v_subb_co_u32_e32 v3, vcc, v9, v3, vcc
	v_subrev_co_u32_e32 v12, vcc, s6, v10
	v_subb_co_u32_e32 v13, vcc, v11, v13, vcc
	v_sub_co_u32_e32 v11, vcc, v12, v2
	v_subb_co_u32_e32 v10, vcc, v13, v3, vcc
	v_mov_b32_e32 v9, v5
	v_cmp_ne_u64_e32 vcc, 0, v[9:10]
                                        ; implicit-def: $vgpr8_vgpr9
	s_and_saveexec_b64 s[0:1], vcc
	s_xor_b64 s[4:5], exec, s[0:1]
	s_cbranch_execz .LBB80_136
; %bb.135:
	s_add_u32 s0, s3, 0
	s_addc_u32 s1, 0, 0
	s_xor_b64 s[6:7], s[0:1], 0
	v_cvt_f32_u32_e32 v8, s6
	v_cvt_f32_u32_e32 v9, s7
	s_sub_u32 s9, 0, s6
	s_subb_u32 s10, 0, s7
	v_ashrrev_i32_e32 v15, 31, v10
	v_madmk_f32 v8, v9, 0x4f800000, v8
	v_rcp_f32_e32 v8, v8
	v_mul_f32_e32 v8, 0x5f7ffffc, v8
	v_mul_f32_e32 v9, 0x2f800000, v8
	v_trunc_f32_e32 v9, v9
	v_madmk_f32 v8, v9, 0xcf800000, v8
	v_cvt_u32_f32_e32 v9, v9
	v_cvt_u32_f32_e32 v8, v8
	v_readfirstlane_b32 s11, v9
	v_readfirstlane_b32 s0, v8
	s_mul_i32 s1, s9, s11
	s_mul_hi_u32 s13, s9, s0
	s_mul_i32 s12, s10, s0
	s_add_i32 s1, s13, s1
	s_mul_i32 s16, s9, s0
	s_add_i32 s1, s1, s12
	s_mul_i32 s13, s0, s1
	s_mul_hi_u32 s17, s0, s16
	s_mul_hi_u32 s12, s0, s1
	s_add_u32 s13, s17, s13
	s_addc_u32 s12, 0, s12
	s_mul_hi_u32 s18, s11, s16
	s_mul_i32 s16, s11, s16
	s_add_u32 s13, s13, s16
	s_mul_hi_u32 s17, s11, s1
	s_addc_u32 s12, s12, s18
	s_addc_u32 s13, s17, 0
	s_mul_i32 s1, s11, s1
	s_add_u32 s1, s12, s1
	s_addc_u32 s12, 0, s13
	s_add_u32 s13, s0, s1
	s_cselect_b64 s[0:1], -1, 0
	s_cmp_lg_u64 s[0:1], 0
	s_addc_u32 s11, s11, s12
	s_mul_i32 s0, s9, s11
	s_mul_hi_u32 s1, s9, s13
	s_add_i32 s0, s1, s0
	s_mul_i32 s10, s10, s13
	s_add_i32 s0, s0, s10
	s_mul_i32 s9, s9, s13
	s_mul_hi_u32 s10, s11, s9
	s_mul_i32 s12, s11, s9
	s_mul_i32 s17, s13, s0
	s_mul_hi_u32 s9, s13, s9
	s_mul_hi_u32 s16, s13, s0
	s_add_u32 s9, s9, s17
	s_addc_u32 s16, 0, s16
	s_add_u32 s9, s9, s12
	s_mul_hi_u32 s1, s11, s0
	s_addc_u32 s9, s16, s10
	s_addc_u32 s1, s1, 0
	s_mul_i32 s0, s11, s0
	s_add_u32 s0, s9, s0
	s_addc_u32 s9, 0, s1
	s_add_u32 s10, s13, s0
	s_cselect_b64 s[0:1], -1, 0
	s_cmp_lg_u64 s[0:1], 0
	v_add_co_u32_e32 v8, vcc, v11, v15
	s_addc_u32 s9, s11, s9
	v_xor_b32_e32 v16, v8, v15
	v_mad_u64_u32 v[8:9], s[0:1], v16, s9, 0
	v_mul_hi_u32 v11, v16, s10
	v_addc_co_u32_e32 v10, vcc, v10, v15, vcc
	v_xor_b32_e32 v17, v10, v15
	v_add_co_u32_e32 v18, vcc, v11, v8
	v_addc_co_u32_e32 v19, vcc, 0, v9, vcc
	v_mad_u64_u32 v[8:9], s[0:1], v17, s10, 0
	v_mad_u64_u32 v[10:11], s[0:1], v17, s9, 0
	v_add_co_u32_e32 v8, vcc, v18, v8
	v_addc_co_u32_e32 v8, vcc, v19, v9, vcc
	v_addc_co_u32_e32 v9, vcc, 0, v11, vcc
	v_add_co_u32_e32 v10, vcc, v8, v10
	v_addc_co_u32_e32 v11, vcc, 0, v9, vcc
	v_mul_lo_u32 v18, s7, v10
	v_mul_lo_u32 v19, s6, v11
	v_mad_u64_u32 v[8:9], s[0:1], s6, v10, 0
	v_add3_u32 v9, v9, v19, v18
	v_sub_u32_e32 v18, v17, v9
	v_mov_b32_e32 v19, s7
	v_sub_co_u32_e32 v8, vcc, v16, v8
	v_subb_co_u32_e64 v16, s[0:1], v18, v19, vcc
	v_subrev_co_u32_e64 v18, s[0:1], s6, v8
	v_subbrev_co_u32_e64 v16, s[0:1], 0, v16, s[0:1]
	v_cmp_le_u32_e64 s[0:1], s7, v16
	v_cndmask_b32_e64 v19, 0, -1, s[0:1]
	v_cmp_le_u32_e64 s[0:1], s6, v18
	v_cndmask_b32_e64 v18, 0, -1, s[0:1]
	v_cmp_eq_u32_e64 s[0:1], s7, v16
	v_cndmask_b32_e64 v16, v19, v18, s[0:1]
	v_add_co_u32_e64 v18, s[0:1], 2, v10
	v_subb_co_u32_e32 v9, vcc, v17, v9, vcc
	v_addc_co_u32_e64 v19, s[0:1], 0, v11, s[0:1]
	v_cmp_le_u32_e32 vcc, s7, v9
	v_add_co_u32_e64 v20, s[0:1], 1, v10
	v_cndmask_b32_e64 v17, 0, -1, vcc
	v_cmp_le_u32_e32 vcc, s6, v8
	v_addc_co_u32_e64 v21, s[0:1], 0, v11, s[0:1]
	v_cndmask_b32_e64 v8, 0, -1, vcc
	v_cmp_eq_u32_e32 vcc, s7, v9
	v_cmp_ne_u32_e64 s[0:1], 0, v16
	v_cndmask_b32_e32 v8, v17, v8, vcc
	v_cndmask_b32_e64 v16, v21, v19, s[0:1]
	v_cmp_ne_u32_e32 vcc, 0, v8
	v_cndmask_b32_e64 v9, v20, v18, s[0:1]
	v_cndmask_b32_e32 v8, v11, v16, vcc
	v_cndmask_b32_e32 v9, v10, v9, vcc
	v_xor_b32_e32 v10, v8, v15
	v_xor_b32_e32 v8, v9, v15
	v_sub_co_u32_e32 v8, vcc, v8, v15
	v_subb_co_u32_e32 v9, vcc, v10, v15, vcc
                                        ; implicit-def: $vgpr11
.LBB80_136:
	s_andn2_saveexec_b64 s[0:1], s[4:5]
	s_cbranch_execz .LBB80_138
; %bb.137:
	v_cvt_f32_u32_e32 v8, s3
	v_rcp_iflag_f32_e32 v8, v8
	v_mul_f32_e32 v8, 0x4f7ffffe, v8
	v_cvt_u32_f32_e32 v8, v8
	v_mul_lo_u32 v9, s8, v8
	v_mul_hi_u32 v9, v8, v9
	v_add_u32_e32 v8, v8, v9
	v_mul_hi_u32 v8, v11, v8
	v_mul_lo_u32 v9, v8, s3
	v_add_u32_e32 v10, 1, v8
	v_sub_u32_e32 v9, v11, v9
	v_subrev_u32_e32 v11, s3, v9
	v_cmp_le_u32_e32 vcc, s3, v9
	v_cndmask_b32_e32 v9, v9, v11, vcc
	v_cndmask_b32_e32 v8, v8, v10, vcc
	v_add_u32_e32 v10, 1, v8
	v_cmp_le_u32_e32 vcc, s3, v9
	v_cndmask_b32_e32 v8, v8, v10, vcc
	v_mov_b32_e32 v9, 0
.LBB80_138:
	s_or_b64 exec, exec, s[0:1]
	v_cmp_gt_i64_e32 vcc, s[28:29], v[4:5]
	v_mov_b32_e32 v15, 0
	s_and_saveexec_b64 s[0:1], vcc
	s_cbranch_execz .LBB80_146
; %bb.139:
	s_add_i32 s4, s3, -1
	v_and_b32_e32 v4, s4, v0
	v_cmp_lt_i64_e32 vcc, 0, v[8:9]
	s_mov_b64 s[4:5], 0
	v_mov_b32_e32 v15, 0
	v_lshlrev_b32_e32 v16, 2, v4
	s_and_saveexec_b64 s[6:7], vcc
	s_cbranch_execz .LBB80_143
; %bb.140:
	v_mov_b32_e32 v11, v9
	v_lshl_add_u32 v5, v2, 2, v16
	s_lshl_b32 s8, s3, 2
	v_mov_b32_e32 v15, 0
	v_mov_b32_e32 v10, v8
.LBB80_141:                             ; =>This Inner Loop Header: Depth=1
	ds_read_b32 v17, v5
	v_add_co_u32_e32 v10, vcc, -1, v10
	v_addc_co_u32_e32 v11, vcc, -1, v11, vcc
	v_cmp_eq_u64_e32 vcc, 0, v[10:11]
	v_add_u32_e32 v5, s8, v5
	s_or_b64 s[4:5], vcc, s[4:5]
	s_waitcnt lgkmcnt(0)
	v_add_f32_e32 v15, v15, v17
	s_andn2_b64 exec, exec, s[4:5]
	s_cbranch_execnz .LBB80_141
; %bb.142:
	s_or_b64 exec, exec, s[4:5]
.LBB80_143:
	s_or_b64 exec, exec, s[6:7]
	v_mad_u64_u32 v[2:3], s[4:5], v8, s3, v[2:3]
	v_mov_b32_e32 v5, 0
	v_mad_u64_u32 v[8:9], s[4:5], v9, s3, v[3:4]
	v_sub_co_u32_e32 v9, vcc, v12, v2
	v_subb_co_u32_e32 v10, vcc, v13, v8, vcc
	v_cmp_gt_i64_e32 vcc, v[9:10], v[4:5]
	s_and_saveexec_b64 s[4:5], vcc
	s_cbranch_execz .LBB80_145
; %bb.144:
	v_lshl_add_u32 v2, v2, 2, v16
	ds_read_b32 v2, v2
	s_waitcnt lgkmcnt(0)
	v_add_f32_e32 v15, v15, v2
.LBB80_145:
	s_or_b64 exec, exec, s[4:5]
.LBB80_146:
	s_or_b64 exec, exec, s[0:1]
	v_cmp_gt_i64_e32 vcc, s[28:29], v[0:1]
	s_barrier
	ds_write_b32 v14, v15
	s_waitcnt lgkmcnt(0)
	s_barrier
	s_and_saveexec_b64 s[0:1], vcc
	s_cbranch_execz .LBB80_151
; %bb.147:
	v_mul_lo_u32 v1, s3, v0
	v_mov_b32_e32 v3, 0
	v_lshlrev_b32_e32 v1, 2, v1
.LBB80_148:                             ; =>This Inner Loop Header: Depth=1
	ds_read_b32 v2, v1
	s_add_i32 s3, s3, -1
	v_add_u32_e32 v1, 4, v1
	s_cmp_eq_u32 s3, 0
	s_waitcnt lgkmcnt(0)
	v_add_f32_e32 v3, v3, v2
	s_cbranch_scc0 .LBB80_148
; %bb.149:
	v_lshlrev_b64 v[1:2], 2, v[6:7]
	v_mov_b32_e32 v4, s15
	v_add_co_u32_e32 v1, vcc, s14, v1
	v_addc_co_u32_e32 v2, vcc, v4, v2, vcc
	global_load_dword v4, v[1:2], off
	s_lshl_b32 s0, s2, 2
	s_addk_i32 s0, 0x1000
	v_lshl_add_u32 v0, v0, 2, s0
	ds_read_b32 v0, v0
	s_mov_b64 s[0:1], 0
	s_waitcnt lgkmcnt(0)
	v_add_f32_e32 v0, v3, v0
.LBB80_150:                             ; =>This Inner Loop Header: Depth=1
	s_waitcnt vmcnt(0)
	v_add_f32_e32 v3, v4, v0
	global_atomic_cmpswap v3, v[1:2], v[3:4], off glc
	s_waitcnt vmcnt(0)
	v_cmp_eq_u32_e32 vcc, v3, v4
	s_or_b64 s[0:1], vcc, s[0:1]
	v_mov_b32_e32 v4, v3
	s_andn2_b64 exec, exec, s[0:1]
	s_cbranch_execnz .LBB80_150
.LBB80_151:
	s_endpgm
	.section	.rodata,"a",@progbits
	.p2align	6, 0x0
	.amdhsa_kernel _ZN9rocsparseL27csrmvn_symm_adaptive_kernelIll18rocsparse_bfloat16S1_ffEEvbT_S2_PKS2_NS_24const_host_device_scalarIT4_EES4_PKT0_PKT1_PKT2_S7_PT3_21rocsparse_index_base_b
		.amdhsa_group_segment_fixed_size 4096
		.amdhsa_private_segment_fixed_size 0
		.amdhsa_kernarg_size 352
		.amdhsa_user_sgpr_count 6
		.amdhsa_user_sgpr_private_segment_buffer 1
		.amdhsa_user_sgpr_dispatch_ptr 0
		.amdhsa_user_sgpr_queue_ptr 0
		.amdhsa_user_sgpr_kernarg_segment_ptr 1
		.amdhsa_user_sgpr_dispatch_id 0
		.amdhsa_user_sgpr_flat_scratch_init 0
		.amdhsa_user_sgpr_private_segment_size 0
		.amdhsa_uses_dynamic_stack 0
		.amdhsa_system_sgpr_private_segment_wavefront_offset 0
		.amdhsa_system_sgpr_workgroup_id_x 1
		.amdhsa_system_sgpr_workgroup_id_y 0
		.amdhsa_system_sgpr_workgroup_id_z 0
		.amdhsa_system_sgpr_workgroup_info 0
		.amdhsa_system_vgpr_workitem_id 0
		.amdhsa_next_free_vgpr 22
		.amdhsa_next_free_sgpr 52
		.amdhsa_reserve_vcc 1
		.amdhsa_reserve_flat_scratch 0
		.amdhsa_float_round_mode_32 0
		.amdhsa_float_round_mode_16_64 0
		.amdhsa_float_denorm_mode_32 3
		.amdhsa_float_denorm_mode_16_64 3
		.amdhsa_dx10_clamp 1
		.amdhsa_ieee_mode 1
		.amdhsa_fp16_overflow 0
		.amdhsa_exception_fp_ieee_invalid_op 0
		.amdhsa_exception_fp_denorm_src 0
		.amdhsa_exception_fp_ieee_div_zero 0
		.amdhsa_exception_fp_ieee_overflow 0
		.amdhsa_exception_fp_ieee_underflow 0
		.amdhsa_exception_fp_ieee_inexact 0
		.amdhsa_exception_int_div_zero 0
	.end_amdhsa_kernel
	.section	.text._ZN9rocsparseL27csrmvn_symm_adaptive_kernelIll18rocsparse_bfloat16S1_ffEEvbT_S2_PKS2_NS_24const_host_device_scalarIT4_EES4_PKT0_PKT1_PKT2_S7_PT3_21rocsparse_index_base_b,"axG",@progbits,_ZN9rocsparseL27csrmvn_symm_adaptive_kernelIll18rocsparse_bfloat16S1_ffEEvbT_S2_PKS2_NS_24const_host_device_scalarIT4_EES4_PKT0_PKT1_PKT2_S7_PT3_21rocsparse_index_base_b,comdat
.Lfunc_end80:
	.size	_ZN9rocsparseL27csrmvn_symm_adaptive_kernelIll18rocsparse_bfloat16S1_ffEEvbT_S2_PKS2_NS_24const_host_device_scalarIT4_EES4_PKT0_PKT1_PKT2_S7_PT3_21rocsparse_index_base_b, .Lfunc_end80-_ZN9rocsparseL27csrmvn_symm_adaptive_kernelIll18rocsparse_bfloat16S1_ffEEvbT_S2_PKS2_NS_24const_host_device_scalarIT4_EES4_PKT0_PKT1_PKT2_S7_PT3_21rocsparse_index_base_b
                                        ; -- End function
	.set _ZN9rocsparseL27csrmvn_symm_adaptive_kernelIll18rocsparse_bfloat16S1_ffEEvbT_S2_PKS2_NS_24const_host_device_scalarIT4_EES4_PKT0_PKT1_PKT2_S7_PT3_21rocsparse_index_base_b.num_vgpr, 22
	.set _ZN9rocsparseL27csrmvn_symm_adaptive_kernelIll18rocsparse_bfloat16S1_ffEEvbT_S2_PKS2_NS_24const_host_device_scalarIT4_EES4_PKT0_PKT1_PKT2_S7_PT3_21rocsparse_index_base_b.num_agpr, 0
	.set _ZN9rocsparseL27csrmvn_symm_adaptive_kernelIll18rocsparse_bfloat16S1_ffEEvbT_S2_PKS2_NS_24const_host_device_scalarIT4_EES4_PKT0_PKT1_PKT2_S7_PT3_21rocsparse_index_base_b.numbered_sgpr, 52
	.set _ZN9rocsparseL27csrmvn_symm_adaptive_kernelIll18rocsparse_bfloat16S1_ffEEvbT_S2_PKS2_NS_24const_host_device_scalarIT4_EES4_PKT0_PKT1_PKT2_S7_PT3_21rocsparse_index_base_b.num_named_barrier, 0
	.set _ZN9rocsparseL27csrmvn_symm_adaptive_kernelIll18rocsparse_bfloat16S1_ffEEvbT_S2_PKS2_NS_24const_host_device_scalarIT4_EES4_PKT0_PKT1_PKT2_S7_PT3_21rocsparse_index_base_b.private_seg_size, 0
	.set _ZN9rocsparseL27csrmvn_symm_adaptive_kernelIll18rocsparse_bfloat16S1_ffEEvbT_S2_PKS2_NS_24const_host_device_scalarIT4_EES4_PKT0_PKT1_PKT2_S7_PT3_21rocsparse_index_base_b.uses_vcc, 1
	.set _ZN9rocsparseL27csrmvn_symm_adaptive_kernelIll18rocsparse_bfloat16S1_ffEEvbT_S2_PKS2_NS_24const_host_device_scalarIT4_EES4_PKT0_PKT1_PKT2_S7_PT3_21rocsparse_index_base_b.uses_flat_scratch, 0
	.set _ZN9rocsparseL27csrmvn_symm_adaptive_kernelIll18rocsparse_bfloat16S1_ffEEvbT_S2_PKS2_NS_24const_host_device_scalarIT4_EES4_PKT0_PKT1_PKT2_S7_PT3_21rocsparse_index_base_b.has_dyn_sized_stack, 0
	.set _ZN9rocsparseL27csrmvn_symm_adaptive_kernelIll18rocsparse_bfloat16S1_ffEEvbT_S2_PKS2_NS_24const_host_device_scalarIT4_EES4_PKT0_PKT1_PKT2_S7_PT3_21rocsparse_index_base_b.has_recursion, 0
	.set _ZN9rocsparseL27csrmvn_symm_adaptive_kernelIll18rocsparse_bfloat16S1_ffEEvbT_S2_PKS2_NS_24const_host_device_scalarIT4_EES4_PKT0_PKT1_PKT2_S7_PT3_21rocsparse_index_base_b.has_indirect_call, 0
	.section	.AMDGPU.csdata,"",@progbits
; Kernel info:
; codeLenInByte = 7264
; TotalNumSgprs: 56
; NumVgprs: 22
; ScratchSize: 0
; MemoryBound: 0
; FloatMode: 240
; IeeeMode: 1
; LDSByteSize: 4096 bytes/workgroup (compile time only)
; SGPRBlocks: 6
; VGPRBlocks: 5
; NumSGPRsForWavesPerEU: 56
; NumVGPRsForWavesPerEU: 22
; Occupancy: 10
; WaveLimiterHint : 1
; COMPUTE_PGM_RSRC2:SCRATCH_EN: 0
; COMPUTE_PGM_RSRC2:USER_SGPR: 6
; COMPUTE_PGM_RSRC2:TRAP_HANDLER: 0
; COMPUTE_PGM_RSRC2:TGID_X_EN: 1
; COMPUTE_PGM_RSRC2:TGID_Y_EN: 0
; COMPUTE_PGM_RSRC2:TGID_Z_EN: 0
; COMPUTE_PGM_RSRC2:TIDIG_COMP_CNT: 0
	.section	.text._ZL33csrmvn_symm_large_adaptive_kernelIll18rocsparse_bfloat16S0_ffEvbT_PKS1_N9rocsparse24const_host_device_scalarIT4_EES3_PKT0_PKT1_PKT2_S7_PT3_21rocsparse_index_base_b,"axG",@progbits,_ZL33csrmvn_symm_large_adaptive_kernelIll18rocsparse_bfloat16S0_ffEvbT_PKS1_N9rocsparse24const_host_device_scalarIT4_EES3_PKT0_PKT1_PKT2_S7_PT3_21rocsparse_index_base_b,comdat
	.globl	_ZL33csrmvn_symm_large_adaptive_kernelIll18rocsparse_bfloat16S0_ffEvbT_PKS1_N9rocsparse24const_host_device_scalarIT4_EES3_PKT0_PKT1_PKT2_S7_PT3_21rocsparse_index_base_b ; -- Begin function _ZL33csrmvn_symm_large_adaptive_kernelIll18rocsparse_bfloat16S0_ffEvbT_PKS1_N9rocsparse24const_host_device_scalarIT4_EES3_PKT0_PKT1_PKT2_S7_PT3_21rocsparse_index_base_b
	.p2align	8
	.type	_ZL33csrmvn_symm_large_adaptive_kernelIll18rocsparse_bfloat16S0_ffEvbT_PKS1_N9rocsparse24const_host_device_scalarIT4_EES3_PKT0_PKT1_PKT2_S7_PT3_21rocsparse_index_base_b,@function
_ZL33csrmvn_symm_large_adaptive_kernelIll18rocsparse_bfloat16S0_ffEvbT_PKS1_N9rocsparse24const_host_device_scalarIT4_EES3_PKT0_PKT1_PKT2_S7_PT3_21rocsparse_index_base_b: ; @_ZL33csrmvn_symm_large_adaptive_kernelIll18rocsparse_bfloat16S0_ffEvbT_PKS1_N9rocsparse24const_host_device_scalarIT4_EES3_PKT0_PKT1_PKT2_S7_PT3_21rocsparse_index_base_b
; %bb.0:
	s_load_dwordx2 s[24:25], s[4:5], 0x50
	s_load_dwordx2 s[26:27], s[4:5], 0x18
	;; [unrolled: 1-line block ×3, first 2 shown]
	s_waitcnt lgkmcnt(0)
	s_bitcmp1_b32 s25, 0
	s_cselect_b64 s[8:9], -1, 0
	s_xor_b64 s[2:3], s[8:9], -1
	s_and_b64 vcc, exec, s[8:9]
	s_cbranch_vccnz .LBB81_2
; %bb.1:
	s_load_dword s26, s[26:27], 0x0
.LBB81_2:
	s_andn2_b64 vcc, exec, s[2:3]
	s_cbranch_vccnz .LBB81_4
; %bb.3:
	s_load_dword s0, s[0:1], 0x0
.LBB81_4:
	s_waitcnt lgkmcnt(0)
	v_cmp_neq_f32_e64 s[2:3], s26, 0
	v_cmp_neq_f32_e64 s[0:1], s0, 1.0
	s_or_b64 s[0:1], s[2:3], s[0:1]
	s_andn2_b64 vcc, exec, s[0:1]
	s_cbranch_vccnz .LBB81_36
; %bb.5:
	s_load_dwordx2 s[0:1], s[4:5], 0x10
	s_ashr_i32 s7, s6, 31
	s_lshl_b64 s[2:3], s[6:7], 3
	v_lshlrev_b32_e32 v8, 2, v0
	v_mov_b32_e32 v9, 0
	s_waitcnt lgkmcnt(0)
	s_add_u32 s0, s0, s2
	s_addc_u32 s1, s1, s3
	ds_write2st64_b32 v8, v9, v9 offset1:4
	ds_write2st64_b32 v8, v9, v9 offset0:8 offset1:12
	s_waitcnt lgkmcnt(0)
	s_barrier
	s_load_dwordx4 s[20:23], s[0:1], 0x0
	s_load_dwordx8 s[12:19], s[4:5], 0x20
	s_load_dwordx2 s[28:29], s[4:5], 0x48
	v_subrev_co_u32_e64 v10, s[0:1], s24, v0
	s_waitcnt lgkmcnt(0)
	v_mov_b32_e32 v1, s22
	v_mov_b32_e32 v2, s23
	v_cmp_ge_i64_e32 vcc, s[20:21], v[1:2]
	v_subb_co_u32_e64 v11, s[0:1], 0, 0, s[0:1]
	s_cbranch_vccnz .LBB81_26
; %bb.6:
	s_movk_i32 s25, 0x100
	v_cmp_gt_u32_e64 s[0:1], s25, v0
	v_cmp_gt_u32_e64 s[2:3], 64, v0
	;; [unrolled: 1-line block ×4, first 2 shown]
	v_cmp_eq_u32_e64 s[8:9], 0, v0
	v_mov_b32_e32 v0, s22
	v_mov_b32_e32 v1, s23
	s_mov_b64 s[30:31], s[20:21]
	s_branch .LBB81_8
.LBB81_7:                               ;   in Loop: Header=BB81_8 Depth=1
	s_or_b64 exec, exec, s[10:11]
	s_add_u32 s30, s30, 1
	s_addc_u32 s31, s31, 0
	v_cmp_ge_i64_e32 vcc, s[30:31], v[0:1]
	s_cbranch_vccnz .LBB81_26
.LBB81_8:                               ; =>This Loop Header: Depth=1
                                        ;     Child Loop BB81_10 Depth 2
                                        ;     Child Loop BB81_25 Depth 2
	s_lshl_b64 s[10:11], s[30:31], 3
	s_add_u32 s10, s12, s10
	s_addc_u32 s11, s13, s11
	s_load_dwordx4 s[36:39], s[10:11], 0x0
	v_mov_b32_e32 v12, 0
	s_waitcnt lgkmcnt(0)
	s_sub_u32 s34, s38, s24
	v_mov_b32_e32 v3, s37
	v_add_co_u32_e32 v2, vcc, s36, v10
	s_subb_u32 s35, s39, 0
	v_addc_co_u32_e32 v3, vcc, v3, v11, vcc
	v_cmp_gt_i64_e32 vcc, s[34:35], v[2:3]
	s_and_saveexec_b64 s[36:37], vcc
	s_cbranch_execz .LBB81_12
; %bb.9:                                ;   in Loop: Header=BB81_8 Depth=1
	v_lshlrev_b64 v[4:5], 3, v[2:3]
	v_mov_b32_e32 v6, s15
	v_add_co_u32_e32 v4, vcc, s14, v4
	v_addc_co_u32_e32 v5, vcc, v6, v5, vcc
	v_lshlrev_b64 v[6:7], 1, v[2:3]
	v_mov_b32_e32 v12, s17
	v_add_co_u32_e32 v6, vcc, s16, v6
	v_addc_co_u32_e32 v7, vcc, v12, v7, vcc
	v_mov_b32_e32 v12, 0
	s_mov_b64 s[38:39], 0
.LBB81_10:                              ;   Parent Loop BB81_8 Depth=1
                                        ; =>  This Inner Loop Header: Depth=2
	global_load_dwordx2 v[13:14], v[4:5], off
	global_load_ushort v15, v[6:7], off
	v_mov_b32_e32 v16, s19
	s_waitcnt vmcnt(1)
	v_subrev_co_u32_e32 v13, vcc, s24, v13
	v_subbrev_co_u32_e32 v14, vcc, 0, v14, vcc
	v_lshlrev_b64 v[13:14], 1, v[13:14]
	v_add_co_u32_e32 v13, vcc, s18, v13
	v_addc_co_u32_e32 v14, vcc, v16, v14, vcc
	global_load_ushort v13, v[13:14], off
	v_add_co_u32_e32 v2, vcc, s25, v2
	v_addc_co_u32_e32 v3, vcc, 0, v3, vcc
	v_add_co_u32_e32 v4, vcc, 0x800, v4
	v_addc_co_u32_e32 v5, vcc, 0, v5, vcc
	v_cmp_le_i64_e64 s[10:11], s[34:35], v[2:3]
	v_add_co_u32_e32 v6, vcc, 0x200, v6
	s_waitcnt vmcnt(1)
	v_lshlrev_b32_e32 v14, 16, v15
	v_addc_co_u32_e32 v7, vcc, 0, v7, vcc
	s_or_b64 s[38:39], s[10:11], s[38:39]
	s_waitcnt vmcnt(0)
	v_lshlrev_b32_e32 v13, 16, v13
	v_fmac_f32_e32 v12, v14, v13
	s_andn2_b64 exec, exec, s[38:39]
	s_cbranch_execnz .LBB81_10
; %bb.11:                               ;   in Loop: Header=BB81_8 Depth=1
	s_or_b64 exec, exec, s[38:39]
.LBB81_12:                              ;   in Loop: Header=BB81_8 Depth=1
	s_or_b64 exec, exec, s[36:37]
	ds_write_b32 v8, v12
	s_waitcnt lgkmcnt(0)
	s_barrier
	s_and_saveexec_b64 s[10:11], s[0:1]
	s_cbranch_execz .LBB81_14
; %bb.13:                               ;   in Loop: Header=BB81_8 Depth=1
	ds_read2st64_b32 v[2:3], v8 offset1:4
	ds_read2st64_b32 v[4:5], v8 offset0:8 offset1:12
	s_waitcnt lgkmcnt(0)
	v_add_f32_e32 v3, v3, v4
	v_add_f32_e32 v3, v3, v5
	v_add_f32_e32 v2, v2, v3
	ds_write_b32 v8, v2
.LBB81_14:                              ;   in Loop: Header=BB81_8 Depth=1
	s_or_b64 exec, exec, s[10:11]
	s_waitcnt lgkmcnt(0)
	s_barrier
	s_and_saveexec_b64 s[10:11], s[2:3]
	s_cbranch_execz .LBB81_16
; %bb.15:                               ;   in Loop: Header=BB81_8 Depth=1
	ds_read2st64_b32 v[2:3], v8 offset1:1
	ds_read2st64_b32 v[4:5], v8 offset0:2 offset1:3
	s_waitcnt lgkmcnt(0)
	v_add_f32_e32 v3, v3, v4
	v_add_f32_e32 v3, v3, v5
	;; [unrolled: 1-line block ×3, first 2 shown]
	ds_write_b32 v8, v2
.LBB81_16:                              ;   in Loop: Header=BB81_8 Depth=1
	s_or_b64 exec, exec, s[10:11]
	s_waitcnt lgkmcnt(0)
	s_barrier
	s_and_saveexec_b64 s[10:11], s[4:5]
	s_cbranch_execz .LBB81_18
; %bb.17:                               ;   in Loop: Header=BB81_8 Depth=1
	ds_read2_b32 v[2:3], v8 offset1:16
	ds_read2_b32 v[4:5], v8 offset0:32 offset1:48
	s_waitcnt lgkmcnt(0)
	v_add_f32_e32 v3, v3, v4
	v_add_f32_e32 v3, v3, v5
	;; [unrolled: 1-line block ×3, first 2 shown]
	ds_write_b32 v8, v2
.LBB81_18:                              ;   in Loop: Header=BB81_8 Depth=1
	s_or_b64 exec, exec, s[10:11]
	s_waitcnt lgkmcnt(0)
	s_barrier
	s_and_saveexec_b64 s[10:11], s[6:7]
	s_cbranch_execz .LBB81_20
; %bb.19:                               ;   in Loop: Header=BB81_8 Depth=1
	ds_read2_b32 v[2:3], v8 offset1:4
	ds_read2_b32 v[4:5], v8 offset0:8 offset1:12
	s_waitcnt lgkmcnt(0)
	v_add_f32_e32 v3, v3, v4
	v_add_f32_e32 v3, v3, v5
	;; [unrolled: 1-line block ×3, first 2 shown]
	ds_write_b32 v8, v2
.LBB81_20:                              ;   in Loop: Header=BB81_8 Depth=1
	s_or_b64 exec, exec, s[10:11]
	s_waitcnt lgkmcnt(0)
	s_barrier
	s_and_saveexec_b64 s[10:11], s[8:9]
	s_cbranch_execz .LBB81_22
; %bb.21:                               ;   in Loop: Header=BB81_8 Depth=1
	ds_read2_b32 v[2:3], v9 offset0:1 offset1:2
	ds_read_b32 v4, v9 offset:12
	ds_read_b32 v5, v8
	s_waitcnt lgkmcnt(2)
	v_add_f32_e32 v2, v2, v3
	s_waitcnt lgkmcnt(1)
	v_add_f32_e32 v2, v2, v4
	;; [unrolled: 2-line block ×3, first 2 shown]
	ds_write_b32 v8, v2
.LBB81_22:                              ;   in Loop: Header=BB81_8 Depth=1
	s_or_b64 exec, exec, s[10:11]
	s_waitcnt lgkmcnt(0)
	s_barrier
	s_and_saveexec_b64 s[10:11], s[8:9]
	s_cbranch_execz .LBB81_7
; %bb.23:                               ;   in Loop: Header=BB81_8 Depth=1
	s_mov_b64 s[36:37], exec
	v_mbcnt_lo_u32_b32 v2, s36, 0
	v_mbcnt_hi_u32_b32 v2, s37, v2
	v_cmp_eq_u32_e32 vcc, 0, v2
	s_and_b64 s[34:35], exec, vcc
	s_mov_b64 exec, s[34:35]
	s_cbranch_execz .LBB81_7
; %bb.24:                               ;   in Loop: Header=BB81_8 Depth=1
	s_lshl_b64 s[34:35], s[30:31], 2
	s_add_u32 s34, s28, s34
	s_addc_u32 s35, s29, s35
	global_load_dword v3, v9, s[34:35]
	ds_read_b32 v2, v9
	s_bcnt1_i32_b64 s27, s[36:37]
	v_cvt_f32_ubyte0_e32 v4, s27
	s_mov_b64 s[36:37], 0
	s_waitcnt lgkmcnt(0)
	v_mul_f32_e32 v2, s26, v2
	v_mul_f32_e32 v4, v2, v4
.LBB81_25:                              ;   Parent Loop BB81_8 Depth=1
                                        ; =>  This Inner Loop Header: Depth=2
	s_waitcnt vmcnt(0)
	v_add_f32_e32 v2, v3, v4
	global_atomic_cmpswap v2, v9, v[2:3], s[34:35] glc
	s_waitcnt vmcnt(0)
	v_cmp_eq_u32_e32 vcc, v2, v3
	s_or_b64 s[36:37], vcc, s[36:37]
	v_mov_b32_e32 v3, v2
	s_andn2_b64 exec, exec, s[36:37]
	s_cbranch_execnz .LBB81_25
	s_branch .LBB81_7
.LBB81_26:
	s_lshl_b64 s[0:1], s[20:21], 3
	s_add_u32 s0, s12, s0
	s_addc_u32 s1, s13, s1
	s_lshl_b64 s[2:3], s[22:23], 3
	s_add_u32 s2, s12, s2
	s_addc_u32 s3, s13, s3
	s_load_dwordx2 s[6:7], s[0:1], 0x0
	s_load_dwordx2 s[4:5], s[2:3], 0x0
	s_waitcnt lgkmcnt(0)
	v_mov_b32_e32 v1, s7
	s_sub_u32 s4, s4, s24
	v_add_co_u32_e32 v0, vcc, s6, v10
	s_subb_u32 s5, s5, 0
	v_addc_co_u32_e32 v1, vcc, v1, v11, vcc
	v_cmp_gt_i64_e32 vcc, s[4:5], v[0:1]
	s_and_saveexec_b64 s[0:1], vcc
	s_cbranch_execz .LBB81_36
; %bb.27:
	s_add_u32 s6, s22, -1
	s_addc_u32 s7, s23, -1
	v_mov_b32_e32 v2, s6
	s_add_u32 s0, s22, -2
	v_mov_b32_e32 v3, s7
	s_addc_u32 s1, s23, -1
	v_cmp_lt_i64_e32 vcc, s[20:21], v[2:3]
	s_cmp_lg_u64 s[20:21], s[0:1]
	s_cselect_b64 s[0:1], -1, 0
	s_and_b64 s[0:1], vcc, s[0:1]
	v_cndmask_b32_e64 v2, 0, 1, s[0:1]
	s_mov_b64 s[8:9], 0
	v_cmp_ne_u32_e64 s[0:1], 1, v2
	v_mov_b32_e32 v6, s13
	v_mov_b32_e32 v7, s15
	s_branch .LBB81_29
.LBB81_28:                              ;   in Loop: Header=BB81_29 Depth=1
	s_or_b64 exec, exec, s[2:3]
	v_add_co_u32_e32 v0, vcc, 0x100, v0
	v_addc_co_u32_e32 v1, vcc, 0, v1, vcc
	v_cmp_le_i64_e32 vcc, s[4:5], v[0:1]
	s_or_b64 s[8:9], vcc, s[8:9]
	s_andn2_b64 exec, exec, s[8:9]
	s_cbranch_execz .LBB81_36
.LBB81_29:                              ; =>This Loop Header: Depth=1
                                        ;     Child Loop BB81_31 Depth 2
                                        ;     Child Loop BB81_35 Depth 2
	v_mov_b32_e32 v2, s20
	v_mov_b32_e32 v4, s6
	s_and_b64 vcc, exec, s[0:1]
	v_mov_b32_e32 v3, s21
	v_mov_b32_e32 v5, s7
	s_cbranch_vccnz .LBB81_33
; %bb.30:                               ;   in Loop: Header=BB81_29 Depth=1
	v_mov_b32_e32 v2, s20
	v_mov_b32_e32 v4, s6
	s_mov_b64 s[10:11], 0
	v_mov_b32_e32 v3, s21
	v_mov_b32_e32 v5, s7
.LBB81_31:                              ;   Parent Loop BB81_29 Depth=1
                                        ; =>  This Inner Loop Header: Depth=2
	v_add_co_u32_e32 v8, vcc, v4, v2
	v_addc_co_u32_e32 v9, vcc, v5, v3, vcc
	v_lshrrev_b32_e32 v10, 31, v9
	v_add_co_u32_e32 v8, vcc, v8, v10
	v_addc_co_u32_e32 v9, vcc, 0, v9, vcc
	v_ashrrev_i64 v[8:9], 1, v[8:9]
	v_mov_b32_e32 v12, s13
	v_lshlrev_b64 v[10:11], 3, v[8:9]
	v_add_co_u32_e32 v10, vcc, s12, v10
	v_addc_co_u32_e32 v11, vcc, v12, v11, vcc
	global_load_dwordx2 v[10:11], v[10:11], off
	s_waitcnt vmcnt(0)
	v_subrev_co_u32_e32 v10, vcc, s24, v10
	v_subbrev_co_u32_e32 v11, vcc, 0, v11, vcc
	v_cmp_lt_i64_e32 vcc, v[0:1], v[10:11]
	v_cndmask_b32_e32 v4, v4, v8, vcc
	v_cndmask_b32_e32 v5, v5, v9, vcc
	;; [unrolled: 1-line block ×3, first 2 shown]
	v_add_co_u32_e64 v8, s[2:3], -1, v4
	v_cndmask_b32_e32 v3, v9, v3, vcc
	v_addc_co_u32_e64 v9, s[2:3], -1, v5, s[2:3]
	v_cmp_ge_i64_e32 vcc, v[2:3], v[4:5]
	v_cmp_eq_u64_e64 s[2:3], v[2:3], v[8:9]
	s_or_b64 s[2:3], vcc, s[2:3]
	s_and_b64 s[2:3], exec, s[2:3]
	s_or_b64 s[10:11], s[2:3], s[10:11]
	s_andn2_b64 exec, exec, s[10:11]
	s_cbranch_execnz .LBB81_31
; %bb.32:                               ;   in Loop: Header=BB81_29 Depth=1
	s_or_b64 exec, exec, s[10:11]
.LBB81_33:                              ;   in Loop: Header=BB81_29 Depth=1
	v_lshlrev_b64 v[8:9], 3, v[4:5]
	v_lshlrev_b64 v[10:11], 3, v[0:1]
	v_add_co_u32_e32 v8, vcc, s12, v8
	v_addc_co_u32_e32 v9, vcc, v6, v9, vcc
	global_load_dwordx2 v[8:9], v[8:9], off
	v_add_co_u32_e32 v10, vcc, s14, v10
	v_addc_co_u32_e32 v11, vcc, v7, v11, vcc
	global_load_dwordx2 v[10:11], v[10:11], off
	s_waitcnt vmcnt(1)
	v_subrev_co_u32_e32 v8, vcc, s24, v8
	v_subbrev_co_u32_e32 v9, vcc, 0, v9, vcc
	v_cmp_lt_i64_e32 vcc, v[0:1], v[8:9]
	v_cndmask_b32_e32 v3, v5, v3, vcc
	v_cndmask_b32_e32 v2, v4, v2, vcc
	s_waitcnt vmcnt(0)
	v_subrev_co_u32_e32 v4, vcc, s24, v10
	v_subbrev_co_u32_e32 v5, vcc, 0, v11, vcc
	v_cmp_ne_u64_e32 vcc, v[4:5], v[2:3]
	s_and_saveexec_b64 s[2:3], vcc
	s_cbranch_execz .LBB81_28
; %bb.34:                               ;   in Loop: Header=BB81_29 Depth=1
	v_lshlrev_b64 v[8:9], 1, v[0:1]
	v_mov_b32_e32 v11, s17
	v_add_co_u32_e32 v8, vcc, s16, v8
	v_lshlrev_b64 v[2:3], 1, v[2:3]
	v_addc_co_u32_e32 v9, vcc, v11, v9, vcc
	v_lshlrev_b64 v[4:5], 2, v[4:5]
	global_load_ushort v8, v[8:9], off
	v_mov_b32_e32 v9, s19
	v_add_co_u32_e32 v2, vcc, s18, v2
	v_addc_co_u32_e32 v3, vcc, v9, v3, vcc
	v_mov_b32_e32 v10, s29
	global_load_ushort v9, v[2:3], off
	v_add_co_u32_e32 v2, vcc, s28, v4
	v_addc_co_u32_e32 v3, vcc, v10, v5, vcc
	global_load_dword v5, v[2:3], off
	s_mov_b64 s[10:11], 0
	s_waitcnt vmcnt(2)
	v_lshlrev_b32_e32 v4, 16, v8
	v_mul_f32_e32 v4, s26, v4
	s_waitcnt vmcnt(1)
	v_lshlrev_b32_e32 v8, 16, v9
	v_mul_f32_e32 v8, v4, v8
.LBB81_35:                              ;   Parent Loop BB81_29 Depth=1
                                        ; =>  This Inner Loop Header: Depth=2
	s_waitcnt vmcnt(0)
	v_add_f32_e32 v4, v5, v8
	global_atomic_cmpswap v4, v[2:3], v[4:5], off glc
	s_waitcnt vmcnt(0)
	v_cmp_eq_u32_e32 vcc, v4, v5
	s_or_b64 s[10:11], vcc, s[10:11]
	v_mov_b32_e32 v5, v4
	s_andn2_b64 exec, exec, s[10:11]
	s_cbranch_execnz .LBB81_35
	s_branch .LBB81_28
.LBB81_36:
	s_endpgm
	.section	.rodata,"a",@progbits
	.p2align	6, 0x0
	.amdhsa_kernel _ZL33csrmvn_symm_large_adaptive_kernelIll18rocsparse_bfloat16S0_ffEvbT_PKS1_N9rocsparse24const_host_device_scalarIT4_EES3_PKT0_PKT1_PKT2_S7_PT3_21rocsparse_index_base_b
		.amdhsa_group_segment_fixed_size 4096
		.amdhsa_private_segment_fixed_size 0
		.amdhsa_kernarg_size 88
		.amdhsa_user_sgpr_count 6
		.amdhsa_user_sgpr_private_segment_buffer 1
		.amdhsa_user_sgpr_dispatch_ptr 0
		.amdhsa_user_sgpr_queue_ptr 0
		.amdhsa_user_sgpr_kernarg_segment_ptr 1
		.amdhsa_user_sgpr_dispatch_id 0
		.amdhsa_user_sgpr_flat_scratch_init 0
		.amdhsa_user_sgpr_private_segment_size 0
		.amdhsa_uses_dynamic_stack 0
		.amdhsa_system_sgpr_private_segment_wavefront_offset 0
		.amdhsa_system_sgpr_workgroup_id_x 1
		.amdhsa_system_sgpr_workgroup_id_y 0
		.amdhsa_system_sgpr_workgroup_id_z 0
		.amdhsa_system_sgpr_workgroup_info 0
		.amdhsa_system_vgpr_workitem_id 0
		.amdhsa_next_free_vgpr 17
		.amdhsa_next_free_sgpr 40
		.amdhsa_reserve_vcc 1
		.amdhsa_reserve_flat_scratch 0
		.amdhsa_float_round_mode_32 0
		.amdhsa_float_round_mode_16_64 0
		.amdhsa_float_denorm_mode_32 3
		.amdhsa_float_denorm_mode_16_64 3
		.amdhsa_dx10_clamp 1
		.amdhsa_ieee_mode 1
		.amdhsa_fp16_overflow 0
		.amdhsa_exception_fp_ieee_invalid_op 0
		.amdhsa_exception_fp_denorm_src 0
		.amdhsa_exception_fp_ieee_div_zero 0
		.amdhsa_exception_fp_ieee_overflow 0
		.amdhsa_exception_fp_ieee_underflow 0
		.amdhsa_exception_fp_ieee_inexact 0
		.amdhsa_exception_int_div_zero 0
	.end_amdhsa_kernel
	.section	.text._ZL33csrmvn_symm_large_adaptive_kernelIll18rocsparse_bfloat16S0_ffEvbT_PKS1_N9rocsparse24const_host_device_scalarIT4_EES3_PKT0_PKT1_PKT2_S7_PT3_21rocsparse_index_base_b,"axG",@progbits,_ZL33csrmvn_symm_large_adaptive_kernelIll18rocsparse_bfloat16S0_ffEvbT_PKS1_N9rocsparse24const_host_device_scalarIT4_EES3_PKT0_PKT1_PKT2_S7_PT3_21rocsparse_index_base_b,comdat
.Lfunc_end81:
	.size	_ZL33csrmvn_symm_large_adaptive_kernelIll18rocsparse_bfloat16S0_ffEvbT_PKS1_N9rocsparse24const_host_device_scalarIT4_EES3_PKT0_PKT1_PKT2_S7_PT3_21rocsparse_index_base_b, .Lfunc_end81-_ZL33csrmvn_symm_large_adaptive_kernelIll18rocsparse_bfloat16S0_ffEvbT_PKS1_N9rocsparse24const_host_device_scalarIT4_EES3_PKT0_PKT1_PKT2_S7_PT3_21rocsparse_index_base_b
                                        ; -- End function
	.set _ZL33csrmvn_symm_large_adaptive_kernelIll18rocsparse_bfloat16S0_ffEvbT_PKS1_N9rocsparse24const_host_device_scalarIT4_EES3_PKT0_PKT1_PKT2_S7_PT3_21rocsparse_index_base_b.num_vgpr, 17
	.set _ZL33csrmvn_symm_large_adaptive_kernelIll18rocsparse_bfloat16S0_ffEvbT_PKS1_N9rocsparse24const_host_device_scalarIT4_EES3_PKT0_PKT1_PKT2_S7_PT3_21rocsparse_index_base_b.num_agpr, 0
	.set _ZL33csrmvn_symm_large_adaptive_kernelIll18rocsparse_bfloat16S0_ffEvbT_PKS1_N9rocsparse24const_host_device_scalarIT4_EES3_PKT0_PKT1_PKT2_S7_PT3_21rocsparse_index_base_b.numbered_sgpr, 40
	.set _ZL33csrmvn_symm_large_adaptive_kernelIll18rocsparse_bfloat16S0_ffEvbT_PKS1_N9rocsparse24const_host_device_scalarIT4_EES3_PKT0_PKT1_PKT2_S7_PT3_21rocsparse_index_base_b.num_named_barrier, 0
	.set _ZL33csrmvn_symm_large_adaptive_kernelIll18rocsparse_bfloat16S0_ffEvbT_PKS1_N9rocsparse24const_host_device_scalarIT4_EES3_PKT0_PKT1_PKT2_S7_PT3_21rocsparse_index_base_b.private_seg_size, 0
	.set _ZL33csrmvn_symm_large_adaptive_kernelIll18rocsparse_bfloat16S0_ffEvbT_PKS1_N9rocsparse24const_host_device_scalarIT4_EES3_PKT0_PKT1_PKT2_S7_PT3_21rocsparse_index_base_b.uses_vcc, 1
	.set _ZL33csrmvn_symm_large_adaptive_kernelIll18rocsparse_bfloat16S0_ffEvbT_PKS1_N9rocsparse24const_host_device_scalarIT4_EES3_PKT0_PKT1_PKT2_S7_PT3_21rocsparse_index_base_b.uses_flat_scratch, 0
	.set _ZL33csrmvn_symm_large_adaptive_kernelIll18rocsparse_bfloat16S0_ffEvbT_PKS1_N9rocsparse24const_host_device_scalarIT4_EES3_PKT0_PKT1_PKT2_S7_PT3_21rocsparse_index_base_b.has_dyn_sized_stack, 0
	.set _ZL33csrmvn_symm_large_adaptive_kernelIll18rocsparse_bfloat16S0_ffEvbT_PKS1_N9rocsparse24const_host_device_scalarIT4_EES3_PKT0_PKT1_PKT2_S7_PT3_21rocsparse_index_base_b.has_recursion, 0
	.set _ZL33csrmvn_symm_large_adaptive_kernelIll18rocsparse_bfloat16S0_ffEvbT_PKS1_N9rocsparse24const_host_device_scalarIT4_EES3_PKT0_PKT1_PKT2_S7_PT3_21rocsparse_index_base_b.has_indirect_call, 0
	.section	.AMDGPU.csdata,"",@progbits
; Kernel info:
; codeLenInByte = 1640
; TotalNumSgprs: 44
; NumVgprs: 17
; ScratchSize: 0
; MemoryBound: 0
; FloatMode: 240
; IeeeMode: 1
; LDSByteSize: 4096 bytes/workgroup (compile time only)
; SGPRBlocks: 5
; VGPRBlocks: 4
; NumSGPRsForWavesPerEU: 44
; NumVGPRsForWavesPerEU: 17
; Occupancy: 10
; WaveLimiterHint : 1
; COMPUTE_PGM_RSRC2:SCRATCH_EN: 0
; COMPUTE_PGM_RSRC2:USER_SGPR: 6
; COMPUTE_PGM_RSRC2:TRAP_HANDLER: 0
; COMPUTE_PGM_RSRC2:TGID_X_EN: 1
; COMPUTE_PGM_RSRC2:TGID_Y_EN: 0
; COMPUTE_PGM_RSRC2:TGID_Z_EN: 0
; COMPUTE_PGM_RSRC2:TIDIG_COMP_CNT: 0
	.section	.text._ZN9rocsparseL22csrmvn_adaptive_kernelIiif21rocsparse_complex_numIfES2_S2_EEvbT_PKS3_PjPKT0_NS_24const_host_device_scalarIT4_EES5_S9_PKT1_PKT2_SC_PT3_21rocsparse_index_base_b,"axG",@progbits,_ZN9rocsparseL22csrmvn_adaptive_kernelIiif21rocsparse_complex_numIfES2_S2_EEvbT_PKS3_PjPKT0_NS_24const_host_device_scalarIT4_EES5_S9_PKT1_PKT2_SC_PT3_21rocsparse_index_base_b,comdat
	.globl	_ZN9rocsparseL22csrmvn_adaptive_kernelIiif21rocsparse_complex_numIfES2_S2_EEvbT_PKS3_PjPKT0_NS_24const_host_device_scalarIT4_EES5_S9_PKT1_PKT2_SC_PT3_21rocsparse_index_base_b ; -- Begin function _ZN9rocsparseL22csrmvn_adaptive_kernelIiif21rocsparse_complex_numIfES2_S2_EEvbT_PKS3_PjPKT0_NS_24const_host_device_scalarIT4_EES5_S9_PKT1_PKT2_SC_PT3_21rocsparse_index_base_b
	.p2align	8
	.type	_ZN9rocsparseL22csrmvn_adaptive_kernelIiif21rocsparse_complex_numIfES2_S2_EEvbT_PKS3_PjPKT0_NS_24const_host_device_scalarIT4_EES5_S9_PKT1_PKT2_SC_PT3_21rocsparse_index_base_b,@function
_ZN9rocsparseL22csrmvn_adaptive_kernelIiif21rocsparse_complex_numIfES2_S2_EEvbT_PKS3_PjPKT0_NS_24const_host_device_scalarIT4_EES5_S9_PKT1_PKT2_SC_PT3_21rocsparse_index_base_b: ; @_ZN9rocsparseL22csrmvn_adaptive_kernelIiif21rocsparse_complex_numIfES2_S2_EEvbT_PKS3_PjPKT0_NS_24const_host_device_scalarIT4_EES5_S9_PKT1_PKT2_SC_PT3_21rocsparse_index_base_b
; %bb.0:
	s_load_dwordx2 s[0:1], s[4:5], 0x20
	s_load_dwordx2 s[38:39], s[4:5], 0x58
	s_add_u32 s7, s4, 32
	s_addc_u32 s8, s5, 0
	s_add_u32 s9, s4, 0x48
	s_load_dwordx2 s[2:3], s[4:5], 0x48
	s_addc_u32 s10, s5, 0
	s_waitcnt lgkmcnt(0)
	s_bitcmp1_b32 s39, 0
	s_cselect_b32 s1, s8, s1
	s_cselect_b32 s0, s7, s0
	v_mov_b32_e32 v1, s0
	v_mov_b32_e32 v2, s1
	flat_load_dwordx2 v[3:4], v[1:2]
	s_cselect_b32 s0, s10, s3
	s_cselect_b32 s1, s9, s2
	v_mov_b32_e32 v1, s1
	v_mov_b32_e32 v2, s0
	flat_load_dwordx2 v[1:2], v[1:2]
	s_waitcnt vmcnt(0) lgkmcnt(0)
	v_cmp_eq_f32_e32 vcc, 0, v3
	v_cmp_eq_f32_e64 s[0:1], 0, v4
	s_and_b64 s[8:9], vcc, s[0:1]
	s_mov_b64 s[0:1], -1
	s_and_saveexec_b64 s[2:3], s[8:9]
; %bb.1:
	v_cmp_neq_f32_e32 vcc, 1.0, v1
	v_cmp_neq_f32_e64 s[0:1], 0, v2
	s_or_b64 s[0:1], vcc, s[0:1]
	s_orn2_b64 s[0:1], s[0:1], exec
; %bb.2:
	s_or_b64 exec, exec, s[2:3]
	s_and_saveexec_b64 s[2:3], s[0:1]
	s_cbranch_execz .LBB82_116
; %bb.3:
	s_load_dwordx2 s[0:1], s[4:5], 0x8
	s_load_dwordx2 s[8:9], s[4:5], 0x18
	s_ashr_i32 s7, s6, 31
	s_lshl_b64 s[42:43], s[6:7], 2
	s_waitcnt lgkmcnt(0)
	s_add_u32 s0, s0, s42
	s_addc_u32 s1, s1, s43
	s_load_dwordx2 s[34:35], s[0:1], 0x0
	s_load_dwordx2 s[22:23], s[4:5], 0x50
	s_load_dwordx8 s[24:31], s[4:5], 0x28
	s_waitcnt lgkmcnt(0)
	s_sub_i32 s2, s35, s34
	s_add_u32 s0, s8, s42
	s_mov_b32 s40, s34
	s_addc_u32 s1, s9, s43
	s_ashr_i32 s41, s34, 31
	s_load_dword s33, s[0:1], 0x0
	s_lshl_b64 s[0:1], s[40:41], 2
	s_add_u32 s36, s24, s0
	s_addc_u32 s37, s25, s1
	s_load_dword s39, s[36:37], 0x0
	s_cmp_lt_i32 s2, 2
	s_mov_b64 s[0:1], -1
	s_cbranch_scc0 .LBB82_72
; %bb.4:
	s_cmp_lg_u32 s2, 1
	s_cselect_b64 s[0:1], -1, 0
	s_waitcnt lgkmcnt(0)
	s_cmp_lg_u32 s33, 0
	s_cselect_b64 s[2:3], -1, 0
	s_or_b64 s[0:1], s[0:1], s[2:3]
	s_mov_b64 s[18:19], -1
	s_and_b64 vcc, exec, s[0:1]
	v_cmp_gt_u32_e64 s[0:1], 64, v0
	v_cmp_gt_u32_e64 s[2:3], 32, v0
	;; [unrolled: 1-line block ×6, first 2 shown]
	v_cmp_eq_u32_e64 s[16:17], 0, v0
	s_cbranch_vccnz .LBB82_32
; %bb.5:
	s_movk_i32 s7, 0x80
	v_cmp_neq_f32_e32 vcc, 0, v1
	v_cmp_neq_f32_e64 s[20:21], 0, v2
	v_subrev_u32_e32 v12, s38, v0
	v_mul_f32_e32 v13, 0x80000000, v4
	v_mul_f32_e32 v14, 0, v3
	v_lshlrev_b32_e32 v15, 3, v0
	v_cmp_gt_u32_e64 s[18:19], s7, v0
	s_or_b64 s[44:45], vcc, s[20:21]
	v_mov_b32_e32 v16, 0
	s_mov_b32 s46, s34
	s_branch .LBB82_8
.LBB82_6:                               ;   in Loop: Header=BB82_8 Depth=1
	s_or_b64 exec, exec, s[48:49]
	s_lshl_b64 s[48:49], s[46:47], 3
	s_add_u32 s48, s22, s48
	s_addc_u32 s49, s23, s49
	s_waitcnt lgkmcnt(0)
	global_store_dwordx2 v16, v[5:6], s[48:49]
.LBB82_7:                               ;   in Loop: Header=BB82_8 Depth=1
	s_or_b64 exec, exec, s[20:21]
	s_add_i32 s46, s46, 1
	s_cmp_ge_i32 s46, s35
	s_cbranch_scc1 .LBB82_31
.LBB82_8:                               ; =>This Loop Header: Depth=1
                                        ;     Child Loop BB82_10 Depth 2
	s_ashr_i32 s47, s46, 31
	s_lshl_b64 s[20:21], s[46:47], 2
	s_add_u32 s20, s24, s20
	s_addc_u32 s21, s25, s21
	s_load_dwordx2 s[48:49], s[20:21], 0x0
	v_mov_b32_e32 v7, 0
	v_mov_b32_e32 v6, 0
	s_waitcnt lgkmcnt(0)
	s_sub_i32 s7, s49, s38
	v_add_u32_e32 v5, s48, v12
	v_cmp_gt_i32_e32 vcc, s7, v5
	s_and_saveexec_b64 s[48:49], vcc
	s_cbranch_execz .LBB82_12
; %bb.9:                                ;   in Loop: Header=BB82_8 Depth=1
	v_ashrrev_i32_e32 v6, 31, v5
	v_lshlrev_b64 v[6:7], 2, v[5:6]
	v_mov_b32_e32 v9, s29
	v_add_co_u32_e32 v8, vcc, s28, v6
	v_addc_co_u32_e32 v9, vcc, v9, v7, vcc
	v_mov_b32_e32 v11, s27
	v_add_co_u32_e32 v10, vcc, s26, v6
	v_addc_co_u32_e32 v11, vcc, v11, v7, vcc
	v_mov_b32_e32 v7, 0
	s_mov_b64 s[50:51], 0
	v_mov_b32_e32 v6, v7
.LBB82_10:                              ;   Parent Loop BB82_8 Depth=1
                                        ; =>  This Inner Loop Header: Depth=2
	global_load_dword v17, v[10:11], off
	global_load_dword v19, v[8:9], off
	v_mov_b32_e32 v20, s31
	v_add_u32_e32 v5, 0x100, v5
	v_cmp_le_i32_e64 s[20:21], s7, v5
	s_or_b64 s[50:51], s[20:21], s[50:51]
	s_waitcnt vmcnt(1)
	v_subrev_u32_e32 v17, s38, v17
	v_ashrrev_i32_e32 v18, 31, v17
	v_lshlrev_b64 v[17:18], 3, v[17:18]
	v_add_co_u32_e32 v17, vcc, s30, v17
	v_addc_co_u32_e32 v18, vcc, v20, v18, vcc
	global_load_dwordx2 v[17:18], v[17:18], off
	v_add_co_u32_e32 v8, vcc, 0x400, v8
	v_addc_co_u32_e32 v9, vcc, 0, v9, vcc
	s_waitcnt vmcnt(1)
	v_fma_f32 v20, v3, v19, v13
	v_fma_f32 v19, v4, v19, v14
	v_add_co_u32_e32 v10, vcc, 0x400, v10
	v_addc_co_u32_e32 v11, vcc, 0, v11, vcc
	s_waitcnt vmcnt(0)
	v_fmac_f32_e32 v6, v20, v17
	v_fmac_f32_e32 v7, v19, v17
	v_fma_f32 v6, -v19, v18, v6
	v_fmac_f32_e32 v7, v20, v18
	s_andn2_b64 exec, exec, s[50:51]
	s_cbranch_execnz .LBB82_10
; %bb.11:                               ;   in Loop: Header=BB82_8 Depth=1
	s_or_b64 exec, exec, s[50:51]
.LBB82_12:                              ;   in Loop: Header=BB82_8 Depth=1
	s_or_b64 exec, exec, s[48:49]
	ds_write_b64 v15, v[6:7]
	s_waitcnt vmcnt(0) lgkmcnt(0)
	s_barrier
	s_and_saveexec_b64 s[20:21], s[18:19]
	s_cbranch_execz .LBB82_14
; %bb.13:                               ;   in Loop: Header=BB82_8 Depth=1
	ds_read2st64_b64 v[5:8], v15 offset1:2
	s_waitcnt lgkmcnt(0)
	v_add_f32_e32 v5, v7, v5
	v_add_f32_e32 v6, v8, v6
	ds_write_b64 v15, v[5:6]
.LBB82_14:                              ;   in Loop: Header=BB82_8 Depth=1
	s_or_b64 exec, exec, s[20:21]
	s_waitcnt lgkmcnt(0)
	s_barrier
	s_and_saveexec_b64 s[20:21], s[0:1]
	s_cbranch_execz .LBB82_16
; %bb.15:                               ;   in Loop: Header=BB82_8 Depth=1
	ds_read2st64_b64 v[5:8], v15 offset1:1
	s_waitcnt lgkmcnt(0)
	v_add_f32_e32 v5, v7, v5
	v_add_f32_e32 v6, v8, v6
	ds_write_b64 v15, v[5:6]
.LBB82_16:                              ;   in Loop: Header=BB82_8 Depth=1
	s_or_b64 exec, exec, s[20:21]
	s_waitcnt lgkmcnt(0)
	s_barrier
	s_and_saveexec_b64 s[20:21], s[2:3]
	s_cbranch_execz .LBB82_18
; %bb.17:                               ;   in Loop: Header=BB82_8 Depth=1
	ds_read2_b64 v[5:8], v15 offset1:32
	s_waitcnt lgkmcnt(0)
	v_add_f32_e32 v5, v7, v5
	v_add_f32_e32 v6, v8, v6
	ds_write_b64 v15, v[5:6]
.LBB82_18:                              ;   in Loop: Header=BB82_8 Depth=1
	s_or_b64 exec, exec, s[20:21]
	s_waitcnt lgkmcnt(0)
	s_barrier
	s_and_saveexec_b64 s[20:21], s[8:9]
	s_cbranch_execz .LBB82_20
; %bb.19:                               ;   in Loop: Header=BB82_8 Depth=1
	ds_read2_b64 v[5:8], v15 offset1:16
	s_waitcnt lgkmcnt(0)
	v_add_f32_e32 v5, v7, v5
	v_add_f32_e32 v6, v8, v6
	ds_write_b64 v15, v[5:6]
.LBB82_20:                              ;   in Loop: Header=BB82_8 Depth=1
	;; [unrolled: 12-line block ×6, first 2 shown]
	s_or_b64 exec, exec, s[20:21]
	s_waitcnt lgkmcnt(0)
	s_barrier
	s_and_saveexec_b64 s[20:21], s[16:17]
	s_cbranch_execz .LBB82_7
; %bb.29:                               ;   in Loop: Header=BB82_8 Depth=1
	ds_read_b64 v[5:6], v16
	s_and_saveexec_b64 s[48:49], s[44:45]
	s_cbranch_execz .LBB82_6
; %bb.30:                               ;   in Loop: Header=BB82_8 Depth=1
	s_lshl_b64 s[50:51], s[46:47], 3
	s_add_u32 s50, s22, s50
	s_addc_u32 s51, s23, s51
	global_load_dwordx2 v[7:8], v16, s[50:51]
	s_waitcnt vmcnt(0) lgkmcnt(0)
	v_fma_f32 v5, v1, v7, v5
	v_fmac_f32_e32 v6, v2, v7
	v_fma_f32 v5, -v2, v8, v5
	v_fmac_f32_e32 v6, v1, v8
	s_branch .LBB82_6
.LBB82_31:
	s_mov_b64 s[18:19], 0
.LBB82_32:
	s_and_b64 vcc, exec, s[18:19]
	s_cbranch_vccz .LBB82_71
; %bb.33:
	s_load_dwordx2 s[8:9], s[4:5], 0x10
	s_sub_i32 s6, s6, s33
	v_mov_b32_e32 v5, 0
	v_or_b32_e32 v6, s33, v0
	v_cmp_eq_u32_e32 vcc, 0, v6
	s_waitcnt lgkmcnt(0)
	s_add_u32 s2, s8, s42
	s_addc_u32 s3, s9, s43
	global_load_dword v12, v5, s[2:3]
	v_mov_b32_e32 v6, 0
	s_and_saveexec_b64 s[0:1], vcc
	s_cbranch_execz .LBB82_37
; %bb.34:
	s_lshl_b64 s[12:13], s[40:41], 3
	s_add_u32 s12, s22, s12
	s_addc_u32 s13, s23, s13
	v_mov_b32_e32 v10, 0
	global_load_dwordx2 v[7:8], v10, s[12:13]
	s_mov_b64 s[10:11], exec
	v_mbcnt_lo_u32_b32 v5, s10, 0
	v_add_f32_e32 v9, -1.0, v1
	v_mbcnt_hi_u32_b32 v11, s11, v5
	v_cmp_eq_u32_e32 vcc, 0, v11
	s_waitcnt vmcnt(0) expcnt(0) lgkmcnt(0)
	v_mul_f32_e64 v5, v8, -v2
	v_mul_f32_e32 v6, v9, v8
	s_and_saveexec_b64 s[12:13], vcc
	s_cbranch_execz .LBB82_36
; %bb.35:
	s_ashr_i32 s7, s6, 31
	s_lshl_b64 s[14:15], s[6:7], 2
	s_add_u32 s14, s8, s14
	s_addc_u32 s15, s9, s15
	s_bcnt1_i32_b64 s7, s[10:11]
	s_and_b32 s7, s7, 1
	v_mov_b32_e32 v8, s7
	global_atomic_xor v10, v8, s[14:15]
.LBB82_36:
	s_or_b64 exec, exec, s[12:13]
	v_fmac_f32_e32 v5, v9, v7
	v_fmac_f32_e32 v6, v2, v7
.LBB82_37:
	s_or_b64 exec, exec, s[0:1]
	s_load_dword s1, s[36:37], 0x4
	s_mul_i32 s0, s33, 0xc00
	s_sub_i32 s7, s39, s38
	s_add_i32 s0, s7, s0
	v_add_u32_e32 v7, s0, v0
	s_waitcnt lgkmcnt(0)
	s_sub_i32 s1, s1, s38
	v_cmp_gt_i32_e32 vcc, s1, v7
	s_and_saveexec_b64 s[10:11], vcc
	s_cbranch_execz .LBB82_41
; %bb.38:
	v_ashrrev_i32_e32 v8, 31, v7
	v_lshlrev_b64 v[10:11], 2, v[7:8]
	v_mov_b32_e32 v9, s29
	v_add_co_u32_e32 v8, vcc, s28, v10
	v_addc_co_u32_e32 v9, vcc, v9, v11, vcc
	s_addk_i32 s0, 0xc00
	v_mov_b32_e32 v15, s27
	v_add_co_u32_e32 v10, vcc, s26, v10
	s_min_i32 s7, s0, s1
	v_mul_f32_e32 v13, 0x80000000, v4
	v_mul_f32_e32 v14, 0, v3
	v_addc_co_u32_e32 v11, vcc, v15, v11, vcc
	s_mov_b64 s[12:13], 0
	v_mov_b32_e32 v15, s31
.LBB82_39:                              ; =>This Inner Loop Header: Depth=1
	global_load_dword v16, v[10:11], off
	global_load_dword v18, v[8:9], off
	v_add_u32_e32 v7, 0x100, v7
	v_cmp_le_i32_e64 s[0:1], s7, v7
	s_or_b64 s[12:13], s[0:1], s[12:13]
	s_waitcnt vmcnt(1)
	v_subrev_u32_e32 v16, s38, v16
	v_ashrrev_i32_e32 v17, 31, v16
	v_lshlrev_b64 v[16:17], 3, v[16:17]
	s_waitcnt vmcnt(0)
	v_fma_f32 v19, v3, v18, v13
	v_add_co_u32_e32 v16, vcc, s30, v16
	v_addc_co_u32_e32 v17, vcc, v15, v17, vcc
	global_load_dwordx2 v[16:17], v[16:17], off
	v_add_co_u32_e32 v8, vcc, 0x400, v8
	v_addc_co_u32_e32 v9, vcc, 0, v9, vcc
	v_fma_f32 v18, v4, v18, v14
	v_add_co_u32_e32 v10, vcc, 0x400, v10
	v_addc_co_u32_e32 v11, vcc, 0, v11, vcc
	s_waitcnt vmcnt(0)
	v_fmac_f32_e32 v5, v19, v16
	v_fmac_f32_e32 v6, v18, v16
	v_fma_f32 v5, -v18, v17, v5
	v_fmac_f32_e32 v6, v19, v17
	s_andn2_b64 exec, exec, s[12:13]
	s_cbranch_execnz .LBB82_39
; %bb.40:
	s_or_b64 exec, exec, s[12:13]
.LBB82_41:
	s_or_b64 exec, exec, s[10:11]
	s_movk_i32 s0, 0x80
	v_lshlrev_b32_e32 v7, 3, v0
	v_cmp_gt_u32_e32 vcc, s0, v0
	ds_write_b64 v7, v[5:6]
	s_waitcnt vmcnt(0) lgkmcnt(0)
	s_barrier
	s_and_saveexec_b64 s[0:1], vcc
	s_cbranch_execz .LBB82_43
; %bb.42:
	ds_read2st64_b64 v[8:11], v7 offset1:2
	s_waitcnt lgkmcnt(0)
	v_add_f32_e32 v5, v10, v8
	v_add_f32_e32 v6, v11, v9
	ds_write_b64 v7, v[5:6]
.LBB82_43:
	s_or_b64 exec, exec, s[0:1]
	v_cmp_gt_u32_e32 vcc, 64, v0
	s_waitcnt lgkmcnt(0)
	s_barrier
	s_and_saveexec_b64 s[0:1], vcc
	s_cbranch_execz .LBB82_45
; %bb.44:
	ds_read2st64_b64 v[8:11], v7 offset1:1
	s_waitcnt lgkmcnt(0)
	v_add_f32_e32 v5, v10, v8
	v_add_f32_e32 v6, v11, v9
	ds_write_b64 v7, v[5:6]
.LBB82_45:
	s_or_b64 exec, exec, s[0:1]
	v_cmp_gt_u32_e32 vcc, 32, v0
	s_waitcnt lgkmcnt(0)
	s_barrier
	s_and_saveexec_b64 s[0:1], vcc
	s_cbranch_execz .LBB82_47
; %bb.46:
	ds_read2_b64 v[8:11], v7 offset1:32
	s_waitcnt lgkmcnt(0)
	v_add_f32_e32 v5, v10, v8
	v_add_f32_e32 v6, v11, v9
	ds_write_b64 v7, v[5:6]
.LBB82_47:
	s_or_b64 exec, exec, s[0:1]
	v_cmp_gt_u32_e32 vcc, 16, v0
	s_waitcnt lgkmcnt(0)
	s_barrier
	s_and_saveexec_b64 s[0:1], vcc
	s_cbranch_execz .LBB82_49
; %bb.48:
	ds_read2_b64 v[8:11], v7 offset1:16
	s_waitcnt lgkmcnt(0)
	v_add_f32_e32 v5, v10, v8
	v_add_f32_e32 v6, v11, v9
	ds_write_b64 v7, v[5:6]
.LBB82_49:
	;; [unrolled: 13-line block ×5, first 2 shown]
	s_or_b64 exec, exec, s[0:1]
	v_cmp_eq_u32_e32 vcc, 0, v0
	s_waitcnt lgkmcnt(0)
	s_barrier
	s_and_saveexec_b64 s[0:1], vcc
	s_cbranch_execz .LBB82_57
; %bb.56:
	v_mov_b32_e32 v9, 0
	ds_read2_b64 v[5:8], v9 offset1:1
	s_waitcnt lgkmcnt(0)
	v_add_f32_e32 v5, v7, v5
	v_add_f32_e32 v6, v8, v6
	ds_write_b64 v9, v[5:6]
.LBB82_57:
	s_or_b64 exec, exec, s[0:1]
	s_waitcnt lgkmcnt(0)
	s_barrier
	s_and_saveexec_b64 s[0:1], vcc
	s_cbranch_execz .LBB82_70
; %bb.58:
	s_cmp_eq_u32 s33, 0
	s_cbranch_scc1 .LBB82_64
; %bb.59:
	s_ashr_i32 s7, s6, 31
	s_lshl_b64 s[6:7], s[6:7], 2
	s_add_u32 s6, s8, s6
	s_addc_u32 s7, s9, s7
	v_mov_b32_e32 v5, 0
	s_branch .LBB82_61
.LBB82_60:                              ;   in Loop: Header=BB82_61 Depth=1
	s_or_b64 exec, exec, s[8:9]
	s_waitcnt vmcnt(0)
	v_readfirstlane_b32 s8, v6
	v_cmp_eq_u32_e32 vcc, s8, v12
	s_cbranch_vccz .LBB82_63
.LBB82_61:                              ; =>This Inner Loop Header: Depth=1
	v_mbcnt_lo_u32_b32 v6, exec_lo, 0
	v_mbcnt_hi_u32_b32 v6, exec_hi, v6
	v_cmp_eq_u32_e32 vcc, 0, v6
                                        ; implicit-def: $vgpr6
	s_and_saveexec_b64 s[8:9], vcc
	s_cbranch_execz .LBB82_60
; %bb.62:                               ;   in Loop: Header=BB82_61 Depth=1
	global_load_dword v6, v5, s[6:7] glc
	s_branch .LBB82_60
.LBB82_63:
	v_mov_b32_e32 v5, 0
	global_load_ushort v6, v5, s[2:3]
	s_waitcnt vmcnt(0)
	v_xor_b32_e32 v6, 1, v6
	global_store_short v5, v6, s[2:3]
.LBB82_64:
	v_mov_b32_e32 v9, 0
	ds_read_b64 v[5:6], v9
	s_mov_b64 s[8:9], exec
	s_lshl_b64 s[2:3], s[40:41], 3
	v_mbcnt_lo_u32_b32 v7, s8, 0
	s_add_u32 s2, s22, s2
	v_mbcnt_hi_u32_b32 v7, s9, v7
	s_addc_u32 s3, s23, s3
	v_cmp_eq_u32_e32 vcc, 0, v7
	s_and_saveexec_b64 s[6:7], vcc
	s_cbranch_execz .LBB82_67
; %bb.65:
	global_load_dword v8, v9, s[2:3]
	s_bcnt1_i32_b64 s8, s[8:9]
	v_cvt_f32_ubyte0_e32 v7, s8
	s_waitcnt lgkmcnt(0)
	v_mul_f32_e32 v5, v5, v7
	s_mov_b64 s[8:9], 0
.LBB82_66:                              ; =>This Inner Loop Header: Depth=1
	s_waitcnt vmcnt(0)
	v_add_f32_e32 v7, v8, v5
	global_atomic_cmpswap v7, v9, v[7:8], s[2:3] glc
	s_waitcnt vmcnt(0)
	v_cmp_eq_u32_e32 vcc, v7, v8
	s_or_b64 s[8:9], vcc, s[8:9]
	v_mov_b32_e32 v8, v7
	s_andn2_b64 exec, exec, s[8:9]
	s_cbranch_execnz .LBB82_66
.LBB82_67:
	s_or_b64 exec, exec, s[6:7]
	s_mov_b64 s[6:7], exec
	s_waitcnt lgkmcnt(0)
	v_mbcnt_lo_u32_b32 v5, s6, 0
	v_mbcnt_hi_u32_b32 v5, s7, v5
	v_cmp_eq_u32_e32 vcc, 0, v5
	s_and_b64 s[8:9], exec, vcc
	s_mov_b64 exec, s[8:9]
	s_cbranch_execz .LBB82_70
; %bb.68:
	v_mov_b32_e32 v5, 0
	global_load_dword v7, v5, s[2:3] offset:4
	s_bcnt1_i32_b64 s6, s[6:7]
	v_cvt_f32_ubyte0_e32 v8, s6
	v_mul_f32_e32 v8, v6, v8
	s_mov_b64 s[6:7], 0
.LBB82_69:                              ; =>This Inner Loop Header: Depth=1
	s_waitcnt vmcnt(0)
	v_add_f32_e32 v6, v7, v8
	global_atomic_cmpswap v6, v5, v[6:7], s[2:3] offset:4 glc
	s_waitcnt vmcnt(0)
	v_cmp_eq_u32_e32 vcc, v6, v7
	s_or_b64 s[6:7], vcc, s[6:7]
	v_mov_b32_e32 v7, v6
	s_andn2_b64 exec, exec, s[6:7]
	s_cbranch_execnz .LBB82_69
.LBB82_70:
	s_or_b64 exec, exec, s[0:1]
.LBB82_71:
	s_mov_b64 s[0:1], 0
.LBB82_72:
	s_andn2_b64 vcc, exec, s[0:1]
	s_cbranch_vccnz .LBB82_116
; %bb.73:
	s_load_dword s0, s[4:5], 0x4
	v_subrev_u32_e32 v5, s38, v0
	s_waitcnt lgkmcnt(0)
	v_add_u32_e32 v5, s39, v5
	v_add_u32_e32 v6, 0x300, v5
	v_cmp_le_i32_e32 vcc, s0, v6
	s_and_saveexec_b64 s[0:1], vcc
	s_xor_b64 s[0:1], exec, s[0:1]
	s_cbranch_execz .LBB82_78
; %bb.74:
	s_ashr_i32 s3, s35, 31
	s_mov_b32 s2, s35
	s_lshl_b64 s[2:3], s[2:3], 2
	s_add_u32 s2, s24, s2
	s_addc_u32 s3, s25, s3
	s_load_dword s2, s[2:3], 0x0
	s_waitcnt lgkmcnt(0)
	s_sub_i32 s6, s2, s38
	v_cmp_gt_i32_e32 vcc, s6, v5
	s_and_saveexec_b64 s[2:3], vcc
	s_cbranch_execz .LBB82_77
; %bb.75:
	v_mul_f32_e32 v7, 0x80000000, v4
	v_mul_f32_e32 v8, 0, v3
	v_lshlrev_b32_e32 v9, 3, v0
	s_mov_b64 s[4:5], 0
	v_mov_b32_e32 v10, s29
	v_mov_b32_e32 v11, s27
	;; [unrolled: 1-line block ×3, first 2 shown]
.LBB82_76:                              ; =>This Inner Loop Header: Depth=1
	v_ashrrev_i32_e32 v6, 31, v5
	v_lshlrev_b64 v[13:14], 2, v[5:6]
	v_add_u32_e32 v5, 0x100, v5
	v_add_co_u32_e32 v15, vcc, s26, v13
	v_addc_co_u32_e32 v16, vcc, v11, v14, vcc
	global_load_dword v6, v[15:16], off
	v_add_co_u32_e32 v13, vcc, s28, v13
	v_addc_co_u32_e32 v14, vcc, v10, v14, vcc
	global_load_dword v15, v[13:14], off
	s_waitcnt vmcnt(1)
	v_subrev_u32_e32 v13, s38, v6
	v_ashrrev_i32_e32 v14, 31, v13
	v_lshlrev_b64 v[13:14], 3, v[13:14]
	v_add_co_u32_e32 v13, vcc, s30, v13
	v_addc_co_u32_e32 v14, vcc, v12, v14, vcc
	global_load_dwordx2 v[13:14], v[13:14], off
	s_waitcnt vmcnt(1)
	v_fma_f32 v6, v3, v15, v7
	v_fma_f32 v17, v4, v15, v8
	v_cmp_le_i32_e32 vcc, s6, v5
	s_or_b64 s[4:5], vcc, s[4:5]
	s_waitcnt vmcnt(0)
	v_mul_f32_e64 v15, v14, -v17
	v_mul_f32_e32 v16, v6, v14
	v_fmac_f32_e32 v15, v6, v13
	v_fmac_f32_e32 v16, v17, v13
	ds_write_b64 v9, v[15:16]
	v_add_u32_e32 v9, 0x800, v9
	s_andn2_b64 exec, exec, s[4:5]
	s_cbranch_execnz .LBB82_76
.LBB82_77:
	s_or_b64 exec, exec, s[2:3]
                                        ; implicit-def: $vgpr3_vgpr4
                                        ; implicit-def: $vgpr5
.LBB82_78:
	s_or_saveexec_b64 s[0:1], s[0:1]
	v_lshlrev_b32_e32 v9, 3, v0
	s_xor_b64 exec, exec, s[0:1]
	s_cbranch_execz .LBB82_80
; %bb.79:
	v_ashrrev_i32_e32 v6, 31, v5
	v_lshlrev_b64 v[5:6], 2, v[5:6]
	v_mov_b32_e32 v8, s27
	v_add_co_u32_e32 v7, vcc, s26, v5
	v_addc_co_u32_e32 v8, vcc, v8, v6, vcc
	global_load_dword v10, v[7:8], off
	global_load_dword v11, v[7:8], off offset:1024
	global_load_dword v12, v[7:8], off offset:2048
	;; [unrolled: 1-line block ×3, first 2 shown]
	v_mov_b32_e32 v7, s29
	v_add_co_u32_e32 v5, vcc, s28, v5
	v_addc_co_u32_e32 v6, vcc, v7, v6, vcc
	global_load_dword v21, v[5:6], off
	global_load_dword v22, v[5:6], off offset:1024
	global_load_dword v23, v[5:6], off offset:2048
	;; [unrolled: 1-line block ×3, first 2 shown]
	v_mov_b32_e32 v14, s31
	v_mov_b32_e32 v15, s31
	;; [unrolled: 1-line block ×4, first 2 shown]
	v_mul_f32_e32 v25, 0, v3
	s_waitcnt vmcnt(7)
	v_subrev_u32_e32 v5, s38, v10
	v_ashrrev_i32_e32 v6, 31, v5
	s_waitcnt vmcnt(6)
	v_subrev_u32_e32 v7, s38, v11
	v_lshlrev_b64 v[5:6], 3, v[5:6]
	v_ashrrev_i32_e32 v8, 31, v7
	s_waitcnt vmcnt(5)
	v_subrev_u32_e32 v10, s38, v12
	v_lshlrev_b64 v[7:8], 3, v[7:8]
	v_add_co_u32_e32 v5, vcc, s30, v5
	v_ashrrev_i32_e32 v11, 31, v10
	v_addc_co_u32_e32 v6, vcc, v14, v6, vcc
	s_waitcnt vmcnt(4)
	v_subrev_u32_e32 v12, s38, v13
	v_lshlrev_b64 v[10:11], 3, v[10:11]
	v_add_co_u32_e32 v7, vcc, s30, v7
	v_ashrrev_i32_e32 v13, 31, v12
	v_addc_co_u32_e32 v8, vcc, v15, v8, vcc
	v_lshlrev_b64 v[12:13], 3, v[12:13]
	v_add_co_u32_e32 v10, vcc, s30, v10
	v_addc_co_u32_e32 v11, vcc, v16, v11, vcc
	global_load_dwordx2 v[14:15], v[5:6], off
	global_load_dwordx2 v[16:17], v[7:8], off
	global_load_dwordx2 v[18:19], v[10:11], off
	v_add_co_u32_e32 v5, vcc, s30, v12
	v_addc_co_u32_e32 v6, vcc, v20, v13, vcc
	global_load_dwordx2 v[5:6], v[5:6], off
	v_mul_f32_e32 v20, 0x80000000, v4
	s_waitcnt vmcnt(7)
	v_fma_f32 v26, v3, v21, v20
	v_fma_f32 v21, v4, v21, v25
	s_waitcnt vmcnt(6)
	v_fma_f32 v27, v3, v22, v20
	v_fma_f32 v22, v4, v22, v25
	s_waitcnt vmcnt(5)
	v_fma_f32 v28, v3, v23, v20
	v_fma_f32 v23, v4, v23, v25
	s_waitcnt vmcnt(4)
	v_fmac_f32_e32 v20, v3, v24
	v_fmac_f32_e32 v25, v4, v24
	s_waitcnt vmcnt(3)
	v_mul_f32_e64 v3, v15, -v21
	v_mul_f32_e32 v4, v26, v15
	s_waitcnt vmcnt(2)
	v_mul_f32_e64 v7, v17, -v22
	v_mul_f32_e32 v8, v27, v17
	;; [unrolled: 3-line block ×3, first 2 shown]
	v_fmac_f32_e32 v3, v26, v14
	s_waitcnt vmcnt(0)
	v_mul_f32_e64 v12, v6, -v25
	v_mul_f32_e32 v13, v20, v6
	v_fmac_f32_e32 v4, v21, v14
	v_fmac_f32_e32 v7, v27, v16
	;; [unrolled: 1-line block ×7, first 2 shown]
	ds_write2st64_b64 v9, v[3:4], v[7:8] offset1:4
	ds_write2st64_b64 v9, v[10:11], v[12:13] offset0:8 offset1:12
.LBB82_80:
	s_or_b64 exec, exec, s[0:1]
	s_cmp_lt_i32 s33, 2
	s_mov_b64 s[0:1], -1
	s_waitcnt vmcnt(0) lgkmcnt(0)
	s_barrier
	s_cbranch_scc0 .LBB82_91
; %bb.81:
	v_add_u32_e32 v3, s34, v0
	v_cmp_gt_i32_e32 vcc, s35, v3
	s_and_saveexec_b64 s[2:3], vcc
	s_cbranch_execz .LBB82_90
; %bb.82:
	v_cmp_neq_f32_e32 vcc, 0, v1
	v_cmp_neq_f32_e64 s[0:1], 0, v2
	s_lshl_b32 s4, s39, 3
	s_or_b64 s[0:1], vcc, s[0:1]
	s_sub_i32 s10, 0, s4
	s_mov_b64 s[4:5], 0
	v_mov_b32_e32 v10, s25
	v_mov_b32_e32 v11, s23
	s_branch .LBB82_84
.LBB82_83:                              ;   in Loop: Header=BB82_84 Depth=1
	s_or_b64 exec, exec, s[6:7]
	v_add_co_u32_e32 v7, vcc, s22, v7
	v_addc_co_u32_e32 v8, vcc, v11, v8, vcc
	v_add_u32_e32 v3, 0x100, v3
	v_cmp_le_i32_e32 vcc, s35, v3
	s_or_b64 s[4:5], vcc, s[4:5]
	global_store_dwordx2 v[7:8], v[5:6], off
	s_andn2_b64 exec, exec, s[4:5]
	s_cbranch_execz .LBB82_90
.LBB82_84:                              ; =>This Loop Header: Depth=1
                                        ;     Child Loop BB82_86 Depth 2
	v_ashrrev_i32_e32 v4, 31, v3
	v_lshlrev_b64 v[5:6], 2, v[3:4]
	v_add_co_u32_e32 v5, vcc, s24, v5
	v_addc_co_u32_e32 v6, vcc, v10, v6, vcc
	global_load_dwordx2 v[7:8], v[5:6], off
	v_mov_b32_e32 v6, 0
	v_mov_b32_e32 v5, 0
	s_waitcnt vmcnt(0)
	v_cmp_lt_i32_e32 vcc, v7, v8
	s_and_saveexec_b64 s[6:7], vcc
	s_cbranch_execz .LBB82_88
; %bb.85:                               ;   in Loop: Header=BB82_84 Depth=1
	v_mov_b32_e32 v6, 0
	v_subrev_u32_e32 v8, s39, v8
	v_subrev_u32_e32 v12, s39, v7
	v_lshl_add_u32 v7, v7, 3, s10
	s_mov_b64 s[8:9], 0
	v_mov_b32_e32 v5, v6
.LBB82_86:                              ;   Parent Loop BB82_84 Depth=1
                                        ; =>  This Inner Loop Header: Depth=2
	ds_read_b64 v[13:14], v7
	v_add_u32_e32 v12, 1, v12
	v_cmp_ge_i32_e32 vcc, v12, v8
	v_add_u32_e32 v7, 8, v7
	s_or_b64 s[8:9], vcc, s[8:9]
	s_waitcnt lgkmcnt(0)
	v_add_f32_e32 v5, v5, v13
	v_add_f32_e32 v6, v6, v14
	s_andn2_b64 exec, exec, s[8:9]
	s_cbranch_execnz .LBB82_86
; %bb.87:                               ;   in Loop: Header=BB82_84 Depth=1
	s_or_b64 exec, exec, s[8:9]
.LBB82_88:                              ;   in Loop: Header=BB82_84 Depth=1
	s_or_b64 exec, exec, s[6:7]
	v_lshlrev_b64 v[7:8], 3, v[3:4]
	s_and_saveexec_b64 s[6:7], s[0:1]
	s_cbranch_execz .LBB82_83
; %bb.89:                               ;   in Loop: Header=BB82_84 Depth=1
	v_mov_b32_e32 v4, s23
	v_add_co_u32_e32 v12, vcc, s22, v7
	v_addc_co_u32_e32 v13, vcc, v4, v8, vcc
	global_load_dwordx2 v[12:13], v[12:13], off
	s_waitcnt vmcnt(0)
	v_fmac_f32_e32 v5, v1, v12
	v_fmac_f32_e32 v6, v2, v12
	v_fma_f32 v5, -v2, v13, v5
	v_fmac_f32_e32 v6, v1, v13
	s_branch .LBB82_83
.LBB82_90:
	s_or_b64 exec, exec, s[2:3]
	s_mov_b64 s[0:1], 0
.LBB82_91:
	s_andn2_b64 vcc, exec, s[0:1]
	s_cbranch_vccnz .LBB82_116
; %bb.92:
	s_flbit_i32_b32 s0, s33
	s_xor_b32 s0, s0, 31
	v_lshrrev_b32_e32 v6, s0, v0
	v_add_u32_e32 v3, s34, v6
	s_add_i32 s0, s33, -1
	v_mov_b32_e32 v4, 0
	v_and_b32_e32 v0, s0, v0
	v_cmp_le_i32_e32 vcc, s35, v3
	v_cmp_gt_i32_e64 s[0:1], s35, v3
	v_mov_b32_e32 v5, v4
	s_and_saveexec_b64 s[2:3], s[0:1]
	s_cbranch_execz .LBB82_98
; %bb.93:
	v_lshlrev_b32_e32 v4, 2, v6
	global_load_dwordx2 v[7:8], v4, s[36:37]
	v_subrev_u32_e32 v4, s39, v0
	v_mov_b32_e32 v5, 0
	s_waitcnt vmcnt(0)
	v_subrev_u32_e32 v6, s39, v8
	v_add_u32_e32 v7, v7, v4
	v_cmp_lt_i32_e64 s[0:1], v7, v6
	v_mov_b32_e32 v4, 0
	s_and_saveexec_b64 s[4:5], s[0:1]
	s_cbranch_execz .LBB82_97
; %bb.94:
	v_mov_b32_e32 v5, 0
	v_lshlrev_b32_e32 v8, 3, v7
	s_lshl_b32 s8, s33, 3
	s_mov_b64 s[6:7], 0
	v_mov_b32_e32 v4, v5
.LBB82_95:                              ; =>This Inner Loop Header: Depth=1
	ds_read_b64 v[10:11], v8
	v_add_u32_e32 v7, s33, v7
	v_cmp_ge_i32_e64 s[0:1], v7, v6
	v_add_u32_e32 v8, s8, v8
	s_or_b64 s[6:7], s[0:1], s[6:7]
	s_waitcnt lgkmcnt(0)
	v_add_f32_e32 v4, v4, v10
	v_add_f32_e32 v5, v5, v11
	s_andn2_b64 exec, exec, s[6:7]
	s_cbranch_execnz .LBB82_95
; %bb.96:
	s_or_b64 exec, exec, s[6:7]
.LBB82_97:
	s_or_b64 exec, exec, s[4:5]
.LBB82_98:
	s_or_b64 exec, exec, s[2:3]
	s_cmpk_lt_u32 s33, 0x81
	s_waitcnt vmcnt(0)
	s_barrier
	ds_write_b64 v9, v[4:5]
	s_waitcnt lgkmcnt(0)
	s_barrier
	s_cbranch_scc1 .LBB82_100
; %bb.99:
	ds_read_b64 v[6:7], v9 offset:1024
	s_waitcnt lgkmcnt(0)
	s_barrier
	v_add_f32_e32 v4, v4, v6
	v_add_f32_e32 v5, v5, v7
	ds_write_b64 v9, v[4:5]
.LBB82_100:
	s_cmpk_lt_u32 s33, 0x41
	s_waitcnt lgkmcnt(0)
	s_barrier
	s_cbranch_scc1 .LBB82_102
; %bb.101:
	ds_read_b64 v[6:7], v9 offset:512
	s_waitcnt lgkmcnt(0)
	s_barrier
	v_add_f32_e32 v4, v4, v6
	v_add_f32_e32 v5, v5, v7
	ds_write_b64 v9, v[4:5]
.LBB82_102:
	s_cmp_lt_u32 s33, 33
	s_waitcnt lgkmcnt(0)
	s_barrier
	s_cbranch_scc1 .LBB82_104
; %bb.103:
	ds_read_b64 v[6:7], v9 offset:256
	s_waitcnt lgkmcnt(0)
	s_barrier
	v_add_f32_e32 v4, v4, v6
	v_add_f32_e32 v5, v5, v7
	ds_write_b64 v9, v[4:5]
.LBB82_104:
	s_cmp_lt_u32 s33, 17
	;; [unrolled: 12-line block ×4, first 2 shown]
	s_waitcnt lgkmcnt(0)
	s_barrier
	s_cbranch_scc1 .LBB82_110
; %bb.109:
	ds_read_b64 v[6:7], v9 offset:32
	s_waitcnt lgkmcnt(0)
	s_barrier
	v_add_f32_e32 v4, v4, v6
	v_add_f32_e32 v5, v5, v7
	ds_write_b64 v9, v[4:5]
.LBB82_110:
	s_cmp_eq_u32 s33, 2
	s_waitcnt lgkmcnt(0)
	s_barrier
	s_cbranch_scc1 .LBB82_112
; %bb.111:
	ds_read_b64 v[6:7], v9 offset:16
	s_waitcnt lgkmcnt(0)
	s_barrier
	v_add_f32_e32 v4, v4, v6
	v_add_f32_e32 v5, v5, v7
	ds_write_b64 v9, v[4:5]
.LBB82_112:
	s_waitcnt lgkmcnt(0)
	s_barrier
	ds_read_b64 v[6:7], v9 offset:8
	v_cmp_eq_u32_e64 s[0:1], 0, v0
	s_xor_b64 s[2:3], vcc, -1
	s_and_b64 s[0:1], s[0:1], s[2:3]
	s_waitcnt lgkmcnt(0)
	v_add_f32_e32 v6, v4, v6
	v_add_f32_e32 v7, v5, v7
	s_barrier
	ds_write_b64 v9, v[6:7]
	s_and_b64 exec, exec, s[0:1]
	s_cbranch_execz .LBB82_116
; %bb.113:
	v_ashrrev_i32_e32 v4, 31, v3
	v_cmp_neq_f32_e32 vcc, 0, v1
	v_cmp_neq_f32_e64 s[0:1], 0, v2
	v_lshlrev_b64 v[3:4], 3, v[3:4]
	s_or_b64 s[2:3], vcc, s[0:1]
	s_and_saveexec_b64 s[0:1], s[2:3]
	s_cbranch_execz .LBB82_115
; %bb.114:
	v_mov_b32_e32 v0, s23
	v_add_co_u32_e32 v8, vcc, s22, v3
	v_addc_co_u32_e32 v9, vcc, v0, v4, vcc
	global_load_dwordx2 v[8:9], v[8:9], off
	s_waitcnt vmcnt(0)
	v_fmac_f32_e32 v6, v1, v8
	v_fmac_f32_e32 v7, v2, v8
	v_fma_f32 v6, -v2, v9, v6
	v_fmac_f32_e32 v7, v1, v9
.LBB82_115:
	s_or_b64 exec, exec, s[0:1]
	v_mov_b32_e32 v1, s23
	v_add_co_u32_e32 v0, vcc, s22, v3
	v_addc_co_u32_e32 v1, vcc, v1, v4, vcc
	global_store_dwordx2 v[0:1], v[6:7], off
.LBB82_116:
	s_endpgm
	.section	.rodata,"a",@progbits
	.p2align	6, 0x0
	.amdhsa_kernel _ZN9rocsparseL22csrmvn_adaptive_kernelIiif21rocsparse_complex_numIfES2_S2_EEvbT_PKS3_PjPKT0_NS_24const_host_device_scalarIT4_EES5_S9_PKT1_PKT2_SC_PT3_21rocsparse_index_base_b
		.amdhsa_group_segment_fixed_size 8192
		.amdhsa_private_segment_fixed_size 0
		.amdhsa_kernarg_size 96
		.amdhsa_user_sgpr_count 6
		.amdhsa_user_sgpr_private_segment_buffer 1
		.amdhsa_user_sgpr_dispatch_ptr 0
		.amdhsa_user_sgpr_queue_ptr 0
		.amdhsa_user_sgpr_kernarg_segment_ptr 1
		.amdhsa_user_sgpr_dispatch_id 0
		.amdhsa_user_sgpr_flat_scratch_init 0
		.amdhsa_user_sgpr_private_segment_size 0
		.amdhsa_uses_dynamic_stack 0
		.amdhsa_system_sgpr_private_segment_wavefront_offset 0
		.amdhsa_system_sgpr_workgroup_id_x 1
		.amdhsa_system_sgpr_workgroup_id_y 0
		.amdhsa_system_sgpr_workgroup_id_z 0
		.amdhsa_system_sgpr_workgroup_info 0
		.amdhsa_system_vgpr_workitem_id 0
		.amdhsa_next_free_vgpr 29
		.amdhsa_next_free_sgpr 61
		.amdhsa_reserve_vcc 1
		.amdhsa_reserve_flat_scratch 0
		.amdhsa_float_round_mode_32 0
		.amdhsa_float_round_mode_16_64 0
		.amdhsa_float_denorm_mode_32 3
		.amdhsa_float_denorm_mode_16_64 3
		.amdhsa_dx10_clamp 1
		.amdhsa_ieee_mode 1
		.amdhsa_fp16_overflow 0
		.amdhsa_exception_fp_ieee_invalid_op 0
		.amdhsa_exception_fp_denorm_src 0
		.amdhsa_exception_fp_ieee_div_zero 0
		.amdhsa_exception_fp_ieee_overflow 0
		.amdhsa_exception_fp_ieee_underflow 0
		.amdhsa_exception_fp_ieee_inexact 0
		.amdhsa_exception_int_div_zero 0
	.end_amdhsa_kernel
	.section	.text._ZN9rocsparseL22csrmvn_adaptive_kernelIiif21rocsparse_complex_numIfES2_S2_EEvbT_PKS3_PjPKT0_NS_24const_host_device_scalarIT4_EES5_S9_PKT1_PKT2_SC_PT3_21rocsparse_index_base_b,"axG",@progbits,_ZN9rocsparseL22csrmvn_adaptive_kernelIiif21rocsparse_complex_numIfES2_S2_EEvbT_PKS3_PjPKT0_NS_24const_host_device_scalarIT4_EES5_S9_PKT1_PKT2_SC_PT3_21rocsparse_index_base_b,comdat
.Lfunc_end82:
	.size	_ZN9rocsparseL22csrmvn_adaptive_kernelIiif21rocsparse_complex_numIfES2_S2_EEvbT_PKS3_PjPKT0_NS_24const_host_device_scalarIT4_EES5_S9_PKT1_PKT2_SC_PT3_21rocsparse_index_base_b, .Lfunc_end82-_ZN9rocsparseL22csrmvn_adaptive_kernelIiif21rocsparse_complex_numIfES2_S2_EEvbT_PKS3_PjPKT0_NS_24const_host_device_scalarIT4_EES5_S9_PKT1_PKT2_SC_PT3_21rocsparse_index_base_b
                                        ; -- End function
	.set _ZN9rocsparseL22csrmvn_adaptive_kernelIiif21rocsparse_complex_numIfES2_S2_EEvbT_PKS3_PjPKT0_NS_24const_host_device_scalarIT4_EES5_S9_PKT1_PKT2_SC_PT3_21rocsparse_index_base_b.num_vgpr, 29
	.set _ZN9rocsparseL22csrmvn_adaptive_kernelIiif21rocsparse_complex_numIfES2_S2_EEvbT_PKS3_PjPKT0_NS_24const_host_device_scalarIT4_EES5_S9_PKT1_PKT2_SC_PT3_21rocsparse_index_base_b.num_agpr, 0
	.set _ZN9rocsparseL22csrmvn_adaptive_kernelIiif21rocsparse_complex_numIfES2_S2_EEvbT_PKS3_PjPKT0_NS_24const_host_device_scalarIT4_EES5_S9_PKT1_PKT2_SC_PT3_21rocsparse_index_base_b.numbered_sgpr, 52
	.set _ZN9rocsparseL22csrmvn_adaptive_kernelIiif21rocsparse_complex_numIfES2_S2_EEvbT_PKS3_PjPKT0_NS_24const_host_device_scalarIT4_EES5_S9_PKT1_PKT2_SC_PT3_21rocsparse_index_base_b.num_named_barrier, 0
	.set _ZN9rocsparseL22csrmvn_adaptive_kernelIiif21rocsparse_complex_numIfES2_S2_EEvbT_PKS3_PjPKT0_NS_24const_host_device_scalarIT4_EES5_S9_PKT1_PKT2_SC_PT3_21rocsparse_index_base_b.private_seg_size, 0
	.set _ZN9rocsparseL22csrmvn_adaptive_kernelIiif21rocsparse_complex_numIfES2_S2_EEvbT_PKS3_PjPKT0_NS_24const_host_device_scalarIT4_EES5_S9_PKT1_PKT2_SC_PT3_21rocsparse_index_base_b.uses_vcc, 1
	.set _ZN9rocsparseL22csrmvn_adaptive_kernelIiif21rocsparse_complex_numIfES2_S2_EEvbT_PKS3_PjPKT0_NS_24const_host_device_scalarIT4_EES5_S9_PKT1_PKT2_SC_PT3_21rocsparse_index_base_b.uses_flat_scratch, 0
	.set _ZN9rocsparseL22csrmvn_adaptive_kernelIiif21rocsparse_complex_numIfES2_S2_EEvbT_PKS3_PjPKT0_NS_24const_host_device_scalarIT4_EES5_S9_PKT1_PKT2_SC_PT3_21rocsparse_index_base_b.has_dyn_sized_stack, 0
	.set _ZN9rocsparseL22csrmvn_adaptive_kernelIiif21rocsparse_complex_numIfES2_S2_EEvbT_PKS3_PjPKT0_NS_24const_host_device_scalarIT4_EES5_S9_PKT1_PKT2_SC_PT3_21rocsparse_index_base_b.has_recursion, 0
	.set _ZN9rocsparseL22csrmvn_adaptive_kernelIiif21rocsparse_complex_numIfES2_S2_EEvbT_PKS3_PjPKT0_NS_24const_host_device_scalarIT4_EES5_S9_PKT1_PKT2_SC_PT3_21rocsparse_index_base_b.has_indirect_call, 0
	.section	.AMDGPU.csdata,"",@progbits
; Kernel info:
; codeLenInByte = 4316
; TotalNumSgprs: 56
; NumVgprs: 29
; ScratchSize: 0
; MemoryBound: 0
; FloatMode: 240
; IeeeMode: 1
; LDSByteSize: 8192 bytes/workgroup (compile time only)
; SGPRBlocks: 8
; VGPRBlocks: 7
; NumSGPRsForWavesPerEU: 65
; NumVGPRsForWavesPerEU: 29
; Occupancy: 8
; WaveLimiterHint : 1
; COMPUTE_PGM_RSRC2:SCRATCH_EN: 0
; COMPUTE_PGM_RSRC2:USER_SGPR: 6
; COMPUTE_PGM_RSRC2:TRAP_HANDLER: 0
; COMPUTE_PGM_RSRC2:TGID_X_EN: 1
; COMPUTE_PGM_RSRC2:TGID_Y_EN: 0
; COMPUTE_PGM_RSRC2:TGID_Z_EN: 0
; COMPUTE_PGM_RSRC2:TIDIG_COMP_CNT: 0
	.section	.text._ZN9rocsparseL27csrmvn_symm_adaptive_kernelIiif21rocsparse_complex_numIfES2_S2_EEvbT_S3_PKS3_NS_24const_host_device_scalarIT4_EES5_PKT0_PKT1_PKT2_S8_PT3_21rocsparse_index_base_b,"axG",@progbits,_ZN9rocsparseL27csrmvn_symm_adaptive_kernelIiif21rocsparse_complex_numIfES2_S2_EEvbT_S3_PKS3_NS_24const_host_device_scalarIT4_EES5_PKT0_PKT1_PKT2_S8_PT3_21rocsparse_index_base_b,comdat
	.globl	_ZN9rocsparseL27csrmvn_symm_adaptive_kernelIiif21rocsparse_complex_numIfES2_S2_EEvbT_S3_PKS3_NS_24const_host_device_scalarIT4_EES5_PKT0_PKT1_PKT2_S8_PT3_21rocsparse_index_base_b ; -- Begin function _ZN9rocsparseL27csrmvn_symm_adaptive_kernelIiif21rocsparse_complex_numIfES2_S2_EEvbT_S3_PKS3_NS_24const_host_device_scalarIT4_EES5_PKT0_PKT1_PKT2_S8_PT3_21rocsparse_index_base_b
	.p2align	8
	.type	_ZN9rocsparseL27csrmvn_symm_adaptive_kernelIiif21rocsparse_complex_numIfES2_S2_EEvbT_S3_PKS3_NS_24const_host_device_scalarIT4_EES5_PKT0_PKT1_PKT2_S8_PT3_21rocsparse_index_base_b,@function
_ZN9rocsparseL27csrmvn_symm_adaptive_kernelIiif21rocsparse_complex_numIfES2_S2_EEvbT_S3_PKS3_NS_24const_host_device_scalarIT4_EES5_PKT0_PKT1_PKT2_S8_PT3_21rocsparse_index_base_b: ; @_ZN9rocsparseL27csrmvn_symm_adaptive_kernelIiif21rocsparse_complex_numIfES2_S2_EEvbT_S3_PKS3_NS_24const_host_device_scalarIT4_EES5_PKT0_PKT1_PKT2_S8_PT3_21rocsparse_index_base_b
; %bb.0:
	s_load_dwordx2 s[24:25], s[4:5], 0x50
	s_load_dwordx2 s[0:1], s[4:5], 0x18
	s_add_u32 s7, s4, 24
	s_addc_u32 s10, s5, 0
	s_waitcnt lgkmcnt(0)
	s_bitcmp1_b32 s25, 0
	s_cselect_b64 s[8:9], -1, 0
	s_and_b64 s[2:3], s[8:9], exec
	s_cselect_b32 s1, s10, s1
	s_cselect_b32 s0, s7, s0
	v_mov_b32_e32 v1, s0
	v_mov_b32_e32 v2, s1
	flat_load_dwordx2 v[3:4], v[1:2]
	s_waitcnt vmcnt(0) lgkmcnt(0)
	v_cmp_eq_f32_e32 vcc, 0, v3
	v_cmp_eq_f32_e64 s[0:1], 0, v4
	s_and_b64 s[10:11], vcc, s[0:1]
	s_mov_b64 s[0:1], -1
	s_and_saveexec_b64 s[2:3], s[10:11]
	s_cbranch_execz .LBB83_2
; %bb.1:
	s_load_dwordx2 s[0:1], s[4:5], 0x40
	s_add_u32 s7, s4, 64
	s_addc_u32 s10, s5, 0
	s_and_b64 s[8:9], s[8:9], exec
	s_waitcnt lgkmcnt(0)
	s_cselect_b32 s1, s10, s1
	s_cselect_b32 s0, s7, s0
	v_mov_b32_e32 v1, s0
	v_mov_b32_e32 v2, s1
	flat_load_dwordx2 v[1:2], v[1:2]
	s_waitcnt vmcnt(0) lgkmcnt(0)
	v_cmp_neq_f32_e32 vcc, 1.0, v1
	v_cmp_neq_f32_e64 s[0:1], 0, v2
	s_or_b64 s[0:1], vcc, s[0:1]
	s_orn2_b64 s[0:1], s[0:1], exec
.LBB83_2:
	s_or_b64 exec, exec, s[2:3]
	s_and_saveexec_b64 s[2:3], s[0:1]
	s_cbranch_execz .LBB83_171
; %bb.3:
	s_load_dwordx2 s[0:1], s[4:5], 0x10
	s_mov_b32 s2, 0
	s_mov_b32 s3, s2
	v_mov_b32_e32 v1, s2
	s_ashr_i32 s7, s6, 31
	v_mov_b32_e32 v2, s3
	s_lshl_b64 s[2:3], s[6:7], 2
	s_waitcnt lgkmcnt(0)
	s_add_u32 s0, s0, s2
	v_lshlrev_b32_e32 v11, 3, v0
	s_addc_u32 s1, s1, s3
	ds_write2st64_b64 v11, v[1:2], v[1:2] offset1:4
	ds_write2st64_b64 v11, v[1:2], v[1:2] offset0:8 offset1:12
	s_waitcnt lgkmcnt(0)
	s_barrier
	s_load_dwordx2 s[22:23], s[0:1], 0x0
	s_load_dwordx8 s[12:19], s[4:5], 0x20
	s_load_dwordx2 s[20:21], s[4:5], 0x48
	s_mov_b64 s[0:1], -1
	v_subrev_u32_e32 v12, s24, v0
	s_waitcnt lgkmcnt(0)
	s_sub_i32 s25, s23, s22
	s_cmp_gt_i32 s25, 2
	s_cbranch_scc1 .LBB83_45
; %bb.4:
	s_cmp_le_i32 s23, s22
	s_cbranch_scc1 .LBB83_32
; %bb.5:
	v_cmp_gt_u32_e64 s[0:1], 64, v0
	v_cmp_gt_u32_e64 s[2:3], 16, v0
	;; [unrolled: 1-line block ×3, first 2 shown]
	v_cmp_eq_u32_e64 s[8:9], 0, v0
	v_mov_b32_e32 v13, 0
	s_mov_b32 s26, s22
	s_branch .LBB83_7
.LBB83_6:                               ;   in Loop: Header=BB83_7 Depth=1
	s_or_b64 exec, exec, s[10:11]
	s_add_i32 s26, s26, 1
	s_cmp_ge_i32 s26, s23
	s_cbranch_scc1 .LBB83_32
.LBB83_7:                               ; =>This Loop Header: Depth=1
                                        ;     Child Loop BB83_9 Depth 2
                                        ;     Child Loop BB83_21 Depth 2
	;; [unrolled: 1-line block ×5, first 2 shown]
	s_ashr_i32 s27, s26, 31
	s_lshl_b64 s[10:11], s[26:27], 2
	s_add_u32 s10, s12, s10
	s_addc_u32 s11, s13, s11
	s_load_dwordx2 s[28:29], s[10:11], 0x0
	v_mov_b32_e32 v6, 0
	v_mov_b32_e32 v5, 0
	s_waitcnt lgkmcnt(0)
	s_sub_i32 s33, s29, s24
	v_add_u32_e32 v1, s28, v12
	v_cmp_gt_i32_e32 vcc, s33, v1
	s_and_saveexec_b64 s[28:29], vcc
	s_cbranch_execz .LBB83_11
; %bb.8:                                ;   in Loop: Header=BB83_7 Depth=1
	v_ashrrev_i32_e32 v2, 31, v1
	v_lshlrev_b64 v[5:6], 2, v[1:2]
	v_mov_b32_e32 v2, s15
	v_add_co_u32_e32 v7, vcc, s14, v5
	v_addc_co_u32_e32 v8, vcc, v2, v6, vcc
	v_mov_b32_e32 v2, s17
	v_add_co_u32_e32 v9, vcc, s16, v5
	v_addc_co_u32_e32 v10, vcc, v2, v6, vcc
	v_mov_b32_e32 v6, 0
	s_mov_b64 s[30:31], 0
	v_mov_b32_e32 v5, v6
.LBB83_9:                               ;   Parent Loop BB83_7 Depth=1
                                        ; =>  This Inner Loop Header: Depth=2
	global_load_dword v2, v[7:8], off
	global_load_dword v16, v[9:10], off
	v_mov_b32_e32 v17, s19
	v_add_u32_e32 v1, 0x100, v1
	v_cmp_le_i32_e64 s[10:11], s33, v1
	s_or_b64 s[30:31], s[10:11], s[30:31]
	s_waitcnt vmcnt(1)
	v_subrev_u32_e32 v14, s24, v2
	v_ashrrev_i32_e32 v15, 31, v14
	v_lshlrev_b64 v[14:15], 3, v[14:15]
	v_add_co_u32_e32 v14, vcc, s18, v14
	v_addc_co_u32_e32 v15, vcc, v17, v15, vcc
	global_load_dwordx2 v[14:15], v[14:15], off
	v_add_co_u32_e32 v7, vcc, 0x400, v7
	v_addc_co_u32_e32 v8, vcc, 0, v8, vcc
	v_add_co_u32_e32 v9, vcc, 0x400, v9
	v_addc_co_u32_e32 v10, vcc, 0, v10, vcc
	s_waitcnt vmcnt(0)
	v_fmac_f32_e32 v5, v16, v14
	v_fmac_f32_e32 v6, 0, v14
	;; [unrolled: 1-line block ×4, first 2 shown]
	s_andn2_b64 exec, exec, s[30:31]
	s_cbranch_execnz .LBB83_9
; %bb.10:                               ;   in Loop: Header=BB83_7 Depth=1
	s_or_b64 exec, exec, s[30:31]
.LBB83_11:                              ;   in Loop: Header=BB83_7 Depth=1
	s_or_b64 exec, exec, s[28:29]
	ds_write_b64 v11, v[5:6]
	s_waitcnt lgkmcnt(0)
	s_barrier
	ds_read2st64_b64 v[5:8], v11 offset1:4
	ds_read2st64_b64 v[14:17], v11 offset0:8 offset1:12
	s_waitcnt lgkmcnt(0)
	v_add_f32_e32 v1, v14, v7
	v_add_f32_e32 v2, v15, v8
	v_add_f32_e32 v1, v16, v1
	v_add_f32_e32 v2, v17, v2
	v_add_f32_e32 v1, v1, v5
	v_add_f32_e32 v2, v2, v6
	ds_write_b64 v11, v[1:2]
	s_waitcnt lgkmcnt(0)
	s_barrier
	s_and_saveexec_b64 s[10:11], s[0:1]
	s_cbranch_execz .LBB83_13
; %bb.12:                               ;   in Loop: Header=BB83_7 Depth=1
	ds_read2st64_b64 v[5:8], v11 offset1:1
	ds_read2st64_b64 v[14:17], v11 offset0:2 offset1:3
	s_waitcnt lgkmcnt(0)
	v_add_f32_e32 v1, v14, v7
	v_add_f32_e32 v2, v15, v8
	;; [unrolled: 1-line block ×6, first 2 shown]
	ds_write_b64 v11, v[1:2]
.LBB83_13:                              ;   in Loop: Header=BB83_7 Depth=1
	s_or_b64 exec, exec, s[10:11]
	s_waitcnt lgkmcnt(0)
	s_barrier
	s_and_saveexec_b64 s[10:11], s[2:3]
	s_cbranch_execz .LBB83_15
; %bb.14:                               ;   in Loop: Header=BB83_7 Depth=1
	ds_read2_b64 v[5:8], v11 offset1:16
	ds_read2_b64 v[14:17], v11 offset0:32 offset1:48
	s_waitcnt lgkmcnt(0)
	v_add_f32_e32 v1, v14, v7
	v_add_f32_e32 v2, v15, v8
	v_add_f32_e32 v1, v16, v1
	v_add_f32_e32 v2, v17, v2
	v_add_f32_e32 v1, v1, v5
	v_add_f32_e32 v2, v2, v6
	ds_write_b64 v11, v[1:2]
.LBB83_15:                              ;   in Loop: Header=BB83_7 Depth=1
	s_or_b64 exec, exec, s[10:11]
	s_waitcnt lgkmcnt(0)
	s_barrier
	s_and_saveexec_b64 s[10:11], s[6:7]
	s_cbranch_execz .LBB83_17
; %bb.16:                               ;   in Loop: Header=BB83_7 Depth=1
	ds_read2_b64 v[5:8], v11 offset1:4
	ds_read2_b64 v[14:17], v11 offset0:8 offset1:12
	s_waitcnt lgkmcnt(0)
	v_add_f32_e32 v1, v14, v7
	v_add_f32_e32 v2, v15, v8
	v_add_f32_e32 v1, v16, v1
	v_add_f32_e32 v2, v17, v2
	v_add_f32_e32 v1, v1, v5
	v_add_f32_e32 v2, v2, v6
	ds_write_b64 v11, v[1:2]
.LBB83_17:                              ;   in Loop: Header=BB83_7 Depth=1
	s_or_b64 exec, exec, s[10:11]
	s_waitcnt lgkmcnt(0)
	s_barrier
	s_and_saveexec_b64 s[10:11], s[8:9]
	s_cbranch_execz .LBB83_19
; %bb.18:                               ;   in Loop: Header=BB83_7 Depth=1
	ds_read_b128 v[5:8], v13 offset:16
	ds_read_b64 v[1:2], v13 offset:8
	ds_read_b64 v[9:10], v11
	s_waitcnt lgkmcnt(1)
	v_add_f32_e32 v1, v5, v1
	v_add_f32_e32 v2, v6, v2
	;; [unrolled: 1-line block ×4, first 2 shown]
	s_waitcnt lgkmcnt(0)
	v_add_f32_e32 v1, v1, v9
	v_add_f32_e32 v2, v2, v10
	ds_write_b64 v11, v[1:2]
.LBB83_19:                              ;   in Loop: Header=BB83_7 Depth=1
	s_or_b64 exec, exec, s[10:11]
	s_waitcnt lgkmcnt(0)
	s_barrier
	s_and_saveexec_b64 s[10:11], s[8:9]
	s_cbranch_execz .LBB83_6
; %bb.20:                               ;   in Loop: Header=BB83_7 Depth=1
	ds_read_b64 v[1:2], v13
	s_mov_b64 s[28:29], exec
	v_bfrev_b32_e32 v7, 1
	s_waitcnt lgkmcnt(0)
	v_mul_f32_e64 v5, v2, -v4
	v_fmac_f32_e32 v5, v3, v1
.LBB83_21:                              ;   Parent Loop BB83_7 Depth=1
                                        ; =>  This Inner Loop Header: Depth=2
	s_ff1_i32_b64 s30, s[28:29]
	v_readlane_b32 s33, v5, s30
	s_lshl_b64 s[30:31], 1, s30
	s_andn2_b64 s[28:29], s[28:29], s[30:31]
	s_cmp_lg_u64 s[28:29], 0
	v_add_f32_e32 v7, s33, v7
	s_cbranch_scc1 .LBB83_21
; %bb.22:                               ;   in Loop: Header=BB83_7 Depth=1
	s_lshl_b64 s[28:29], s[26:27], 3
	v_mbcnt_lo_u32_b32 v5, exec_lo, 0
	s_add_u32 s28, s20, s28
	v_mbcnt_hi_u32_b32 v5, exec_hi, v5
	s_addc_u32 s29, s21, s29
	v_cmp_eq_u32_e32 vcc, 0, v5
	s_and_saveexec_b64 s[30:31], vcc
	s_xor_b64 s[30:31], exec, s[30:31]
	s_cbranch_execz .LBB83_26
; %bb.23:                               ;   in Loop: Header=BB83_7 Depth=1
	global_load_dword v6, v13, s[28:29]
	s_mov_b64 s[34:35], 0
.LBB83_24:                              ;   Parent Loop BB83_7 Depth=1
                                        ; =>  This Inner Loop Header: Depth=2
	s_waitcnt vmcnt(0)
	v_add_f32_e32 v5, v6, v7
	global_atomic_cmpswap v5, v13, v[5:6], s[28:29] glc
	s_waitcnt vmcnt(0)
	v_cmp_eq_u32_e32 vcc, v5, v6
	s_or_b64 s[34:35], vcc, s[34:35]
	v_mov_b32_e32 v6, v5
	s_andn2_b64 exec, exec, s[34:35]
	s_cbranch_execnz .LBB83_24
; %bb.25:                               ;   in Loop: Header=BB83_7 Depth=1
	s_or_b64 exec, exec, s[34:35]
.LBB83_26:                              ;   in Loop: Header=BB83_7 Depth=1
	s_or_b64 exec, exec, s[30:31]
	v_mul_f32_e32 v2, v3, v2
	s_mov_b64 s[30:31], exec
	v_fmac_f32_e32 v2, v4, v1
	v_bfrev_b32_e32 v5, 1
.LBB83_27:                              ;   Parent Loop BB83_7 Depth=1
                                        ; =>  This Inner Loop Header: Depth=2
	s_ff1_i32_b64 s27, s[30:31]
	s_lshl_b64 s[34:35], 1, s27
	v_readlane_b32 s33, v2, s27
	s_andn2_b64 s[30:31], s[30:31], s[34:35]
	s_cmp_lg_u64 s[30:31], 0
	v_add_f32_e32 v5, s33, v5
	s_cbranch_scc1 .LBB83_27
; %bb.28:                               ;   in Loop: Header=BB83_7 Depth=1
	v_mbcnt_lo_u32_b32 v1, exec_lo, 0
	v_mbcnt_hi_u32_b32 v1, exec_hi, v1
	v_cmp_eq_u32_e32 vcc, 0, v1
	s_and_saveexec_b64 s[30:31], vcc
	s_xor_b64 s[30:31], exec, s[30:31]
	s_cbranch_execz .LBB83_6
; %bb.29:                               ;   in Loop: Header=BB83_7 Depth=1
	global_load_dword v2, v13, s[28:29] offset:4
	s_mov_b64 s[30:31], 0
.LBB83_30:                              ;   Parent Loop BB83_7 Depth=1
                                        ; =>  This Inner Loop Header: Depth=2
	s_waitcnt vmcnt(0)
	v_add_f32_e32 v1, v2, v5
	global_atomic_cmpswap v1, v13, v[1:2], s[28:29] offset:4 glc
	s_waitcnt vmcnt(0)
	v_cmp_eq_u32_e32 vcc, v1, v2
	s_or_b64 s[30:31], vcc, s[30:31]
	v_mov_b32_e32 v2, v1
	s_andn2_b64 exec, exec, s[30:31]
	s_cbranch_execnz .LBB83_30
; %bb.31:                               ;   in Loop: Header=BB83_7 Depth=1
	s_or_b64 exec, exec, s[30:31]
	s_branch .LBB83_6
.LBB83_32:
	s_ashr_i32 s1, s22, 31
	s_mov_b32 s0, s22
	s_lshl_b64 s[0:1], s[0:1], 2
	s_add_u32 s0, s12, s0
	s_addc_u32 s1, s13, s1
	s_ashr_i32 s3, s23, 31
	s_mov_b32 s2, s23
	s_lshl_b64 s[2:3], s[2:3], 2
	s_add_u32 s2, s12, s2
	s_addc_u32 s3, s13, s3
	s_load_dword s6, s[2:3], 0x0
	s_load_dword s7, s[0:1], 0x0
	s_waitcnt lgkmcnt(0)
	s_sub_i32 s26, s6, s24
	v_add_u32_e32 v1, s7, v12
	v_cmp_gt_i32_e32 vcc, s26, v1
	s_and_saveexec_b64 s[6:7], vcc
	s_cbranch_execz .LBB83_44
; %bb.33:
	s_add_i32 s27, s23, -1
	s_cmp_lt_i32 s22, s27
	s_cselect_b64 s[0:1], -1, 0
	s_add_i32 s2, s23, -2
	s_cmp_lg_u32 s22, s2
	s_cselect_b64 s[2:3], -1, 0
	s_and_b64 s[0:1], s[0:1], s[2:3]
	v_cndmask_b32_e64 v2, 0, 1, s[0:1]
	v_mul_f32_e32 v13, 0x80000000, v4
	v_mul_f32_e32 v14, 0, v3
	s_mov_b64 s[8:9], 0
	v_cmp_ne_u32_e64 s[0:1], 1, v2
	v_mov_b32_e32 v15, s13
	v_mov_b32_e32 v16, s15
	s_branch .LBB83_35
.LBB83_34:                              ;   in Loop: Header=BB83_35 Depth=1
	s_or_b64 exec, exec, s[2:3]
	v_add_u32_e32 v1, 0x100, v1
	v_cmp_le_i32_e32 vcc, s26, v1
	s_or_b64 s[8:9], vcc, s[8:9]
	s_andn2_b64 exec, exec, s[8:9]
	s_cbranch_execz .LBB83_44
.LBB83_35:                              ; =>This Loop Header: Depth=1
                                        ;     Child Loop BB83_37 Depth 2
                                        ;     Child Loop BB83_41 Depth 2
	;; [unrolled: 1-line block ×3, first 2 shown]
	s_and_b64 vcc, exec, s[0:1]
	v_mov_b32_e32 v8, s22
	v_mov_b32_e32 v5, s27
	s_cbranch_vccnz .LBB83_39
; %bb.36:                               ;   in Loop: Header=BB83_35 Depth=1
	s_mov_b64 s[10:11], 0
	v_mov_b32_e32 v8, s22
	v_mov_b32_e32 v5, s27
.LBB83_37:                              ;   Parent Loop BB83_35 Depth=1
                                        ; =>  This Inner Loop Header: Depth=2
	v_add_u32_e32 v2, v5, v8
	v_lshrrev_b32_e32 v6, 31, v2
	v_add_u32_e32 v2, v2, v6
	v_ashrrev_i32_e32 v6, 1, v2
	v_ashrrev_i32_e32 v7, 31, v6
	v_lshlrev_b64 v[9:10], 2, v[6:7]
	v_mov_b32_e32 v17, s13
	v_add_co_u32_e32 v9, vcc, s12, v9
	v_addc_co_u32_e32 v10, vcc, v17, v10, vcc
	global_load_dword v2, v[9:10], off
	s_waitcnt vmcnt(0)
	v_subrev_u32_e32 v2, s24, v2
	v_cmp_lt_i32_e32 vcc, v1, v2
	v_cndmask_b32_e32 v5, v5, v6, vcc
	v_cndmask_b32_e32 v8, v6, v8, vcc
	v_add_u32_e32 v2, -1, v5
	v_cmp_ge_i32_e32 vcc, v8, v5
	v_cmp_eq_u32_e64 s[2:3], v8, v2
	s_or_b64 s[2:3], vcc, s[2:3]
	s_and_b64 s[2:3], exec, s[2:3]
	s_or_b64 s[10:11], s[2:3], s[10:11]
	s_andn2_b64 exec, exec, s[10:11]
	s_cbranch_execnz .LBB83_37
; %bb.38:                               ;   in Loop: Header=BB83_35 Depth=1
	s_or_b64 exec, exec, s[10:11]
.LBB83_39:                              ;   in Loop: Header=BB83_35 Depth=1
	v_ashrrev_i32_e32 v6, 31, v5
	v_lshlrev_b64 v[6:7], 2, v[5:6]
	v_ashrrev_i32_e32 v2, 31, v1
	v_add_co_u32_e32 v6, vcc, s12, v6
	v_addc_co_u32_e32 v7, vcc, v15, v7, vcc
	global_load_dword v17, v[6:7], off
	v_lshlrev_b64 v[6:7], 2, v[1:2]
	v_add_co_u32_e32 v9, vcc, s14, v6
	v_addc_co_u32_e32 v10, vcc, v16, v7, vcc
	global_load_dword v2, v[9:10], off
	s_waitcnt vmcnt(1)
	v_subrev_u32_e32 v9, s24, v17
	v_cmp_lt_i32_e32 vcc, v1, v9
	v_cndmask_b32_e32 v5, v5, v8, vcc
	s_waitcnt vmcnt(0)
	v_subrev_u32_e32 v8, s24, v2
	v_cmp_ne_u32_e32 vcc, v8, v5
	s_and_saveexec_b64 s[2:3], vcc
	s_cbranch_execz .LBB83_34
; %bb.40:                               ;   in Loop: Header=BB83_35 Depth=1
	v_ashrrev_i32_e32 v9, 31, v8
	v_lshlrev_b64 v[9:10], 3, v[8:9]
	v_mov_b32_e32 v8, s17
	v_add_co_u32_e32 v6, vcc, s16, v6
	v_addc_co_u32_e32 v7, vcc, v8, v7, vcc
	global_load_dword v17, v[6:7], off
	v_ashrrev_i32_e32 v6, 31, v5
	v_lshlrev_b64 v[5:6], 3, v[5:6]
	v_mov_b32_e32 v7, s19
	v_add_co_u32_e32 v5, vcc, s18, v5
	v_addc_co_u32_e32 v6, vcc, v7, v6, vcc
	v_mov_b32_e32 v2, s21
	global_load_dwordx2 v[7:8], v[5:6], off
	v_add_co_u32_e32 v5, vcc, s20, v9
	v_addc_co_u32_e32 v6, vcc, v2, v10, vcc
	global_load_dword v10, v[5:6], off
	s_mov_b64 s[10:11], 0
	s_waitcnt vmcnt(2)
	v_fma_f32 v2, v3, v17, v13
	v_fma_f32 v17, v4, v17, v14
	s_waitcnt vmcnt(1)
	v_mul_f32_e64 v18, v8, -v17
	v_fmac_f32_e32 v18, v2, v7
.LBB83_41:                              ;   Parent Loop BB83_35 Depth=1
                                        ; =>  This Inner Loop Header: Depth=2
	s_waitcnt vmcnt(0)
	v_add_f32_e32 v9, v10, v18
	global_atomic_cmpswap v9, v[5:6], v[9:10], off glc
	s_waitcnt vmcnt(0)
	v_cmp_eq_u32_e32 vcc, v9, v10
	s_or_b64 s[10:11], vcc, s[10:11]
	v_mov_b32_e32 v10, v9
	s_andn2_b64 exec, exec, s[10:11]
	s_cbranch_execnz .LBB83_41
; %bb.42:                               ;   in Loop: Header=BB83_35 Depth=1
	s_or_b64 exec, exec, s[10:11]
	global_load_dword v9, v[5:6], off offset:4
	v_mul_f32_e32 v2, v2, v8
	v_fmac_f32_e32 v2, v17, v7
	s_mov_b64 s[10:11], 0
.LBB83_43:                              ;   Parent Loop BB83_35 Depth=1
                                        ; =>  This Inner Loop Header: Depth=2
	s_waitcnt vmcnt(0)
	v_add_f32_e32 v8, v9, v2
	global_atomic_cmpswap v7, v[5:6], v[8:9], off offset:4 glc
	s_waitcnt vmcnt(0)
	v_cmp_eq_u32_e32 vcc, v7, v9
	s_or_b64 s[10:11], vcc, s[10:11]
	v_mov_b32_e32 v9, v7
	s_andn2_b64 exec, exec, s[10:11]
	s_cbranch_execnz .LBB83_43
	s_branch .LBB83_34
.LBB83_44:
	s_or_b64 exec, exec, s[6:7]
	s_mov_b64 s[0:1], 0
.LBB83_45:
	s_and_b64 vcc, exec, s[0:1]
	s_cbranch_vccz .LBB83_171
; %bb.46:
	v_cvt_f32_u32_e32 v1, s25
	s_ashr_i32 s1, s22, 31
	s_mov_b32 s0, s22
	s_sub_i32 s2, 0, s25
	v_rcp_iflag_f32_e32 v1, v1
	s_lshl_b64 s[0:1], s[0:1], 2
	s_add_u32 s6, s12, s0
	s_addc_u32 s7, s13, s1
	v_mul_f32_e32 v1, 0x4f7ffffe, v1
	v_cvt_u32_f32_e32 v1, v1
	s_load_dword s30, s[6:7], 0x0
	s_load_dwordx2 s[8:9], s[4:5], 0x4
	s_load_dword s26, s[4:5], 0x64
	v_readfirstlane_b32 s27, v1
	s_waitcnt lgkmcnt(0)
	v_add_u32_e32 v1, s30, v12
	s_mul_i32 s2, s2, s27
	v_add_u32_e32 v9, 0x300, v1
	s_mul_hi_u32 s28, s27, s2
	v_cmp_le_i32_e32 vcc, s8, v9
	s_and_saveexec_b64 s[0:1], vcc
	s_xor_b64 s[2:3], exec, s[0:1]
	s_cbranch_execz .LBB83_51
; %bb.47:
	s_ashr_i32 s1, s23, 31
	s_mov_b32 s0, s23
	s_lshl_b64 s[0:1], s[0:1], 2
	s_add_u32 s0, s12, s0
	s_addc_u32 s1, s13, s1
	s_load_dword s0, s[0:1], 0x0
	s_waitcnt lgkmcnt(0)
	s_sub_i32 s8, s0, s30
	v_cmp_gt_i32_e64 s[0:1], s8, v0
	s_and_saveexec_b64 s[4:5], s[0:1]
	s_cbranch_execz .LBB83_50
; %bb.48:
	v_mul_f32_e32 v2, 0x80000000, v4
	v_mul_f32_e32 v5, 0, v3
	s_sub_i32 s29, s30, s24
	s_mov_b64 s[10:11], 0
	v_mov_b32_e32 v6, s17
	v_mov_b32_e32 v7, v11
	v_mov_b32_e32 v8, v0
.LBB83_49:                              ; =>This Inner Loop Header: Depth=1
	v_add_u32_e32 v12, s29, v8
	v_ashrrev_i32_e32 v13, 31, v12
	v_lshlrev_b64 v[12:13], 2, v[12:13]
	v_add_u32_e32 v8, 0x100, v8
	v_add_co_u32_e64 v12, s[0:1], s16, v12
	v_addc_co_u32_e64 v13, s[0:1], v6, v13, s[0:1]
	global_load_dword v10, v[12:13], off
	v_cmp_le_i32_e64 s[0:1], s8, v8
	s_or_b64 s[10:11], s[0:1], s[10:11]
	s_waitcnt vmcnt(0)
	v_fma_f32 v12, v3, v10, v2
	v_fma_f32 v13, v4, v10, v5
	ds_write_b64 v7, v[12:13]
	v_add_u32_e32 v7, 0x800, v7
	s_andn2_b64 exec, exec, s[10:11]
	s_cbranch_execnz .LBB83_49
.LBB83_50:
	s_or_b64 exec, exec, s[4:5]
                                        ; implicit-def: $vgpr3_vgpr4
.LBB83_51:
	s_or_saveexec_b64 s[2:3], s[2:3]
	s_and_b32 s31, s26, 0xffff
	s_add_i32 s27, s27, s28
	v_ashrrev_i32_e32 v2, 31, v1
	s_xor_b64 exec, exec, s[2:3]
	s_cbranch_execz .LBB83_53
; %bb.52:
	v_lshlrev_b64 v[5:6], 2, v[1:2]
	v_mov_b32_e32 v7, s17
	v_add_co_u32_e64 v5, s[0:1], s16, v5
	v_addc_co_u32_e64 v6, s[0:1], v7, v6, s[0:1]
	global_load_dword v8, v[5:6], off
	global_load_dword v10, v[5:6], off offset:1024
	global_load_dword v15, v[5:6], off offset:2048
	;; [unrolled: 1-line block ×3, first 2 shown]
	v_mul_f32_e32 v5, 0x80000000, v4
	v_mul_f32_e32 v6, 0, v3
	s_waitcnt vmcnt(3)
	v_fma_f32 v7, v3, v8, v5
	v_fma_f32 v8, v4, v8, v6
	s_waitcnt vmcnt(2)
	v_fma_f32 v12, v3, v10, v5
	v_fma_f32 v13, v4, v10, v6
	s_waitcnt vmcnt(1)
	v_fma_f32 v14, v3, v15, v5
	v_fma_f32 v15, v4, v15, v6
	s_waitcnt vmcnt(0)
	v_fmac_f32_e32 v5, v3, v16
	v_fmac_f32_e32 v6, v4, v16
	ds_write2st64_b64 v11, v[7:8], v[12:13] offset1:4
	ds_write2st64_b64 v11, v[14:15], v[5:6] offset0:8 offset1:12
.LBB83_53:
	s_or_b64 exec, exec, s[2:3]
	s_mul_hi_u32 s8, s31, s27
	v_cmp_gt_i32_e64 s[0:1], s9, v0
	s_and_saveexec_b64 s[2:3], s[0:1]
	s_cbranch_execz .LBB83_56
; %bb.54:
	v_mov_b32_e32 v3, 0x2000
	v_lshl_add_u32 v3, v0, 3, v3
	s_mov_b64 s[4:5], 0
	v_mov_b32_e32 v4, 0
	v_mov_b32_e32 v5, v0
.LBB83_55:                              ; =>This Inner Loop Header: Depth=1
	v_add_u32_e32 v5, 0x100, v5
	v_cmp_le_i32_e64 s[0:1], s9, v5
	ds_write2_b32 v3, v4, v4 offset1:1
	s_or_b64 s[4:5], s[0:1], s[4:5]
	v_add_u32_e32 v3, 0x800, v3
	s_andn2_b64 exec, exec, s[4:5]
	s_cbranch_execnz .LBB83_55
.LBB83_56:
	s_or_b64 exec, exec, s[2:3]
	s_sub_i32 s0, s23, s9
	s_cmp_ge_i32 s23, s9
	s_cselect_b32 s33, s0, 0
	s_waitcnt lgkmcnt(0)
	s_barrier
	s_and_saveexec_b64 s[0:1], vcc
	s_xor_b64 s[4:5], exec, s[0:1]
	s_cbranch_execz .LBB83_77
; %bb.57:
	s_ashr_i32 s1, s23, 31
	s_mov_b32 s0, s23
	s_lshl_b64 s[0:1], s[0:1], 2
	s_add_u32 s0, s12, s0
	s_addc_u32 s1, s13, s1
	s_load_dword s0, s[0:1], 0x0
	s_waitcnt lgkmcnt(0)
	s_sub_i32 s34, s0, s30
	v_cmp_gt_i32_e32 vcc, s34, v0
	s_and_saveexec_b64 s[10:11], vcc
	s_cbranch_execz .LBB83_76
; %bb.58:
	s_add_i32 s35, s23, -1
	s_add_i32 s1, s23, -2
	s_cmp_lg_u32 s22, s1
	s_cselect_b64 s[2:3], -1, 0
	v_cndmask_b32_e64 v2, 0, 1, s[2:3]
	s_sub_i32 s36, s0, s24
	s_mov_b32 s37, 0
	s_mov_b64 s[16:17], 0
	v_cmp_ne_u32_e64 s[0:1], 1, v2
	v_mov_b32_e32 v10, s13
	v_mov_b32_e32 v12, s15
	;; [unrolled: 1-line block ×4, first 2 shown]
	s_branch .LBB83_61
.LBB83_59:                              ;   in Loop: Header=BB83_61 Depth=1
	s_or_b64 exec, exec, s[2:3]
	v_xor_b32_e32 v6, 0x80000000, v5
.LBB83_60:                              ;   in Loop: Header=BB83_61 Depth=1
	s_or_b64 exec, exec, s[26:27]
	v_ashrrev_i32_e32 v3, 31, v2
	v_lshlrev_b64 v[2:3], 3, v[2:3]
	s_addk_i32 s37, 0x100
	v_add_co_u32_e32 v2, vcc, s18, v2
	v_addc_co_u32_e32 v3, vcc, v13, v3, vcc
	global_load_dwordx2 v[2:3], v[2:3], off
	v_add_u32_e32 v7, s37, v0
	v_cmp_le_i32_e32 vcc, s34, v7
	s_or_b64 s[16:17], vcc, s[16:17]
	s_waitcnt vmcnt(0)
	v_mul_f32_e32 v6, v3, v6
	v_mul_f32_e32 v7, v3, v4
	v_fmac_f32_e32 v6, v4, v2
	v_fmac_f32_e32 v7, v5, v2
	ds_write_b64 v15, v[6:7]
	s_andn2_b64 exec, exec, s[16:17]
	s_cbranch_execz .LBB83_76
.LBB83_61:                              ; =>This Loop Header: Depth=1
                                        ;     Child Loop BB83_63 Depth 2
                                        ;     Child Loop BB83_70 Depth 2
	;; [unrolled: 1-line block ×3, first 2 shown]
	v_add_u32_e32 v3, s37, v1
	s_and_b64 vcc, exec, s[0:1]
	v_mov_b32_e32 v7, s22
	v_mov_b32_e32 v5, s35
	s_cbranch_vccnz .LBB83_65
; %bb.62:                               ;   in Loop: Header=BB83_61 Depth=1
	s_mov_b64 s[26:27], 0
	v_mov_b32_e32 v7, s22
	v_mov_b32_e32 v5, s35
.LBB83_63:                              ;   Parent Loop BB83_61 Depth=1
                                        ; =>  This Inner Loop Header: Depth=2
	v_add_u32_e32 v2, v5, v7
	v_lshrrev_b32_e32 v6, 31, v2
	v_add_u32_e32 v2, v2, v6
	v_ashrrev_i32_e32 v8, 1, v2
	v_ashrrev_i32_e32 v9, 31, v8
	v_lshlrev_b64 v[15:16], 2, v[8:9]
	v_mov_b32_e32 v4, s13
	v_add_co_u32_e32 v15, vcc, s12, v15
	v_addc_co_u32_e32 v16, vcc, v4, v16, vcc
	global_load_dword v2, v[15:16], off
	s_waitcnt vmcnt(0)
	v_subrev_u32_e32 v2, s24, v2
	v_cmp_lt_i32_e32 vcc, v3, v2
	v_cndmask_b32_e32 v5, v5, v8, vcc
	v_cndmask_b32_e32 v7, v8, v7, vcc
	v_add_u32_e32 v2, -1, v5
	v_cmp_ge_i32_e32 vcc, v7, v5
	v_cmp_eq_u32_e64 s[2:3], v7, v2
	s_or_b64 s[2:3], vcc, s[2:3]
	s_and_b64 s[2:3], exec, s[2:3]
	s_or_b64 s[26:27], s[2:3], s[26:27]
	s_andn2_b64 exec, exec, s[26:27]
	s_cbranch_execnz .LBB83_63
; %bb.64:                               ;   in Loop: Header=BB83_61 Depth=1
	s_or_b64 exec, exec, s[26:27]
.LBB83_65:                              ;   in Loop: Header=BB83_61 Depth=1
	v_ashrrev_i32_e32 v6, 31, v5
	v_lshlrev_b64 v[8:9], 2, v[5:6]
	v_ashrrev_i32_e32 v4, 31, v3
	v_add_co_u32_e32 v8, vcc, s12, v8
	v_addc_co_u32_e32 v9, vcc, v10, v9, vcc
	global_load_dword v2, v[8:9], off
	v_lshlrev_b64 v[8:9], 2, v[3:4]
	v_lshl_add_u32 v15, s37, 3, v11
	v_add_co_u32_e32 v8, vcc, s14, v8
	v_addc_co_u32_e32 v9, vcc, v12, v9, vcc
	global_load_dword v4, v[8:9], off
	v_cmp_le_i32_e32 vcc, s36, v3
	s_waitcnt vmcnt(1)
	v_subrev_u32_e32 v6, s24, v2
	v_cmp_lt_i32_e64 s[2:3], v3, v6
	v_cndmask_b32_e64 v3, v5, v7, s[2:3]
                                        ; implicit-def: $vgpr6
	s_waitcnt vmcnt(0)
	v_subrev_u32_e32 v2, s24, v4
	v_cmp_eq_u32_e64 s[2:3], v2, v3
	s_or_b64 s[2:3], s[2:3], vcc
                                        ; implicit-def: $vgpr4
	s_and_saveexec_b64 s[26:27], s[2:3]
	s_xor_b64 s[2:3], exec, s[26:27]
	s_cbranch_execz .LBB83_67
; %bb.66:                               ;   in Loop: Header=BB83_61 Depth=1
	ds_read_b64 v[4:5], v15
                                        ; implicit-def: $vgpr3
	s_waitcnt lgkmcnt(0)
	v_xor_b32_e32 v6, 0x80000000, v5
.LBB83_67:                              ;   in Loop: Header=BB83_61 Depth=1
	s_andn2_saveexec_b64 s[26:27], s[2:3]
	s_cbranch_execz .LBB83_60
; %bb.68:                               ;   in Loop: Header=BB83_61 Depth=1
	v_ashrrev_i32_e32 v4, 31, v3
	v_lshlrev_b64 v[3:4], 3, v[3:4]
	v_mov_b32_e32 v5, s19
	v_add_co_u32_e32 v3, vcc, s18, v3
	v_addc_co_u32_e32 v4, vcc, v5, v4, vcc
	global_load_dwordx2 v[6:7], v[3:4], off
	ds_read_b64 v[4:5], v15
	v_cmp_gt_i32_e32 vcc, s33, v2
	v_cmp_le_i32_e64 s[2:3], s23, v2
	s_or_b64 s[2:3], vcc, s[2:3]
	s_waitcnt vmcnt(0) lgkmcnt(0)
	v_mul_f32_e64 v17, v7, -v5
	v_mul_f32_e32 v16, v7, v4
	v_fmac_f32_e32 v17, v4, v6
	v_fmac_f32_e32 v16, v5, v6
	s_and_saveexec_b64 s[28:29], s[2:3]
	s_xor_b64 s[2:3], exec, s[28:29]
	s_cbranch_execz .LBB83_74
; %bb.69:                               ;   in Loop: Header=BB83_61 Depth=1
	v_ashrrev_i32_e32 v3, 31, v2
	v_lshlrev_b64 v[6:7], 3, v[2:3]
	v_mov_b32_e32 v3, s21
	v_add_co_u32_e32 v6, vcc, s20, v6
	v_addc_co_u32_e32 v7, vcc, v3, v7, vcc
	global_load_dword v9, v[6:7], off
	s_mov_b64 s[28:29], 0
.LBB83_70:                              ;   Parent Loop BB83_61 Depth=1
                                        ; =>  This Inner Loop Header: Depth=2
	s_waitcnt vmcnt(0)
	v_add_f32_e32 v8, v9, v17
	global_atomic_cmpswap v3, v[6:7], v[8:9], off glc
	s_waitcnt vmcnt(0)
	v_cmp_eq_u32_e32 vcc, v3, v9
	s_or_b64 s[28:29], vcc, s[28:29]
	v_mov_b32_e32 v9, v3
	s_andn2_b64 exec, exec, s[28:29]
	s_cbranch_execnz .LBB83_70
; %bb.71:                               ;   in Loop: Header=BB83_61 Depth=1
	s_or_b64 exec, exec, s[28:29]
	global_load_dword v9, v[6:7], off offset:4
	s_mov_b64 s[28:29], 0
.LBB83_72:                              ;   Parent Loop BB83_61 Depth=1
                                        ; =>  This Inner Loop Header: Depth=2
	s_waitcnt vmcnt(0)
	v_add_f32_e32 v8, v9, v16
	global_atomic_cmpswap v3, v[6:7], v[8:9], off offset:4 glc
	s_waitcnt vmcnt(0)
	v_cmp_eq_u32_e32 vcc, v3, v9
	s_or_b64 s[28:29], vcc, s[28:29]
	v_mov_b32_e32 v9, v3
	s_andn2_b64 exec, exec, s[28:29]
	s_cbranch_execnz .LBB83_72
; %bb.73:                               ;   in Loop: Header=BB83_61 Depth=1
	s_or_b64 exec, exec, s[28:29]
                                        ; implicit-def: $vgpr17
                                        ; implicit-def: $vgpr16
.LBB83_74:                              ;   in Loop: Header=BB83_61 Depth=1
	s_andn2_saveexec_b64 s[2:3], s[2:3]
	s_cbranch_execz .LBB83_59
; %bb.75:                               ;   in Loop: Header=BB83_61 Depth=1
	v_subrev_u32_e32 v3, s33, v2
	v_lshl_add_u32 v3, v3, 3, v14
	ds_add_f32 v3, v17
	ds_add_f32 v3, v16 offset:4
	s_branch .LBB83_59
.LBB83_76:
	s_or_b64 exec, exec, s[10:11]
                                        ; implicit-def: $vgpr9
                                        ; implicit-def: $vgpr1
.LBB83_77:
	s_andn2_saveexec_b64 s[4:5], s[4:5]
	s_cbranch_execz .LBB83_135
; %bb.78:
	s_add_i32 s26, s23, -1
	s_add_i32 s0, s23, -2
	s_cmp_lg_u32 s22, s0
	s_cselect_b64 s[2:3], -1, 0
	s_cmp_eq_u32 s22, s0
	v_mov_b32_e32 v6, s22
	v_mov_b32_e32 v4, s26
	s_cbranch_scc1 .LBB83_82
; %bb.79:
	s_mov_b64 s[10:11], 0
	v_mov_b32_e32 v6, s22
	v_mov_b32_e32 v4, s26
	;; [unrolled: 1-line block ×3, first 2 shown]
.LBB83_80:                              ; =>This Inner Loop Header: Depth=1
	v_add_u32_e32 v5, v4, v6
	v_lshrrev_b32_e32 v7, 31, v5
	v_add_u32_e32 v5, v5, v7
	v_ashrrev_i32_e32 v7, 1, v5
	v_ashrrev_i32_e32 v8, 31, v7
	v_lshlrev_b64 v[12:13], 2, v[7:8]
	v_add_co_u32_e32 v12, vcc, s12, v12
	v_addc_co_u32_e32 v13, vcc, v3, v13, vcc
	global_load_dword v5, v[12:13], off
	s_waitcnt vmcnt(0)
	v_subrev_u32_e32 v5, s24, v5
	v_cmp_lt_i32_e32 vcc, v1, v5
	v_cndmask_b32_e32 v4, v4, v7, vcc
	v_cndmask_b32_e32 v6, v7, v6, vcc
	v_add_u32_e32 v5, -1, v4
	v_cmp_ge_i32_e32 vcc, v6, v4
	v_cmp_eq_u32_e64 s[0:1], v6, v5
	s_or_b64 s[0:1], vcc, s[0:1]
	s_and_b64 s[0:1], exec, s[0:1]
	s_or_b64 s[10:11], s[0:1], s[10:11]
	s_andn2_b64 exec, exec, s[10:11]
	s_cbranch_execnz .LBB83_80
; %bb.81:
	s_or_b64 exec, exec, s[10:11]
.LBB83_82:
	v_ashrrev_i32_e32 v5, 31, v4
	v_lshlrev_b64 v[7:8], 2, v[4:5]
	v_mov_b32_e32 v3, s13
	v_add_co_u32_e32 v7, vcc, s12, v7
	v_addc_co_u32_e32 v8, vcc, v3, v8, vcc
	v_lshlrev_b64 v[2:3], 2, v[1:2]
	global_load_dword v5, v[7:8], off
	v_mov_b32_e32 v7, s15
	v_add_co_u32_e32 v2, vcc, s14, v2
	v_addc_co_u32_e32 v3, vcc, v7, v3, vcc
	global_load_dword v7, v[2:3], off
	s_ashr_i32 s1, s23, 31
	s_mov_b32 s0, s23
	s_lshl_b64 s[0:1], s[0:1], 2
	s_add_u32 s10, s12, s0
	s_addc_u32 s11, s13, s1
	s_waitcnt vmcnt(1)
	v_subrev_u32_e32 v5, s24, v5
	v_cmp_lt_i32_e32 vcc, v1, v5
	v_cndmask_b32_e32 v5, v4, v6, vcc
	s_waitcnt vmcnt(0)
	v_subrev_u32_e32 v4, s24, v7
	v_cmp_ne_u32_e32 vcc, v4, v5
	s_and_saveexec_b64 s[14:15], vcc
	s_cbranch_execz .LBB83_92
; %bb.83:
	s_load_dword s0, s[10:11], 0x0
	s_waitcnt lgkmcnt(0)
	s_sub_i32 s0, s0, s24
	v_cmp_gt_i32_e32 vcc, s0, v1
	s_and_b64 exec, exec, vcc
	s_cbranch_execz .LBB83_92
; %bb.84:
	v_ashrrev_i32_e32 v6, 31, v5
	v_lshlrev_b64 v[5:6], 3, v[5:6]
	v_mov_b32_e32 v7, s19
	v_add_co_u32_e32 v5, vcc, s18, v5
	v_addc_co_u32_e32 v6, vcc, v7, v6, vcc
	global_load_dwordx2 v[5:6], v[5:6], off
	ds_read_b64 v[7:8], v11
	v_cmp_gt_i32_e32 vcc, s33, v4
	v_cmp_le_i32_e64 s[0:1], s23, v4
	s_or_b64 s[0:1], vcc, s[0:1]
	s_waitcnt vmcnt(0) lgkmcnt(0)
	v_mul_f32_e64 v12, v6, -v8
	v_mul_f32_e32 v10, v6, v7
	v_fmac_f32_e32 v12, v7, v5
	v_fmac_f32_e32 v10, v8, v5
	s_and_saveexec_b64 s[16:17], s[0:1]
	s_xor_b64 s[0:1], exec, s[16:17]
	s_cbranch_execz .LBB83_90
; %bb.85:
	v_ashrrev_i32_e32 v5, 31, v4
	v_lshlrev_b64 v[5:6], 3, v[4:5]
	v_mov_b32_e32 v7, s21
	v_add_co_u32_e32 v5, vcc, s20, v5
	v_addc_co_u32_e32 v6, vcc, v7, v6, vcc
	global_load_dword v8, v[5:6], off
	s_mov_b64 s[16:17], 0
.LBB83_86:                              ; =>This Inner Loop Header: Depth=1
	s_waitcnt vmcnt(0)
	v_add_f32_e32 v7, v8, v12
	global_atomic_cmpswap v7, v[5:6], v[7:8], off glc
	s_waitcnt vmcnt(0)
	v_cmp_eq_u32_e32 vcc, v7, v8
	s_or_b64 s[16:17], vcc, s[16:17]
	v_mov_b32_e32 v8, v7
	s_andn2_b64 exec, exec, s[16:17]
	s_cbranch_execnz .LBB83_86
; %bb.87:
	s_or_b64 exec, exec, s[16:17]
	global_load_dword v8, v[5:6], off offset:4
	s_mov_b64 s[16:17], 0
.LBB83_88:                              ; =>This Inner Loop Header: Depth=1
	s_waitcnt vmcnt(0)
	v_add_f32_e32 v7, v8, v10
	global_atomic_cmpswap v7, v[5:6], v[7:8], off offset:4 glc
	s_waitcnt vmcnt(0)
	v_cmp_eq_u32_e32 vcc, v7, v8
	s_or_b64 s[16:17], vcc, s[16:17]
	v_mov_b32_e32 v8, v7
	s_andn2_b64 exec, exec, s[16:17]
	s_cbranch_execnz .LBB83_88
; %bb.89:
	s_or_b64 exec, exec, s[16:17]
                                        ; implicit-def: $vgpr12
                                        ; implicit-def: $vgpr10
.LBB83_90:
	s_andn2_saveexec_b64 s[0:1], s[0:1]
	s_cbranch_execz .LBB83_92
; %bb.91:
	v_subrev_u32_e32 v5, s33, v4
	v_mov_b32_e32 v6, 0x2000
	v_lshl_add_u32 v5, v5, 3, v6
	ds_add_f32 v5, v12
	ds_add_f32 v5, v10 offset:4
.LBB83_92:
	s_or_b64 exec, exec, s[14:15]
	v_ashrrev_i32_e32 v5, 31, v4
	v_lshlrev_b64 v[4:5], 3, v[4:5]
	v_mov_b32_e32 v6, s19
	v_add_co_u32_e32 v4, vcc, s18, v4
	v_addc_co_u32_e32 v5, vcc, v6, v5, vcc
	global_load_dwordx2 v[4:5], v[4:5], off
	ds_read_b64 v[12:13], v11
	v_cndmask_b32_e64 v8, 0, 1, s[2:3]
	v_add_u32_e32 v6, 0x100, v1
	v_mov_b32_e32 v7, s22
	v_cmp_ne_u32_e64 s[0:1], 1, v8
	s_andn2_b64 vcc, exec, s[2:3]
	s_waitcnt vmcnt(0) lgkmcnt(0)
	v_mul_f32_e64 v14, v5, -v13
	v_mul_f32_e32 v15, v5, v12
	v_fmac_f32_e32 v14, v12, v4
	v_fmac_f32_e32 v15, v13, v4
	v_mov_b32_e32 v4, s26
	ds_write_b64 v11, v[14:15]
	s_cbranch_vccnz .LBB83_96
; %bb.93:
	s_mov_b64 s[14:15], 0
	v_mov_b32_e32 v7, s22
	v_mov_b32_e32 v4, s26
	;; [unrolled: 1-line block ×3, first 2 shown]
.LBB83_94:                              ; =>This Inner Loop Header: Depth=1
	v_add_u32_e32 v8, v4, v7
	v_lshrrev_b32_e32 v10, 31, v8
	v_add_u32_e32 v8, v8, v10
	v_ashrrev_i32_e32 v12, 1, v8
	v_ashrrev_i32_e32 v13, 31, v12
	v_lshlrev_b64 v[13:14], 2, v[12:13]
	v_add_co_u32_e32 v13, vcc, s12, v13
	v_addc_co_u32_e32 v14, vcc, v5, v14, vcc
	global_load_dword v8, v[13:14], off
	s_waitcnt vmcnt(0)
	v_subrev_u32_e32 v8, s24, v8
	v_cmp_lt_i32_e32 vcc, v6, v8
	v_cndmask_b32_e32 v4, v4, v12, vcc
	v_cndmask_b32_e32 v7, v12, v7, vcc
	v_add_u32_e32 v8, -1, v4
	v_cmp_ge_i32_e32 vcc, v7, v4
	v_cmp_eq_u32_e64 s[2:3], v7, v8
	s_or_b64 s[2:3], vcc, s[2:3]
	s_and_b64 s[2:3], exec, s[2:3]
	s_or_b64 s[14:15], s[2:3], s[14:15]
	s_andn2_b64 exec, exec, s[14:15]
	s_cbranch_execnz .LBB83_94
; %bb.95:
	s_or_b64 exec, exec, s[14:15]
.LBB83_96:
	v_ashrrev_i32_e32 v5, 31, v4
	v_lshlrev_b64 v[12:13], 2, v[4:5]
	v_mov_b32_e32 v5, s13
	v_add_co_u32_e32 v12, vcc, s12, v12
	v_addc_co_u32_e32 v13, vcc, v5, v13, vcc
	global_load_dword v5, v[12:13], off
	global_load_dword v8, v[2:3], off offset:1024
	s_waitcnt vmcnt(1)
	v_subrev_u32_e32 v5, s24, v5
	v_cmp_lt_i32_e32 vcc, v6, v5
	v_cndmask_b32_e32 v5, v4, v7, vcc
	s_waitcnt vmcnt(0)
	v_subrev_u32_e32 v4, s24, v8
	v_cmp_ne_u32_e32 vcc, v4, v5
	s_and_saveexec_b64 s[14:15], vcc
	s_cbranch_execz .LBB83_106
; %bb.97:
	s_load_dword s2, s[10:11], 0x0
	s_waitcnt lgkmcnt(0)
	s_sub_i32 s2, s2, s24
	v_cmp_gt_i32_e32 vcc, s2, v6
	s_and_b64 exec, exec, vcc
	s_cbranch_execz .LBB83_106
; %bb.98:
	v_ashrrev_i32_e32 v6, 31, v5
	v_lshlrev_b64 v[5:6], 3, v[5:6]
	v_mov_b32_e32 v7, s19
	v_add_co_u32_e32 v5, vcc, s18, v5
	v_addc_co_u32_e32 v6, vcc, v7, v6, vcc
	global_load_dwordx2 v[5:6], v[5:6], off
	ds_read_b64 v[7:8], v11 offset:2048
	v_cmp_gt_i32_e32 vcc, s33, v4
	v_cmp_le_i32_e64 s[2:3], s23, v4
	s_or_b64 s[2:3], vcc, s[2:3]
	s_waitcnt vmcnt(0) lgkmcnt(0)
	v_mul_f32_e64 v12, v6, -v8
	v_mul_f32_e32 v10, v6, v7
	v_fmac_f32_e32 v12, v7, v5
	v_fmac_f32_e32 v10, v8, v5
	s_and_saveexec_b64 s[16:17], s[2:3]
	s_xor_b64 s[2:3], exec, s[16:17]
	s_cbranch_execz .LBB83_104
; %bb.99:
	v_ashrrev_i32_e32 v5, 31, v4
	v_lshlrev_b64 v[5:6], 3, v[4:5]
	v_mov_b32_e32 v7, s21
	v_add_co_u32_e32 v5, vcc, s20, v5
	v_addc_co_u32_e32 v6, vcc, v7, v6, vcc
	global_load_dword v8, v[5:6], off
	s_mov_b64 s[16:17], 0
.LBB83_100:                             ; =>This Inner Loop Header: Depth=1
	s_waitcnt vmcnt(0)
	v_add_f32_e32 v7, v8, v12
	global_atomic_cmpswap v7, v[5:6], v[7:8], off glc
	s_waitcnt vmcnt(0)
	v_cmp_eq_u32_e32 vcc, v7, v8
	s_or_b64 s[16:17], vcc, s[16:17]
	v_mov_b32_e32 v8, v7
	s_andn2_b64 exec, exec, s[16:17]
	s_cbranch_execnz .LBB83_100
; %bb.101:
	s_or_b64 exec, exec, s[16:17]
	global_load_dword v8, v[5:6], off offset:4
	s_mov_b64 s[16:17], 0
.LBB83_102:                             ; =>This Inner Loop Header: Depth=1
	s_waitcnt vmcnt(0)
	v_add_f32_e32 v7, v8, v10
	global_atomic_cmpswap v7, v[5:6], v[7:8], off offset:4 glc
	s_waitcnt vmcnt(0)
	v_cmp_eq_u32_e32 vcc, v7, v8
	s_or_b64 s[16:17], vcc, s[16:17]
	v_mov_b32_e32 v8, v7
	s_andn2_b64 exec, exec, s[16:17]
	s_cbranch_execnz .LBB83_102
; %bb.103:
	s_or_b64 exec, exec, s[16:17]
                                        ; implicit-def: $vgpr12
                                        ; implicit-def: $vgpr10
.LBB83_104:
	s_andn2_saveexec_b64 s[2:3], s[2:3]
	s_cbranch_execz .LBB83_106
; %bb.105:
	v_subrev_u32_e32 v5, s33, v4
	v_mov_b32_e32 v6, 0x2000
	v_lshl_add_u32 v5, v5, 3, v6
	ds_add_f32 v5, v12
	ds_add_f32 v5, v10 offset:4
.LBB83_106:
	s_or_b64 exec, exec, s[14:15]
	v_ashrrev_i32_e32 v5, 31, v4
	v_lshlrev_b64 v[4:5], 3, v[4:5]
	v_mov_b32_e32 v6, s19
	v_add_co_u32_e32 v4, vcc, s18, v4
	v_addc_co_u32_e32 v5, vcc, v6, v5, vcc
	global_load_dwordx2 v[4:5], v[4:5], off
	ds_read_b64 v[7:8], v11 offset:2048
	v_add_u32_e32 v1, 0x200, v1
	s_and_b64 vcc, exec, s[0:1]
	v_mov_b32_e32 v6, s22
	s_waitcnt vmcnt(0) lgkmcnt(0)
	v_mul_f32_e64 v12, v5, -v8
	v_mul_f32_e32 v13, v5, v7
	v_fmac_f32_e32 v12, v7, v4
	v_fmac_f32_e32 v13, v8, v4
	v_mov_b32_e32 v4, s26
	ds_write_b64 v11, v[12:13] offset:2048
	s_cbranch_vccnz .LBB83_110
; %bb.107:
	s_mov_b64 s[14:15], 0
	v_mov_b32_e32 v6, s22
	v_mov_b32_e32 v4, s26
	;; [unrolled: 1-line block ×3, first 2 shown]
.LBB83_108:                             ; =>This Inner Loop Header: Depth=1
	v_add_u32_e32 v7, v4, v6
	v_lshrrev_b32_e32 v8, 31, v7
	v_add_u32_e32 v7, v7, v8
	v_ashrrev_i32_e32 v7, 1, v7
	v_ashrrev_i32_e32 v8, 31, v7
	v_lshlrev_b64 v[12:13], 2, v[7:8]
	v_add_co_u32_e32 v12, vcc, s12, v12
	v_addc_co_u32_e32 v13, vcc, v5, v13, vcc
	global_load_dword v8, v[12:13], off
	s_waitcnt vmcnt(0)
	v_subrev_u32_e32 v8, s24, v8
	v_cmp_lt_i32_e32 vcc, v1, v8
	v_cndmask_b32_e32 v4, v4, v7, vcc
	v_cndmask_b32_e32 v6, v7, v6, vcc
	v_add_u32_e32 v7, -1, v4
	v_cmp_ge_i32_e32 vcc, v6, v4
	v_cmp_eq_u32_e64 s[2:3], v6, v7
	s_or_b64 s[2:3], vcc, s[2:3]
	s_and_b64 s[2:3], exec, s[2:3]
	s_or_b64 s[14:15], s[2:3], s[14:15]
	s_andn2_b64 exec, exec, s[14:15]
	s_cbranch_execnz .LBB83_108
; %bb.109:
	s_or_b64 exec, exec, s[14:15]
.LBB83_110:
	v_ashrrev_i32_e32 v5, 31, v4
	v_lshlrev_b64 v[7:8], 2, v[4:5]
	v_mov_b32_e32 v5, s13
	v_add_co_u32_e32 v7, vcc, s12, v7
	v_addc_co_u32_e32 v8, vcc, v5, v8, vcc
	global_load_dword v5, v[7:8], off
	global_load_dword v10, v[2:3], off offset:2048
	s_waitcnt vmcnt(1)
	v_subrev_u32_e32 v5, s24, v5
	v_cmp_lt_i32_e32 vcc, v1, v5
	v_cndmask_b32_e32 v5, v4, v6, vcc
	s_waitcnt vmcnt(0)
	v_subrev_u32_e32 v4, s24, v10
	v_cmp_ne_u32_e32 vcc, v4, v5
	s_and_saveexec_b64 s[14:15], vcc
	s_cbranch_execz .LBB83_120
; %bb.111:
	s_load_dword s2, s[10:11], 0x0
	s_waitcnt lgkmcnt(0)
	s_sub_i32 s2, s2, s24
	v_cmp_gt_i32_e32 vcc, s2, v1
	s_and_b64 exec, exec, vcc
	s_cbranch_execz .LBB83_120
; %bb.112:
	v_ashrrev_i32_e32 v6, 31, v5
	v_lshlrev_b64 v[5:6], 3, v[5:6]
	v_mov_b32_e32 v1, s19
	v_add_co_u32_e32 v5, vcc, s18, v5
	v_addc_co_u32_e32 v6, vcc, v1, v6, vcc
	global_load_dwordx2 v[5:6], v[5:6], off
	ds_read_b64 v[7:8], v11 offset:4096
	v_cmp_gt_i32_e32 vcc, s33, v4
	v_cmp_le_i32_e64 s[2:3], s23, v4
	s_or_b64 s[2:3], vcc, s[2:3]
	s_waitcnt vmcnt(0) lgkmcnt(0)
	v_mul_f32_e64 v10, v6, -v8
	v_mul_f32_e32 v1, v6, v7
	v_fmac_f32_e32 v10, v7, v5
	v_fmac_f32_e32 v1, v8, v5
	s_and_saveexec_b64 s[16:17], s[2:3]
	s_xor_b64 s[2:3], exec, s[16:17]
	s_cbranch_execz .LBB83_118
; %bb.113:
	v_ashrrev_i32_e32 v5, 31, v4
	v_lshlrev_b64 v[5:6], 3, v[4:5]
	v_mov_b32_e32 v7, s21
	v_add_co_u32_e32 v5, vcc, s20, v5
	v_addc_co_u32_e32 v6, vcc, v7, v6, vcc
	global_load_dword v8, v[5:6], off
	s_mov_b64 s[16:17], 0
.LBB83_114:                             ; =>This Inner Loop Header: Depth=1
	s_waitcnt vmcnt(0)
	v_add_f32_e32 v7, v8, v10
	global_atomic_cmpswap v7, v[5:6], v[7:8], off glc
	s_waitcnt vmcnt(0)
	v_cmp_eq_u32_e32 vcc, v7, v8
	s_or_b64 s[16:17], vcc, s[16:17]
	v_mov_b32_e32 v8, v7
	s_andn2_b64 exec, exec, s[16:17]
	s_cbranch_execnz .LBB83_114
; %bb.115:
	s_or_b64 exec, exec, s[16:17]
	global_load_dword v8, v[5:6], off offset:4
	s_mov_b64 s[16:17], 0
.LBB83_116:                             ; =>This Inner Loop Header: Depth=1
	s_waitcnt vmcnt(0)
	v_add_f32_e32 v7, v8, v1
	global_atomic_cmpswap v7, v[5:6], v[7:8], off offset:4 glc
	s_waitcnt vmcnt(0)
	v_cmp_eq_u32_e32 vcc, v7, v8
	s_or_b64 s[16:17], vcc, s[16:17]
	v_mov_b32_e32 v8, v7
	s_andn2_b64 exec, exec, s[16:17]
	s_cbranch_execnz .LBB83_116
; %bb.117:
	s_or_b64 exec, exec, s[16:17]
                                        ; implicit-def: $vgpr10
                                        ; implicit-def: $vgpr1
.LBB83_118:
	s_andn2_saveexec_b64 s[2:3], s[2:3]
	s_cbranch_execz .LBB83_120
; %bb.119:
	v_subrev_u32_e32 v5, s33, v4
	v_mov_b32_e32 v6, 0x2000
	v_lshl_add_u32 v5, v5, 3, v6
	ds_add_f32 v5, v10
	ds_add_f32 v5, v1 offset:4
.LBB83_120:
	s_or_b64 exec, exec, s[14:15]
	v_ashrrev_i32_e32 v5, 31, v4
	v_lshlrev_b64 v[4:5], 3, v[4:5]
	v_mov_b32_e32 v1, s19
	v_add_co_u32_e32 v4, vcc, s18, v4
	v_addc_co_u32_e32 v5, vcc, v1, v5, vcc
	global_load_dwordx2 v[4:5], v[4:5], off
	ds_read_b64 v[6:7], v11 offset:4096
	s_and_b64 vcc, exec, s[0:1]
	v_mov_b32_e32 v1, s22
	s_waitcnt vmcnt(0) lgkmcnt(0)
	v_mul_f32_e64 v12, v5, -v7
	v_mul_f32_e32 v13, v5, v6
	v_fmac_f32_e32 v12, v6, v4
	v_fmac_f32_e32 v13, v7, v4
	v_mov_b32_e32 v4, s26
	ds_write_b64 v11, v[12:13] offset:4096
	s_cbranch_vccnz .LBB83_124
; %bb.121:
	s_mov_b64 s[2:3], 0
	v_mov_b32_e32 v1, s22
	v_mov_b32_e32 v4, s26
	;; [unrolled: 1-line block ×3, first 2 shown]
.LBB83_122:                             ; =>This Inner Loop Header: Depth=1
	v_add_u32_e32 v6, v4, v1
	v_lshrrev_b32_e32 v7, 31, v6
	v_add_u32_e32 v6, v6, v7
	v_ashrrev_i32_e32 v6, 1, v6
	v_ashrrev_i32_e32 v7, 31, v6
	v_lshlrev_b64 v[7:8], 2, v[6:7]
	v_add_co_u32_e32 v7, vcc, s12, v7
	v_addc_co_u32_e32 v8, vcc, v5, v8, vcc
	global_load_dword v7, v[7:8], off
	s_waitcnt vmcnt(0)
	v_subrev_u32_e32 v7, s24, v7
	v_cmp_lt_i32_e32 vcc, v9, v7
	v_cndmask_b32_e32 v4, v4, v6, vcc
	v_cndmask_b32_e32 v1, v6, v1, vcc
	v_add_u32_e32 v6, -1, v4
	v_cmp_ge_i32_e32 vcc, v1, v4
	v_cmp_eq_u32_e64 s[0:1], v1, v6
	s_or_b64 s[0:1], vcc, s[0:1]
	s_and_b64 s[0:1], exec, s[0:1]
	s_or_b64 s[2:3], s[0:1], s[2:3]
	s_andn2_b64 exec, exec, s[2:3]
	s_cbranch_execnz .LBB83_122
; %bb.123:
	s_or_b64 exec, exec, s[2:3]
.LBB83_124:
	v_ashrrev_i32_e32 v5, 31, v4
	v_lshlrev_b64 v[5:6], 2, v[4:5]
	v_mov_b32_e32 v7, s13
	v_add_co_u32_e32 v5, vcc, s12, v5
	v_addc_co_u32_e32 v6, vcc, v7, v6, vcc
	global_load_dword v7, v[5:6], off
	global_load_dword v8, v[2:3], off offset:3072
	s_waitcnt vmcnt(1)
	v_subrev_u32_e32 v2, s24, v7
	v_cmp_lt_i32_e32 vcc, v9, v2
	v_cndmask_b32_e32 v2, v4, v1, vcc
	s_waitcnt vmcnt(0)
	v_subrev_u32_e32 v1, s24, v8
	v_cmp_ne_u32_e32 vcc, v1, v2
	s_and_saveexec_b64 s[2:3], vcc
	s_cbranch_execz .LBB83_134
; %bb.125:
	s_load_dword s0, s[10:11], 0x0
	s_waitcnt lgkmcnt(0)
	s_sub_i32 s0, s0, s24
	v_cmp_gt_i32_e32 vcc, s0, v9
	s_and_b64 exec, exec, vcc
	s_cbranch_execz .LBB83_134
; %bb.126:
	v_ashrrev_i32_e32 v3, 31, v2
	v_lshlrev_b64 v[2:3], 3, v[2:3]
	v_mov_b32_e32 v4, s19
	v_add_co_u32_e32 v2, vcc, s18, v2
	v_addc_co_u32_e32 v3, vcc, v4, v3, vcc
	global_load_dwordx2 v[2:3], v[2:3], off
	ds_read_b64 v[4:5], v11 offset:6144
	v_cmp_gt_i32_e32 vcc, s33, v1
	v_cmp_le_i32_e64 s[0:1], s23, v1
	s_or_b64 s[0:1], vcc, s[0:1]
	s_waitcnt vmcnt(0) lgkmcnt(0)
	v_mul_f32_e64 v7, v3, -v5
	v_mul_f32_e32 v6, v3, v4
	v_fmac_f32_e32 v7, v4, v2
	v_fmac_f32_e32 v6, v5, v2
	s_and_saveexec_b64 s[10:11], s[0:1]
	s_xor_b64 s[0:1], exec, s[10:11]
	s_cbranch_execz .LBB83_132
; %bb.127:
	v_ashrrev_i32_e32 v2, 31, v1
	v_lshlrev_b64 v[2:3], 3, v[1:2]
	v_mov_b32_e32 v4, s21
	v_add_co_u32_e32 v2, vcc, s20, v2
	v_addc_co_u32_e32 v3, vcc, v4, v3, vcc
	global_load_dword v5, v[2:3], off
	s_mov_b64 s[10:11], 0
.LBB83_128:                             ; =>This Inner Loop Header: Depth=1
	s_waitcnt vmcnt(0)
	v_add_f32_e32 v4, v5, v7
	global_atomic_cmpswap v4, v[2:3], v[4:5], off glc
	s_waitcnt vmcnt(0)
	v_cmp_eq_u32_e32 vcc, v4, v5
	s_or_b64 s[10:11], vcc, s[10:11]
	v_mov_b32_e32 v5, v4
	s_andn2_b64 exec, exec, s[10:11]
	s_cbranch_execnz .LBB83_128
; %bb.129:
	s_or_b64 exec, exec, s[10:11]
	global_load_dword v5, v[2:3], off offset:4
	s_mov_b64 s[10:11], 0
.LBB83_130:                             ; =>This Inner Loop Header: Depth=1
	s_waitcnt vmcnt(0)
	v_add_f32_e32 v4, v5, v6
	global_atomic_cmpswap v4, v[2:3], v[4:5], off offset:4 glc
	s_waitcnt vmcnt(0)
	v_cmp_eq_u32_e32 vcc, v4, v5
	s_or_b64 s[10:11], vcc, s[10:11]
	v_mov_b32_e32 v5, v4
	s_andn2_b64 exec, exec, s[10:11]
	s_cbranch_execnz .LBB83_130
; %bb.131:
	s_or_b64 exec, exec, s[10:11]
                                        ; implicit-def: $vgpr7
                                        ; implicit-def: $vgpr6
.LBB83_132:
	s_andn2_saveexec_b64 s[0:1], s[0:1]
	s_cbranch_execz .LBB83_134
; %bb.133:
	v_subrev_u32_e32 v2, s33, v1
	v_mov_b32_e32 v3, 0x2000
	v_lshl_add_u32 v2, v2, 3, v3
	ds_add_f32 v2, v7
	ds_add_f32 v2, v6 offset:4
.LBB83_134:
	s_or_b64 exec, exec, s[2:3]
	v_ashrrev_i32_e32 v2, 31, v1
	v_lshlrev_b64 v[1:2], 3, v[1:2]
	v_mov_b32_e32 v3, s19
	v_add_co_u32_e32 v1, vcc, s18, v1
	v_addc_co_u32_e32 v2, vcc, v3, v2, vcc
	global_load_dwordx2 v[1:2], v[1:2], off
	ds_read_b64 v[3:4], v11 offset:6144
	s_waitcnt vmcnt(0) lgkmcnt(0)
	v_mul_f32_e64 v5, v2, -v4
	v_mul_f32_e32 v6, v2, v3
	v_fmac_f32_e32 v5, v3, v1
	v_fmac_f32_e32 v6, v4, v1
	ds_write_b64 v11, v[5:6] offset:6144
.LBB83_135:
	s_or_b64 exec, exec, s[4:5]
	s_min_i32 s9, s23, s9
	s_sub_i32 s10, s9, s25
	v_cmp_gt_i32_e32 vcc, s10, v0
	s_waitcnt lgkmcnt(0)
	s_barrier
	s_and_saveexec_b64 s[0:1], vcc
	s_cbranch_execz .LBB83_142
; %bb.136:
	s_mov_b64 s[2:3], 0
	v_mov_b32_e32 v7, s21
	v_mov_b32_e32 v8, 0x2000
	;; [unrolled: 1-line block ×3, first 2 shown]
.LBB83_137:                             ; =>This Loop Header: Depth=1
                                        ;     Child Loop BB83_138 Depth 2
                                        ;     Child Loop BB83_140 Depth 2
	v_add_u32_e32 v1, s33, v9
	v_ashrrev_i32_e32 v2, 31, v1
	v_lshlrev_b64 v[1:2], 3, v[1:2]
	v_lshl_add_u32 v3, v9, 3, v8
	v_add_co_u32_e32 v1, vcc, s20, v1
	v_addc_co_u32_e32 v2, vcc, v7, v2, vcc
	global_load_dword v6, v[1:2], off
	ds_read2_b32 v[3:4], v3 offset1:1
	s_mov_b64 s[4:5], 0
.LBB83_138:                             ;   Parent Loop BB83_137 Depth=1
                                        ; =>  This Inner Loop Header: Depth=2
	s_waitcnt vmcnt(0) lgkmcnt(0)
	v_add_f32_e32 v5, v6, v3
	global_atomic_cmpswap v5, v[1:2], v[5:6], off glc
	s_waitcnt vmcnt(0)
	v_cmp_eq_u32_e32 vcc, v5, v6
	s_or_b64 s[4:5], vcc, s[4:5]
	v_mov_b32_e32 v6, v5
	s_andn2_b64 exec, exec, s[4:5]
	s_cbranch_execnz .LBB83_138
; %bb.139:                              ;   in Loop: Header=BB83_137 Depth=1
	s_or_b64 exec, exec, s[4:5]
	global_load_dword v6, v[1:2], off offset:4
	s_mov_b64 s[4:5], 0
.LBB83_140:                             ;   Parent Loop BB83_137 Depth=1
                                        ; =>  This Inner Loop Header: Depth=2
	s_waitcnt vmcnt(0)
	v_add_f32_e32 v5, v6, v4
	global_atomic_cmpswap v3, v[1:2], v[5:6], off offset:4 glc
	s_waitcnt vmcnt(0)
	v_cmp_eq_u32_e32 vcc, v3, v6
	s_or_b64 s[4:5], vcc, s[4:5]
	v_mov_b32_e32 v6, v3
	s_andn2_b64 exec, exec, s[4:5]
	s_cbranch_execnz .LBB83_140
; %bb.141:                              ;   in Loop: Header=BB83_137 Depth=1
	s_or_b64 exec, exec, s[4:5]
	v_add_u32_e32 v9, 0x100, v9
	v_cmp_le_i32_e32 vcc, s10, v9
	s_or_b64 s[2:3], vcc, s[2:3]
	s_andn2_b64 exec, exec, s[2:3]
	s_cbranch_execnz .LBB83_137
.LBB83_142:
	s_or_b64 exec, exec, s[0:1]
	s_mul_i32 s0, s8, s25
	s_sub_i32 s0, s31, s0
	s_add_i32 s1, s8, 1
	s_sub_i32 s2, s0, s25
	s_cmp_ge_u32 s0, s25
	s_cselect_b32 s1, s1, s8
	s_cselect_b32 s0, s2, s0
	s_add_i32 s2, s1, 1
	s_cmp_ge_u32 s0, s25
	s_cselect_b32 s0, s2, s1
	s_add_i32 s0, s0, -1
	s_ashr_i32 s1, s0, 1
	s_or_b32 s0, s1, s0
	s_ashr_i32 s1, s0, 2
	s_or_b32 s0, s1, s0
	;; [unrolled: 2-line block ×5, first 2 shown]
	s_add_i32 s0, s0, 1
	s_ashr_i32 s11, s0, 1
	v_add_u32_e32 v1, s22, v0
	s_cmp_gt_i32 s11, 1
	s_mov_b64 s[0:1], -1
	s_barrier
	s_cbranch_scc1 .LBB83_155
; %bb.143:
	v_cmp_gt_i32_e32 vcc, s23, v1
	s_and_saveexec_b64 s[0:1], vcc
	s_cbranch_execz .LBB83_154
; %bb.144:
	s_sub_i32 s2, s9, s23
	s_lshl_b32 s2, s2, 3
	s_add_i32 s14, s2, 0x2000
	s_lshl_b32 s2, s30, 3
	s_sub_i32 s15, 0, s2
	s_mov_b64 s[2:3], 0
	v_mov_b32_e32 v9, s13
	v_mov_b32_e32 v10, s21
	;; [unrolled: 1-line block ×3, first 2 shown]
.LBB83_145:                             ; =>This Loop Header: Depth=1
                                        ;     Child Loop BB83_147 Depth 2
                                        ;     Child Loop BB83_150 Depth 2
	;; [unrolled: 1-line block ×3, first 2 shown]
	v_ashrrev_i32_e32 v3, 31, v2
	v_lshlrev_b64 v[4:5], 2, v[2:3]
	v_mov_b32_e32 v12, 0
	v_add_co_u32_e32 v4, vcc, s12, v4
	v_addc_co_u32_e32 v5, vcc, v9, v5, vcc
	global_load_dwordx2 v[4:5], v[4:5], off
	v_mov_b32_e32 v7, 0
	s_waitcnt vmcnt(0)
	v_cmp_lt_i32_e32 vcc, v4, v5
	s_and_saveexec_b64 s[4:5], vcc
	s_cbranch_execz .LBB83_149
; %bb.146:                              ;   in Loop: Header=BB83_145 Depth=1
	v_subrev_u32_e32 v5, s30, v5
	v_subrev_u32_e32 v6, s30, v4
	v_lshl_add_u32 v4, v4, 3, s15
	v_mov_b32_e32 v12, 0
	s_mov_b64 s[8:9], 0
	v_mov_b32_e32 v7, 0
.LBB83_147:                             ;   Parent Loop BB83_145 Depth=1
                                        ; =>  This Inner Loop Header: Depth=2
	ds_read_b64 v[13:14], v4
	v_add_u32_e32 v6, 1, v6
	v_cmp_ge_i32_e32 vcc, v6, v5
	v_add_u32_e32 v4, 8, v4
	s_or_b64 s[8:9], vcc, s[8:9]
	s_waitcnt lgkmcnt(0)
	v_add_f32_e32 v7, v7, v13
	v_add_f32_e32 v12, v12, v14
	s_andn2_b64 exec, exec, s[8:9]
	s_cbranch_execnz .LBB83_147
; %bb.148:                              ;   in Loop: Header=BB83_145 Depth=1
	s_or_b64 exec, exec, s[8:9]
.LBB83_149:                             ;   in Loop: Header=BB83_145 Depth=1
	s_or_b64 exec, exec, s[4:5]
	v_lshlrev_b64 v[3:4], 3, v[2:3]
	v_lshl_add_u32 v5, v2, 3, s14
	v_add_co_u32_e32 v3, vcc, s20, v3
	v_addc_co_u32_e32 v4, vcc, v10, v4, vcc
	global_load_dword v8, v[3:4], off
	ds_read2_b32 v[5:6], v5 offset1:1
	s_mov_b64 s[4:5], 0
	s_waitcnt lgkmcnt(0)
	v_add_f32_e32 v5, v7, v5
.LBB83_150:                             ;   Parent Loop BB83_145 Depth=1
                                        ; =>  This Inner Loop Header: Depth=2
	s_waitcnt vmcnt(0)
	v_add_f32_e32 v7, v8, v5
	global_atomic_cmpswap v7, v[3:4], v[7:8], off glc
	s_waitcnt vmcnt(0)
	v_cmp_eq_u32_e32 vcc, v7, v8
	s_or_b64 s[4:5], vcc, s[4:5]
	v_mov_b32_e32 v8, v7
	s_andn2_b64 exec, exec, s[4:5]
	s_cbranch_execnz .LBB83_150
; %bb.151:                              ;   in Loop: Header=BB83_145 Depth=1
	s_or_b64 exec, exec, s[4:5]
	global_load_dword v7, v[3:4], off offset:4
	v_add_f32_e32 v5, v12, v6
	s_mov_b64 s[4:5], 0
.LBB83_152:                             ;   Parent Loop BB83_145 Depth=1
                                        ; =>  This Inner Loop Header: Depth=2
	s_waitcnt vmcnt(0)
	v_add_f32_e32 v6, v7, v5
	global_atomic_cmpswap v6, v[3:4], v[6:7], off offset:4 glc
	s_waitcnt vmcnt(0)
	v_cmp_eq_u32_e32 vcc, v6, v7
	s_or_b64 s[4:5], vcc, s[4:5]
	v_mov_b32_e32 v7, v6
	s_andn2_b64 exec, exec, s[4:5]
	s_cbranch_execnz .LBB83_152
; %bb.153:                              ;   in Loop: Header=BB83_145 Depth=1
	s_or_b64 exec, exec, s[4:5]
	v_add_u32_e32 v2, s31, v2
	v_cmp_le_i32_e32 vcc, s23, v2
	s_or_b64 s[2:3], vcc, s[2:3]
	s_andn2_b64 exec, exec, s[2:3]
	s_cbranch_execnz .LBB83_145
.LBB83_154:
	s_or_b64 exec, exec, s[0:1]
	s_mov_b64 s[0:1], 0
.LBB83_155:
	s_andn2_b64 vcc, exec, s[0:1]
	s_cbranch_vccnz .LBB83_171
; %bb.156:
	v_cvt_f32_u32_e32 v2, s11
	s_sub_i32 s0, 0, s11
	v_rcp_iflag_f32_e32 v2, v2
	v_mul_f32_e32 v2, 0x4f7ffffe, v2
	v_cvt_u32_f32_e32 v2, v2
	v_mul_lo_u32 v3, s0, v2
	v_mul_hi_u32 v3, v2, v3
	v_add_u32_e32 v2, v2, v3
	v_mul_hi_u32 v2, v0, v2
	v_mul_lo_u32 v3, v2, s11
	v_add_u32_e32 v4, 1, v2
	v_sub_u32_e32 v3, v0, v3
	v_cmp_le_u32_e32 vcc, s11, v3
	v_cndmask_b32_e32 v2, v2, v4, vcc
	v_subrev_u32_e32 v4, s11, v3
	v_cndmask_b32_e32 v3, v3, v4, vcc
	v_add_u32_e32 v4, 1, v2
	v_cmp_le_u32_e32 vcc, s11, v3
	v_cndmask_b32_e32 v2, v2, v4, vcc
	v_lshlrev_b32_e32 v3, 2, v2
	global_load_dwordx2 v[4:5], v3, s[6:7]
	v_cmp_gt_i32_e32 vcc, s25, v2
	v_mov_b32_e32 v3, 0
	v_mov_b32_e32 v2, 0
	s_and_saveexec_b64 s[0:1], vcc
	s_cbranch_execz .LBB83_164
; %bb.157:
	s_abs_i32 s4, s11
	v_cvt_f32_u32_e32 v2, s4
	s_sub_i32 s2, 0, s4
	s_waitcnt vmcnt(0)
	v_subrev_u32_e32 v4, s30, v4
	v_subrev_u32_e32 v6, s30, v5
	v_rcp_iflag_f32_e32 v2, v2
	v_sub_u32_e32 v5, v6, v4
	v_sub_u32_e32 v7, 0, v5
	v_max_i32_e32 v10, v5, v7
	v_mul_f32_e32 v2, 0x4f7ffffe, v2
	v_cvt_u32_f32_e32 v2, v2
	s_ashr_i32 s5, s11, 31
	s_add_i32 s6, s11, -1
	v_mul_lo_u32 v3, s2, v2
	v_mul_hi_u32 v3, v2, v3
	v_add_u32_e32 v2, v2, v3
	v_mad_u64_u32 v[8:9], s[2:3], v10, v2, 0
	v_ashrrev_i32_e32 v2, 31, v5
	v_xor_b32_e32 v2, s5, v2
	v_mul_lo_u32 v5, v9, s4
	v_add_u32_e32 v12, 1, v9
	v_and_b32_e32 v8, s6, v0
	v_mov_b32_e32 v3, 0
	v_sub_u32_e32 v5, v10, v5
	v_cmp_le_u32_e32 vcc, s4, v5
	v_subrev_u32_e32 v10, s4, v5
	v_cndmask_b32_e32 v9, v9, v12, vcc
	v_cndmask_b32_e32 v5, v5, v10, vcc
	v_add_u32_e32 v10, 1, v9
	v_cmp_le_u32_e32 vcc, s4, v5
	v_cndmask_b32_e32 v5, v9, v10, vcc
	v_xor_b32_e32 v5, v5, v2
	v_sub_u32_e32 v5, v5, v2
	v_lshlrev_b32_e32 v7, 3, v8
	v_cmp_lt_i32_e32 vcc, 0, v5
	v_mov_b32_e32 v2, 0
	s_and_saveexec_b64 s[2:3], vcc
	s_cbranch_execz .LBB83_161
; %bb.158:
	v_mov_b32_e32 v3, 0
	v_lshl_add_u32 v9, v4, 3, v7
	s_lshl_b32 s6, s11, 3
	s_mov_b64 s[4:5], 0
	v_mov_b32_e32 v10, v5
	v_mov_b32_e32 v2, v3
.LBB83_159:                             ; =>This Inner Loop Header: Depth=1
	ds_read_b64 v[12:13], v9
	v_add_u32_e32 v10, -1, v10
	v_cmp_eq_u32_e32 vcc, 0, v10
	v_add_u32_e32 v9, s6, v9
	s_or_b64 s[4:5], vcc, s[4:5]
	s_waitcnt lgkmcnt(0)
	v_add_f32_e32 v2, v2, v12
	v_add_f32_e32 v3, v3, v13
	s_andn2_b64 exec, exec, s[4:5]
	s_cbranch_execnz .LBB83_159
; %bb.160:
	s_or_b64 exec, exec, s[4:5]
.LBB83_161:
	s_or_b64 exec, exec, s[2:3]
	v_mad_u64_u32 v[4:5], s[2:3], v5, s11, v[4:5]
	v_sub_u32_e32 v5, v6, v4
	v_cmp_lt_i32_e32 vcc, v8, v5
	s_and_saveexec_b64 s[2:3], vcc
	s_cbranch_execz .LBB83_163
; %bb.162:
	v_lshl_add_u32 v4, v4, 3, v7
	ds_read_b64 v[4:5], v4
	s_waitcnt lgkmcnt(0)
	v_add_f32_e32 v2, v2, v4
	v_add_f32_e32 v3, v3, v5
.LBB83_163:
	s_or_b64 exec, exec, s[2:3]
.LBB83_164:
	s_or_b64 exec, exec, s[0:1]
	v_cmp_gt_i32_e32 vcc, s25, v0
	s_waitcnt vmcnt(0)
	s_barrier
	ds_write_b64 v11, v[2:3]
	s_waitcnt lgkmcnt(0)
	s_barrier
	s_and_b64 exec, exec, vcc
	s_cbranch_execz .LBB83_171
; %bb.165:
	v_mul_lo_u32 v2, s11, v0
	v_mov_b32_e32 v7, 0
	v_mov_b32_e32 v5, 0
	v_lshlrev_b32_e32 v2, 3, v2
.LBB83_166:                             ; =>This Inner Loop Header: Depth=1
	ds_read_b64 v[3:4], v2
	s_add_i32 s11, s11, -1
	v_add_u32_e32 v2, 8, v2
	s_cmp_eq_u32 s11, 0
	s_waitcnt lgkmcnt(0)
	v_add_f32_e32 v5, v5, v3
	v_add_f32_e32 v7, v7, v4
	s_cbranch_scc0 .LBB83_166
; %bb.167:
	v_ashrrev_i32_e32 v2, 31, v1
	v_lshlrev_b64 v[1:2], 3, v[1:2]
	v_mov_b32_e32 v3, s21
	v_add_co_u32_e32 v1, vcc, s20, v1
	v_addc_co_u32_e32 v2, vcc, v3, v2, vcc
	global_load_dword v6, v[1:2], off
	s_lshl_b32 s0, s10, 3
	s_addk_i32 s0, 0x2000
	v_lshl_add_u32 v0, v0, 3, s0
	ds_read2_b32 v[3:4], v0 offset1:1
	s_mov_b64 s[0:1], 0
	s_waitcnt lgkmcnt(0)
	v_add_f32_e32 v0, v5, v3
.LBB83_168:                             ; =>This Inner Loop Header: Depth=1
	s_waitcnt vmcnt(0)
	v_add_f32_e32 v5, v6, v0
	global_atomic_cmpswap v3, v[1:2], v[5:6], off glc
	s_waitcnt vmcnt(0)
	v_cmp_eq_u32_e32 vcc, v3, v6
	s_or_b64 s[0:1], vcc, s[0:1]
	v_mov_b32_e32 v6, v3
	s_andn2_b64 exec, exec, s[0:1]
	s_cbranch_execnz .LBB83_168
; %bb.169:
	s_or_b64 exec, exec, s[0:1]
	global_load_dword v5, v[1:2], off offset:4
	v_add_f32_e32 v0, v7, v4
	s_mov_b64 s[0:1], 0
.LBB83_170:                             ; =>This Inner Loop Header: Depth=1
	s_waitcnt vmcnt(0)
	v_add_f32_e32 v4, v5, v0
	global_atomic_cmpswap v3, v[1:2], v[4:5], off offset:4 glc
	s_waitcnt vmcnt(0)
	v_cmp_eq_u32_e32 vcc, v3, v5
	s_or_b64 s[0:1], vcc, s[0:1]
	v_mov_b32_e32 v5, v3
	s_andn2_b64 exec, exec, s[0:1]
	s_cbranch_execnz .LBB83_170
.LBB83_171:
	s_endpgm
	.section	.rodata,"a",@progbits
	.p2align	6, 0x0
	.amdhsa_kernel _ZN9rocsparseL27csrmvn_symm_adaptive_kernelIiif21rocsparse_complex_numIfES2_S2_EEvbT_S3_PKS3_NS_24const_host_device_scalarIT4_EES5_PKT0_PKT1_PKT2_S8_PT3_21rocsparse_index_base_b
		.amdhsa_group_segment_fixed_size 8192
		.amdhsa_private_segment_fixed_size 0
		.amdhsa_kernarg_size 344
		.amdhsa_user_sgpr_count 6
		.amdhsa_user_sgpr_private_segment_buffer 1
		.amdhsa_user_sgpr_dispatch_ptr 0
		.amdhsa_user_sgpr_queue_ptr 0
		.amdhsa_user_sgpr_kernarg_segment_ptr 1
		.amdhsa_user_sgpr_dispatch_id 0
		.amdhsa_user_sgpr_flat_scratch_init 0
		.amdhsa_user_sgpr_private_segment_size 0
		.amdhsa_uses_dynamic_stack 0
		.amdhsa_system_sgpr_private_segment_wavefront_offset 0
		.amdhsa_system_sgpr_workgroup_id_x 1
		.amdhsa_system_sgpr_workgroup_id_y 0
		.amdhsa_system_sgpr_workgroup_id_z 0
		.amdhsa_system_sgpr_workgroup_info 0
		.amdhsa_system_vgpr_workitem_id 0
		.amdhsa_next_free_vgpr 29
		.amdhsa_next_free_sgpr 61
		.amdhsa_reserve_vcc 1
		.amdhsa_reserve_flat_scratch 0
		.amdhsa_float_round_mode_32 0
		.amdhsa_float_round_mode_16_64 0
		.amdhsa_float_denorm_mode_32 3
		.amdhsa_float_denorm_mode_16_64 3
		.amdhsa_dx10_clamp 1
		.amdhsa_ieee_mode 1
		.amdhsa_fp16_overflow 0
		.amdhsa_exception_fp_ieee_invalid_op 0
		.amdhsa_exception_fp_denorm_src 0
		.amdhsa_exception_fp_ieee_div_zero 0
		.amdhsa_exception_fp_ieee_overflow 0
		.amdhsa_exception_fp_ieee_underflow 0
		.amdhsa_exception_fp_ieee_inexact 0
		.amdhsa_exception_int_div_zero 0
	.end_amdhsa_kernel
	.section	.text._ZN9rocsparseL27csrmvn_symm_adaptive_kernelIiif21rocsparse_complex_numIfES2_S2_EEvbT_S3_PKS3_NS_24const_host_device_scalarIT4_EES5_PKT0_PKT1_PKT2_S8_PT3_21rocsparse_index_base_b,"axG",@progbits,_ZN9rocsparseL27csrmvn_symm_adaptive_kernelIiif21rocsparse_complex_numIfES2_S2_EEvbT_S3_PKS3_NS_24const_host_device_scalarIT4_EES5_PKT0_PKT1_PKT2_S8_PT3_21rocsparse_index_base_b,comdat
.Lfunc_end83:
	.size	_ZN9rocsparseL27csrmvn_symm_adaptive_kernelIiif21rocsparse_complex_numIfES2_S2_EEvbT_S3_PKS3_NS_24const_host_device_scalarIT4_EES5_PKT0_PKT1_PKT2_S8_PT3_21rocsparse_index_base_b, .Lfunc_end83-_ZN9rocsparseL27csrmvn_symm_adaptive_kernelIiif21rocsparse_complex_numIfES2_S2_EEvbT_S3_PKS3_NS_24const_host_device_scalarIT4_EES5_PKT0_PKT1_PKT2_S8_PT3_21rocsparse_index_base_b
                                        ; -- End function
	.set _ZN9rocsparseL27csrmvn_symm_adaptive_kernelIiif21rocsparse_complex_numIfES2_S2_EEvbT_S3_PKS3_NS_24const_host_device_scalarIT4_EES5_PKT0_PKT1_PKT2_S8_PT3_21rocsparse_index_base_b.num_vgpr, 19
	.set _ZN9rocsparseL27csrmvn_symm_adaptive_kernelIiif21rocsparse_complex_numIfES2_S2_EEvbT_S3_PKS3_NS_24const_host_device_scalarIT4_EES5_PKT0_PKT1_PKT2_S8_PT3_21rocsparse_index_base_b.num_agpr, 0
	.set _ZN9rocsparseL27csrmvn_symm_adaptive_kernelIiif21rocsparse_complex_numIfES2_S2_EEvbT_S3_PKS3_NS_24const_host_device_scalarIT4_EES5_PKT0_PKT1_PKT2_S8_PT3_21rocsparse_index_base_b.numbered_sgpr, 38
	.set _ZN9rocsparseL27csrmvn_symm_adaptive_kernelIiif21rocsparse_complex_numIfES2_S2_EEvbT_S3_PKS3_NS_24const_host_device_scalarIT4_EES5_PKT0_PKT1_PKT2_S8_PT3_21rocsparse_index_base_b.num_named_barrier, 0
	.set _ZN9rocsparseL27csrmvn_symm_adaptive_kernelIiif21rocsparse_complex_numIfES2_S2_EEvbT_S3_PKS3_NS_24const_host_device_scalarIT4_EES5_PKT0_PKT1_PKT2_S8_PT3_21rocsparse_index_base_b.private_seg_size, 0
	.set _ZN9rocsparseL27csrmvn_symm_adaptive_kernelIiif21rocsparse_complex_numIfES2_S2_EEvbT_S3_PKS3_NS_24const_host_device_scalarIT4_EES5_PKT0_PKT1_PKT2_S8_PT3_21rocsparse_index_base_b.uses_vcc, 1
	.set _ZN9rocsparseL27csrmvn_symm_adaptive_kernelIiif21rocsparse_complex_numIfES2_S2_EEvbT_S3_PKS3_NS_24const_host_device_scalarIT4_EES5_PKT0_PKT1_PKT2_S8_PT3_21rocsparse_index_base_b.uses_flat_scratch, 0
	.set _ZN9rocsparseL27csrmvn_symm_adaptive_kernelIiif21rocsparse_complex_numIfES2_S2_EEvbT_S3_PKS3_NS_24const_host_device_scalarIT4_EES5_PKT0_PKT1_PKT2_S8_PT3_21rocsparse_index_base_b.has_dyn_sized_stack, 0
	.set _ZN9rocsparseL27csrmvn_symm_adaptive_kernelIiif21rocsparse_complex_numIfES2_S2_EEvbT_S3_PKS3_NS_24const_host_device_scalarIT4_EES5_PKT0_PKT1_PKT2_S8_PT3_21rocsparse_index_base_b.has_recursion, 0
	.set _ZN9rocsparseL27csrmvn_symm_adaptive_kernelIiif21rocsparse_complex_numIfES2_S2_EEvbT_S3_PKS3_NS_24const_host_device_scalarIT4_EES5_PKT0_PKT1_PKT2_S8_PT3_21rocsparse_index_base_b.has_indirect_call, 0
	.section	.AMDGPU.csdata,"",@progbits
; Kernel info:
; codeLenInByte = 7236
; TotalNumSgprs: 42
; NumVgprs: 19
; ScratchSize: 0
; MemoryBound: 0
; FloatMode: 240
; IeeeMode: 1
; LDSByteSize: 8192 bytes/workgroup (compile time only)
; SGPRBlocks: 8
; VGPRBlocks: 7
; NumSGPRsForWavesPerEU: 65
; NumVGPRsForWavesPerEU: 29
; Occupancy: 8
; WaveLimiterHint : 1
; COMPUTE_PGM_RSRC2:SCRATCH_EN: 0
; COMPUTE_PGM_RSRC2:USER_SGPR: 6
; COMPUTE_PGM_RSRC2:TRAP_HANDLER: 0
; COMPUTE_PGM_RSRC2:TGID_X_EN: 1
; COMPUTE_PGM_RSRC2:TGID_Y_EN: 0
; COMPUTE_PGM_RSRC2:TGID_Z_EN: 0
; COMPUTE_PGM_RSRC2:TIDIG_COMP_CNT: 0
	.section	.text._ZL33csrmvn_symm_large_adaptive_kernelIiif21rocsparse_complex_numIfES1_S1_EvbT_PKS2_N9rocsparse24const_host_device_scalarIT4_EES4_PKT0_PKT1_PKT2_S8_PT3_21rocsparse_index_base_b,"axG",@progbits,_ZL33csrmvn_symm_large_adaptive_kernelIiif21rocsparse_complex_numIfES1_S1_EvbT_PKS2_N9rocsparse24const_host_device_scalarIT4_EES4_PKT0_PKT1_PKT2_S8_PT3_21rocsparse_index_base_b,comdat
	.globl	_ZL33csrmvn_symm_large_adaptive_kernelIiif21rocsparse_complex_numIfES1_S1_EvbT_PKS2_N9rocsparse24const_host_device_scalarIT4_EES4_PKT0_PKT1_PKT2_S8_PT3_21rocsparse_index_base_b ; -- Begin function _ZL33csrmvn_symm_large_adaptive_kernelIiif21rocsparse_complex_numIfES1_S1_EvbT_PKS2_N9rocsparse24const_host_device_scalarIT4_EES4_PKT0_PKT1_PKT2_S8_PT3_21rocsparse_index_base_b
	.p2align	8
	.type	_ZL33csrmvn_symm_large_adaptive_kernelIiif21rocsparse_complex_numIfES1_S1_EvbT_PKS2_N9rocsparse24const_host_device_scalarIT4_EES4_PKT0_PKT1_PKT2_S8_PT3_21rocsparse_index_base_b,@function
_ZL33csrmvn_symm_large_adaptive_kernelIiif21rocsparse_complex_numIfES1_S1_EvbT_PKS2_N9rocsparse24const_host_device_scalarIT4_EES4_PKT0_PKT1_PKT2_S8_PT3_21rocsparse_index_base_b: ; @_ZL33csrmvn_symm_large_adaptive_kernelIiif21rocsparse_complex_numIfES1_S1_EvbT_PKS2_N9rocsparse24const_host_device_scalarIT4_EES4_PKT0_PKT1_PKT2_S8_PT3_21rocsparse_index_base_b
; %bb.0:
	s_load_dwordx2 s[10:11], s[4:5], 0x48
	s_load_dwordx2 s[0:1], s[4:5], 0x10
	s_add_u32 s7, s4, 16
	s_addc_u32 s12, s5, 0
	s_waitcnt lgkmcnt(0)
	s_bitcmp1_b32 s11, 0
	s_cselect_b64 s[8:9], -1, 0
	s_and_b64 s[2:3], s[8:9], exec
	s_cselect_b32 s1, s12, s1
	s_cselect_b32 s0, s7, s0
	v_mov_b32_e32 v1, s0
	v_mov_b32_e32 v2, s1
	flat_load_dwordx2 v[1:2], v[1:2]
	s_waitcnt vmcnt(0) lgkmcnt(0)
	v_cmp_eq_f32_e32 vcc, 0, v1
	v_cmp_eq_f32_e64 s[0:1], 0, v2
	s_and_b64 s[12:13], vcc, s[0:1]
	s_mov_b64 s[0:1], -1
	s_and_saveexec_b64 s[2:3], s[12:13]
	s_cbranch_execz .LBB84_2
; %bb.1:
	s_load_dwordx2 s[0:1], s[4:5], 0x38
	s_add_u32 s7, s4, 56
	s_addc_u32 s11, s5, 0
	s_and_b64 s[8:9], s[8:9], exec
	s_waitcnt lgkmcnt(0)
	s_cselect_b32 s1, s11, s1
	s_cselect_b32 s0, s7, s0
	v_mov_b32_e32 v3, s0
	v_mov_b32_e32 v4, s1
	flat_load_dwordx2 v[3:4], v[3:4]
	s_waitcnt vmcnt(0) lgkmcnt(0)
	v_cmp_neq_f32_e32 vcc, 1.0, v3
	v_cmp_neq_f32_e64 s[0:1], 0, v4
	s_or_b64 s[0:1], vcc, s[0:1]
	s_orn2_b64 s[0:1], s[0:1], exec
.LBB84_2:
	s_or_b64 exec, exec, s[2:3]
	s_and_saveexec_b64 s[2:3], s[0:1]
	s_cbranch_execz .LBB84_43
; %bb.3:
	s_load_dwordx2 s[0:1], s[4:5], 0x8
	s_mov_b32 s2, 0
	s_mov_b32 s3, s2
	v_mov_b32_e32 v4, s3
	s_ashr_i32 s7, s6, 31
	v_mov_b32_e32 v3, s2
	s_lshl_b64 s[2:3], s[6:7], 2
	s_waitcnt lgkmcnt(0)
	s_add_u32 s0, s0, s2
	v_lshlrev_b32_e32 v10, 3, v0
	s_addc_u32 s1, s1, s3
	ds_write2st64_b64 v10, v[3:4], v[3:4] offset1:4
	ds_write2st64_b64 v10, v[3:4], v[3:4] offset0:8 offset1:12
	s_waitcnt lgkmcnt(0)
	s_barrier
	s_load_dwordx2 s[20:21], s[0:1], 0x0
	s_load_dwordx8 s[12:19], s[4:5], 0x18
	s_load_dwordx2 s[22:23], s[4:5], 0x40
	v_subrev_u32_e32 v11, s10, v0
	s_waitcnt lgkmcnt(0)
	s_cmp_ge_i32 s20, s21
	s_cbranch_scc1 .LBB84_31
; %bb.4:
	v_cmp_gt_u32_e64 s[0:1], 64, v0
	v_cmp_gt_u32_e64 s[2:3], 16, v0
	;; [unrolled: 1-line block ×3, first 2 shown]
	v_cmp_eq_u32_e64 s[6:7], 0, v0
	v_mov_b32_e32 v0, 0
	s_mov_b32 s24, s20
	s_branch .LBB84_6
.LBB84_5:                               ;   in Loop: Header=BB84_6 Depth=1
	s_or_b64 exec, exec, s[8:9]
	s_add_i32 s24, s24, 1
	s_cmp_ge_i32 s24, s21
	s_cbranch_scc1 .LBB84_31
.LBB84_6:                               ; =>This Loop Header: Depth=1
                                        ;     Child Loop BB84_8 Depth 2
                                        ;     Child Loop BB84_20 Depth 2
	;; [unrolled: 1-line block ×5, first 2 shown]
	s_ashr_i32 s25, s24, 31
	s_lshl_b64 s[8:9], s[24:25], 2
	s_add_u32 s8, s12, s8
	s_addc_u32 s9, s13, s9
	s_load_dwordx2 s[26:27], s[8:9], 0x0
	v_mov_b32_e32 v5, 0
	v_mov_b32_e32 v4, 0
	s_waitcnt lgkmcnt(0)
	s_sub_i32 s11, s27, s10
	v_add_u32_e32 v3, s26, v11
	v_cmp_gt_i32_e32 vcc, s11, v3
	s_and_saveexec_b64 s[26:27], vcc
	s_cbranch_execz .LBB84_10
; %bb.7:                                ;   in Loop: Header=BB84_6 Depth=1
	v_ashrrev_i32_e32 v4, 31, v3
	v_lshlrev_b64 v[4:5], 2, v[3:4]
	v_mov_b32_e32 v7, s15
	v_add_co_u32_e32 v6, vcc, s14, v4
	v_addc_co_u32_e32 v7, vcc, v7, v5, vcc
	v_mov_b32_e32 v9, s17
	v_add_co_u32_e32 v8, vcc, s16, v4
	v_addc_co_u32_e32 v9, vcc, v9, v5, vcc
	v_mov_b32_e32 v5, 0
	s_mov_b64 s[28:29], 0
	v_mov_b32_e32 v4, v5
.LBB84_8:                               ;   Parent Loop BB84_6 Depth=1
                                        ; =>  This Inner Loop Header: Depth=2
	global_load_dword v12, v[6:7], off
	global_load_dword v14, v[8:9], off
	v_mov_b32_e32 v15, s19
	v_add_u32_e32 v3, 0x100, v3
	v_cmp_le_i32_e64 s[8:9], s11, v3
	s_or_b64 s[28:29], s[8:9], s[28:29]
	s_waitcnt vmcnt(1)
	v_subrev_u32_e32 v12, s10, v12
	v_ashrrev_i32_e32 v13, 31, v12
	v_lshlrev_b64 v[12:13], 3, v[12:13]
	v_add_co_u32_e32 v12, vcc, s18, v12
	v_addc_co_u32_e32 v13, vcc, v15, v13, vcc
	global_load_dwordx2 v[12:13], v[12:13], off
	v_add_co_u32_e32 v6, vcc, 0x400, v6
	v_addc_co_u32_e32 v7, vcc, 0, v7, vcc
	v_add_co_u32_e32 v8, vcc, 0x400, v8
	v_addc_co_u32_e32 v9, vcc, 0, v9, vcc
	s_waitcnt vmcnt(0)
	v_fmac_f32_e32 v4, v14, v12
	v_fmac_f32_e32 v5, 0, v12
	;; [unrolled: 1-line block ×4, first 2 shown]
	s_andn2_b64 exec, exec, s[28:29]
	s_cbranch_execnz .LBB84_8
; %bb.9:                                ;   in Loop: Header=BB84_6 Depth=1
	s_or_b64 exec, exec, s[28:29]
.LBB84_10:                              ;   in Loop: Header=BB84_6 Depth=1
	s_or_b64 exec, exec, s[26:27]
	ds_write_b64 v10, v[4:5]
	s_waitcnt lgkmcnt(0)
	s_barrier
	ds_read2st64_b64 v[3:6], v10 offset1:4
	ds_read2st64_b64 v[12:15], v10 offset0:8 offset1:12
	s_waitcnt lgkmcnt(0)
	v_add_f32_e32 v5, v12, v5
	v_add_f32_e32 v6, v13, v6
	;; [unrolled: 1-line block ×6, first 2 shown]
	ds_write_b64 v10, v[3:4]
	s_waitcnt lgkmcnt(0)
	s_barrier
	s_and_saveexec_b64 s[8:9], s[0:1]
	s_cbranch_execz .LBB84_12
; %bb.11:                               ;   in Loop: Header=BB84_6 Depth=1
	ds_read2st64_b64 v[3:6], v10 offset1:1
	ds_read2st64_b64 v[12:15], v10 offset0:2 offset1:3
	s_waitcnt lgkmcnt(0)
	v_add_f32_e32 v5, v12, v5
	v_add_f32_e32 v6, v13, v6
	;; [unrolled: 1-line block ×6, first 2 shown]
	ds_write_b64 v10, v[3:4]
.LBB84_12:                              ;   in Loop: Header=BB84_6 Depth=1
	s_or_b64 exec, exec, s[8:9]
	s_waitcnt lgkmcnt(0)
	s_barrier
	s_and_saveexec_b64 s[8:9], s[2:3]
	s_cbranch_execz .LBB84_14
; %bb.13:                               ;   in Loop: Header=BB84_6 Depth=1
	ds_read2_b64 v[3:6], v10 offset1:16
	ds_read2_b64 v[12:15], v10 offset0:32 offset1:48
	s_waitcnt lgkmcnt(0)
	v_add_f32_e32 v5, v12, v5
	v_add_f32_e32 v6, v13, v6
	;; [unrolled: 1-line block ×6, first 2 shown]
	ds_write_b64 v10, v[3:4]
.LBB84_14:                              ;   in Loop: Header=BB84_6 Depth=1
	s_or_b64 exec, exec, s[8:9]
	s_waitcnt lgkmcnt(0)
	s_barrier
	s_and_saveexec_b64 s[8:9], s[4:5]
	s_cbranch_execz .LBB84_16
; %bb.15:                               ;   in Loop: Header=BB84_6 Depth=1
	ds_read2_b64 v[3:6], v10 offset1:4
	ds_read2_b64 v[12:15], v10 offset0:8 offset1:12
	s_waitcnt lgkmcnt(0)
	v_add_f32_e32 v5, v12, v5
	v_add_f32_e32 v6, v13, v6
	;; [unrolled: 1-line block ×6, first 2 shown]
	ds_write_b64 v10, v[3:4]
.LBB84_16:                              ;   in Loop: Header=BB84_6 Depth=1
	s_or_b64 exec, exec, s[8:9]
	s_waitcnt lgkmcnt(0)
	s_barrier
	s_and_saveexec_b64 s[8:9], s[6:7]
	s_cbranch_execz .LBB84_18
; %bb.17:                               ;   in Loop: Header=BB84_6 Depth=1
	ds_read_b128 v[3:6], v0 offset:16
	ds_read_b64 v[7:8], v0 offset:8
	ds_read_b64 v[12:13], v10
	s_waitcnt lgkmcnt(1)
	v_add_f32_e32 v3, v3, v7
	v_add_f32_e32 v4, v4, v8
	;; [unrolled: 1-line block ×4, first 2 shown]
	s_waitcnt lgkmcnt(0)
	v_add_f32_e32 v3, v3, v12
	v_add_f32_e32 v4, v4, v13
	ds_write_b64 v10, v[3:4]
.LBB84_18:                              ;   in Loop: Header=BB84_6 Depth=1
	s_or_b64 exec, exec, s[8:9]
	s_waitcnt lgkmcnt(0)
	s_barrier
	s_and_saveexec_b64 s[8:9], s[6:7]
	s_cbranch_execz .LBB84_5
; %bb.19:                               ;   in Loop: Header=BB84_6 Depth=1
	ds_read_b64 v[3:4], v0
	s_mov_b64 s[26:27], exec
	v_bfrev_b32_e32 v7, 1
	s_waitcnt lgkmcnt(0)
	v_mul_f32_e64 v5, v4, -v2
	v_fmac_f32_e32 v5, v1, v3
.LBB84_20:                              ;   Parent Loop BB84_6 Depth=1
                                        ; =>  This Inner Loop Header: Depth=2
	s_ff1_i32_b64 s11, s[26:27]
	s_lshl_b64 s[28:29], 1, s11
	v_readlane_b32 s30, v5, s11
	s_andn2_b64 s[26:27], s[26:27], s[28:29]
	s_cmp_lg_u64 s[26:27], 0
	v_add_f32_e32 v7, s30, v7
	s_cbranch_scc1 .LBB84_20
; %bb.21:                               ;   in Loop: Header=BB84_6 Depth=1
	s_lshl_b64 s[26:27], s[24:25], 3
	v_mbcnt_lo_u32_b32 v5, exec_lo, 0
	s_add_u32 s26, s22, s26
	v_mbcnt_hi_u32_b32 v5, exec_hi, v5
	s_addc_u32 s27, s23, s27
	v_cmp_eq_u32_e32 vcc, 0, v5
	s_and_saveexec_b64 s[28:29], vcc
	s_xor_b64 s[28:29], exec, s[28:29]
	s_cbranch_execz .LBB84_25
; %bb.22:                               ;   in Loop: Header=BB84_6 Depth=1
	global_load_dword v6, v0, s[26:27]
	s_mov_b64 s[30:31], 0
.LBB84_23:                              ;   Parent Loop BB84_6 Depth=1
                                        ; =>  This Inner Loop Header: Depth=2
	s_waitcnt vmcnt(0)
	v_add_f32_e32 v5, v6, v7
	global_atomic_cmpswap v5, v0, v[5:6], s[26:27] glc
	s_waitcnt vmcnt(0)
	v_cmp_eq_u32_e32 vcc, v5, v6
	s_or_b64 s[30:31], vcc, s[30:31]
	v_mov_b32_e32 v6, v5
	s_andn2_b64 exec, exec, s[30:31]
	s_cbranch_execnz .LBB84_23
; %bb.24:                               ;   in Loop: Header=BB84_6 Depth=1
	s_or_b64 exec, exec, s[30:31]
.LBB84_25:                              ;   in Loop: Header=BB84_6 Depth=1
	s_or_b64 exec, exec, s[28:29]
	v_mul_f32_e32 v4, v1, v4
	s_mov_b64 s[28:29], exec
	v_fmac_f32_e32 v4, v2, v3
	v_bfrev_b32_e32 v5, 1
.LBB84_26:                              ;   Parent Loop BB84_6 Depth=1
                                        ; =>  This Inner Loop Header: Depth=2
	s_ff1_i32_b64 s11, s[28:29]
	s_lshl_b64 s[30:31], 1, s11
	v_readlane_b32 s25, v4, s11
	s_andn2_b64 s[28:29], s[28:29], s[30:31]
	s_cmp_lg_u64 s[28:29], 0
	v_add_f32_e32 v5, s25, v5
	s_cbranch_scc1 .LBB84_26
; %bb.27:                               ;   in Loop: Header=BB84_6 Depth=1
	v_mbcnt_lo_u32_b32 v3, exec_lo, 0
	v_mbcnt_hi_u32_b32 v3, exec_hi, v3
	v_cmp_eq_u32_e32 vcc, 0, v3
	s_and_saveexec_b64 s[28:29], vcc
	s_xor_b64 s[28:29], exec, s[28:29]
	s_cbranch_execz .LBB84_5
; %bb.28:                               ;   in Loop: Header=BB84_6 Depth=1
	global_load_dword v4, v0, s[26:27] offset:4
	s_mov_b64 s[28:29], 0
.LBB84_29:                              ;   Parent Loop BB84_6 Depth=1
                                        ; =>  This Inner Loop Header: Depth=2
	s_waitcnt vmcnt(0)
	v_add_f32_e32 v3, v4, v5
	global_atomic_cmpswap v3, v0, v[3:4], s[26:27] offset:4 glc
	s_waitcnt vmcnt(0)
	v_cmp_eq_u32_e32 vcc, v3, v4
	s_or_b64 s[28:29], vcc, s[28:29]
	v_mov_b32_e32 v4, v3
	s_andn2_b64 exec, exec, s[28:29]
	s_cbranch_execnz .LBB84_29
; %bb.30:                               ;   in Loop: Header=BB84_6 Depth=1
	s_or_b64 exec, exec, s[28:29]
	s_branch .LBB84_5
.LBB84_31:
	s_ashr_i32 s1, s20, 31
	s_mov_b32 s0, s20
	s_lshl_b64 s[0:1], s[0:1], 2
	s_add_u32 s0, s12, s0
	s_addc_u32 s1, s13, s1
	s_ashr_i32 s3, s21, 31
	s_mov_b32 s2, s21
	s_lshl_b64 s[2:3], s[2:3], 2
	s_add_u32 s2, s12, s2
	s_addc_u32 s3, s13, s3
	s_load_dword s4, s[2:3], 0x0
	s_load_dword s5, s[0:1], 0x0
	s_waitcnt lgkmcnt(0)
	s_sub_i32 s8, s4, s10
	v_add_u32_e32 v3, s5, v11
	v_cmp_gt_i32_e32 vcc, s8, v3
	s_and_b64 exec, exec, vcc
	s_cbranch_execz .LBB84_43
; %bb.32:
	s_add_i32 s9, s21, -1
	s_cmp_lt_i32 s20, s9
	s_cselect_b64 s[0:1], -1, 0
	s_add_i32 s2, s21, -2
	s_cmp_lg_u32 s20, s2
	s_cselect_b64 s[2:3], -1, 0
	s_and_b64 s[0:1], s[0:1], s[2:3]
	v_cndmask_b32_e64 v4, 0, 1, s[0:1]
	v_mul_f32_e32 v0, 0x80000000, v2
	v_mul_f32_e32 v10, 0, v1
	s_mov_b64 s[4:5], 0
	v_cmp_ne_u32_e64 s[0:1], 1, v4
	v_mov_b32_e32 v11, s13
	v_mov_b32_e32 v12, s15
	s_branch .LBB84_34
.LBB84_33:                              ;   in Loop: Header=BB84_34 Depth=1
	s_or_b64 exec, exec, s[2:3]
	v_add_u32_e32 v3, 0x100, v3
	v_cmp_le_i32_e32 vcc, s8, v3
	s_or_b64 s[4:5], vcc, s[4:5]
	s_andn2_b64 exec, exec, s[4:5]
	s_cbranch_execz .LBB84_43
.LBB84_34:                              ; =>This Loop Header: Depth=1
                                        ;     Child Loop BB84_36 Depth 2
                                        ;     Child Loop BB84_40 Depth 2
	;; [unrolled: 1-line block ×3, first 2 shown]
	s_and_b64 vcc, exec, s[0:1]
	v_mov_b32_e32 v8, s20
	v_mov_b32_e32 v5, s9
	s_cbranch_vccnz .LBB84_38
; %bb.35:                               ;   in Loop: Header=BB84_34 Depth=1
	s_mov_b64 s[6:7], 0
	v_mov_b32_e32 v8, s20
	v_mov_b32_e32 v5, s9
.LBB84_36:                              ;   Parent Loop BB84_34 Depth=1
                                        ; =>  This Inner Loop Header: Depth=2
	v_add_u32_e32 v4, v5, v8
	v_lshrrev_b32_e32 v6, 31, v4
	v_add_u32_e32 v4, v4, v6
	v_ashrrev_i32_e32 v6, 1, v4
	v_ashrrev_i32_e32 v7, 31, v6
	v_lshlrev_b64 v[13:14], 2, v[6:7]
	v_mov_b32_e32 v9, s13
	v_add_co_u32_e32 v13, vcc, s12, v13
	v_addc_co_u32_e32 v14, vcc, v9, v14, vcc
	global_load_dword v4, v[13:14], off
	s_waitcnt vmcnt(0)
	v_subrev_u32_e32 v4, s10, v4
	v_cmp_lt_i32_e32 vcc, v3, v4
	v_cndmask_b32_e32 v5, v5, v6, vcc
	v_cndmask_b32_e32 v8, v6, v8, vcc
	v_add_u32_e32 v4, -1, v5
	v_cmp_ge_i32_e32 vcc, v8, v5
	v_cmp_eq_u32_e64 s[2:3], v8, v4
	s_or_b64 s[2:3], vcc, s[2:3]
	s_and_b64 s[2:3], exec, s[2:3]
	s_or_b64 s[6:7], s[2:3], s[6:7]
	s_andn2_b64 exec, exec, s[6:7]
	s_cbranch_execnz .LBB84_36
; %bb.37:                               ;   in Loop: Header=BB84_34 Depth=1
	s_or_b64 exec, exec, s[6:7]
.LBB84_38:                              ;   in Loop: Header=BB84_34 Depth=1
	v_ashrrev_i32_e32 v6, 31, v5
	v_lshlrev_b64 v[6:7], 2, v[5:6]
	v_ashrrev_i32_e32 v4, 31, v3
	v_add_co_u32_e32 v6, vcc, s12, v6
	v_addc_co_u32_e32 v7, vcc, v11, v7, vcc
	global_load_dword v9, v[6:7], off
	v_lshlrev_b64 v[6:7], 2, v[3:4]
	v_add_co_u32_e32 v13, vcc, s14, v6
	v_addc_co_u32_e32 v14, vcc, v12, v7, vcc
	global_load_dword v13, v[13:14], off
	s_waitcnt vmcnt(1)
	v_subrev_u32_e32 v4, s10, v9
	v_cmp_lt_i32_e32 vcc, v3, v4
	v_cndmask_b32_e32 v4, v5, v8, vcc
	s_waitcnt vmcnt(0)
	v_subrev_u32_e32 v8, s10, v13
	v_cmp_ne_u32_e32 vcc, v8, v4
	s_and_saveexec_b64 s[2:3], vcc
	s_cbranch_execz .LBB84_33
; %bb.39:                               ;   in Loop: Header=BB84_34 Depth=1
	v_mov_b32_e32 v14, s17
	v_add_co_u32_e32 v5, vcc, s16, v6
	v_addc_co_u32_e32 v6, vcc, v14, v7, vcc
	global_load_dword v14, v[5:6], off
	v_ashrrev_i32_e32 v5, 31, v4
	v_lshlrev_b64 v[4:5], 3, v[4:5]
	v_ashrrev_i32_e32 v9, 31, v8
	v_lshlrev_b64 v[8:9], 3, v[8:9]
	v_mov_b32_e32 v6, s19
	v_add_co_u32_e32 v4, vcc, s18, v4
	v_addc_co_u32_e32 v5, vcc, v6, v5, vcc
	v_mov_b32_e32 v13, s23
	global_load_dwordx2 v[6:7], v[4:5], off
	v_add_co_u32_e32 v4, vcc, s22, v8
	v_addc_co_u32_e32 v5, vcc, v13, v9, vcc
	global_load_dword v9, v[4:5], off
	s_mov_b64 s[6:7], 0
	s_waitcnt vmcnt(2)
	v_fma_f32 v13, v1, v14, v0
	v_fma_f32 v14, v2, v14, v10
	s_waitcnt vmcnt(1)
	v_mul_f32_e64 v15, v7, -v14
	v_fmac_f32_e32 v15, v13, v6
.LBB84_40:                              ;   Parent Loop BB84_34 Depth=1
                                        ; =>  This Inner Loop Header: Depth=2
	s_waitcnt vmcnt(0)
	v_add_f32_e32 v8, v9, v15
	global_atomic_cmpswap v8, v[4:5], v[8:9], off glc
	s_waitcnt vmcnt(0)
	v_cmp_eq_u32_e32 vcc, v8, v9
	s_or_b64 s[6:7], vcc, s[6:7]
	v_mov_b32_e32 v9, v8
	s_andn2_b64 exec, exec, s[6:7]
	s_cbranch_execnz .LBB84_40
; %bb.41:                               ;   in Loop: Header=BB84_34 Depth=1
	s_or_b64 exec, exec, s[6:7]
	global_load_dword v8, v[4:5], off offset:4
	v_mul_f32_e32 v9, v13, v7
	v_fmac_f32_e32 v9, v14, v6
	s_mov_b64 s[6:7], 0
.LBB84_42:                              ;   Parent Loop BB84_34 Depth=1
                                        ; =>  This Inner Loop Header: Depth=2
	s_waitcnt vmcnt(0)
	v_add_f32_e32 v7, v8, v9
	global_atomic_cmpswap v6, v[4:5], v[7:8], off offset:4 glc
	s_waitcnt vmcnt(0)
	v_cmp_eq_u32_e32 vcc, v6, v8
	s_or_b64 s[6:7], vcc, s[6:7]
	v_mov_b32_e32 v8, v6
	s_andn2_b64 exec, exec, s[6:7]
	s_cbranch_execnz .LBB84_42
	s_branch .LBB84_33
.LBB84_43:
	s_endpgm
	.section	.rodata,"a",@progbits
	.p2align	6, 0x0
	.amdhsa_kernel _ZL33csrmvn_symm_large_adaptive_kernelIiif21rocsparse_complex_numIfES1_S1_EvbT_PKS2_N9rocsparse24const_host_device_scalarIT4_EES4_PKT0_PKT1_PKT2_S8_PT3_21rocsparse_index_base_b
		.amdhsa_group_segment_fixed_size 8192
		.amdhsa_private_segment_fixed_size 0
		.amdhsa_kernarg_size 80
		.amdhsa_user_sgpr_count 6
		.amdhsa_user_sgpr_private_segment_buffer 1
		.amdhsa_user_sgpr_dispatch_ptr 0
		.amdhsa_user_sgpr_queue_ptr 0
		.amdhsa_user_sgpr_kernarg_segment_ptr 1
		.amdhsa_user_sgpr_dispatch_id 0
		.amdhsa_user_sgpr_flat_scratch_init 0
		.amdhsa_user_sgpr_private_segment_size 0
		.amdhsa_uses_dynamic_stack 0
		.amdhsa_system_sgpr_private_segment_wavefront_offset 0
		.amdhsa_system_sgpr_workgroup_id_x 1
		.amdhsa_system_sgpr_workgroup_id_y 0
		.amdhsa_system_sgpr_workgroup_id_z 0
		.amdhsa_system_sgpr_workgroup_info 0
		.amdhsa_system_vgpr_workitem_id 0
		.amdhsa_next_free_vgpr 29
		.amdhsa_next_free_sgpr 61
		.amdhsa_reserve_vcc 1
		.amdhsa_reserve_flat_scratch 0
		.amdhsa_float_round_mode_32 0
		.amdhsa_float_round_mode_16_64 0
		.amdhsa_float_denorm_mode_32 3
		.amdhsa_float_denorm_mode_16_64 3
		.amdhsa_dx10_clamp 1
		.amdhsa_ieee_mode 1
		.amdhsa_fp16_overflow 0
		.amdhsa_exception_fp_ieee_invalid_op 0
		.amdhsa_exception_fp_denorm_src 0
		.amdhsa_exception_fp_ieee_div_zero 0
		.amdhsa_exception_fp_ieee_overflow 0
		.amdhsa_exception_fp_ieee_underflow 0
		.amdhsa_exception_fp_ieee_inexact 0
		.amdhsa_exception_int_div_zero 0
	.end_amdhsa_kernel
	.section	.text._ZL33csrmvn_symm_large_adaptive_kernelIiif21rocsparse_complex_numIfES1_S1_EvbT_PKS2_N9rocsparse24const_host_device_scalarIT4_EES4_PKT0_PKT1_PKT2_S8_PT3_21rocsparse_index_base_b,"axG",@progbits,_ZL33csrmvn_symm_large_adaptive_kernelIiif21rocsparse_complex_numIfES1_S1_EvbT_PKS2_N9rocsparse24const_host_device_scalarIT4_EES4_PKT0_PKT1_PKT2_S8_PT3_21rocsparse_index_base_b,comdat
.Lfunc_end84:
	.size	_ZL33csrmvn_symm_large_adaptive_kernelIiif21rocsparse_complex_numIfES1_S1_EvbT_PKS2_N9rocsparse24const_host_device_scalarIT4_EES4_PKT0_PKT1_PKT2_S8_PT3_21rocsparse_index_base_b, .Lfunc_end84-_ZL33csrmvn_symm_large_adaptive_kernelIiif21rocsparse_complex_numIfES1_S1_EvbT_PKS2_N9rocsparse24const_host_device_scalarIT4_EES4_PKT0_PKT1_PKT2_S8_PT3_21rocsparse_index_base_b
                                        ; -- End function
	.set _ZL33csrmvn_symm_large_adaptive_kernelIiif21rocsparse_complex_numIfES1_S1_EvbT_PKS2_N9rocsparse24const_host_device_scalarIT4_EES4_PKT0_PKT1_PKT2_S8_PT3_21rocsparse_index_base_b.num_vgpr, 16
	.set _ZL33csrmvn_symm_large_adaptive_kernelIiif21rocsparse_complex_numIfES1_S1_EvbT_PKS2_N9rocsparse24const_host_device_scalarIT4_EES4_PKT0_PKT1_PKT2_S8_PT3_21rocsparse_index_base_b.num_agpr, 0
	.set _ZL33csrmvn_symm_large_adaptive_kernelIiif21rocsparse_complex_numIfES1_S1_EvbT_PKS2_N9rocsparse24const_host_device_scalarIT4_EES4_PKT0_PKT1_PKT2_S8_PT3_21rocsparse_index_base_b.numbered_sgpr, 32
	.set _ZL33csrmvn_symm_large_adaptive_kernelIiif21rocsparse_complex_numIfES1_S1_EvbT_PKS2_N9rocsparse24const_host_device_scalarIT4_EES4_PKT0_PKT1_PKT2_S8_PT3_21rocsparse_index_base_b.num_named_barrier, 0
	.set _ZL33csrmvn_symm_large_adaptive_kernelIiif21rocsparse_complex_numIfES1_S1_EvbT_PKS2_N9rocsparse24const_host_device_scalarIT4_EES4_PKT0_PKT1_PKT2_S8_PT3_21rocsparse_index_base_b.private_seg_size, 0
	.set _ZL33csrmvn_symm_large_adaptive_kernelIiif21rocsparse_complex_numIfES1_S1_EvbT_PKS2_N9rocsparse24const_host_device_scalarIT4_EES4_PKT0_PKT1_PKT2_S8_PT3_21rocsparse_index_base_b.uses_vcc, 1
	.set _ZL33csrmvn_symm_large_adaptive_kernelIiif21rocsparse_complex_numIfES1_S1_EvbT_PKS2_N9rocsparse24const_host_device_scalarIT4_EES4_PKT0_PKT1_PKT2_S8_PT3_21rocsparse_index_base_b.uses_flat_scratch, 0
	.set _ZL33csrmvn_symm_large_adaptive_kernelIiif21rocsparse_complex_numIfES1_S1_EvbT_PKS2_N9rocsparse24const_host_device_scalarIT4_EES4_PKT0_PKT1_PKT2_S8_PT3_21rocsparse_index_base_b.has_dyn_sized_stack, 0
	.set _ZL33csrmvn_symm_large_adaptive_kernelIiif21rocsparse_complex_numIfES1_S1_EvbT_PKS2_N9rocsparse24const_host_device_scalarIT4_EES4_PKT0_PKT1_PKT2_S8_PT3_21rocsparse_index_base_b.has_recursion, 0
	.set _ZL33csrmvn_symm_large_adaptive_kernelIiif21rocsparse_complex_numIfES1_S1_EvbT_PKS2_N9rocsparse24const_host_device_scalarIT4_EES4_PKT0_PKT1_PKT2_S8_PT3_21rocsparse_index_base_b.has_indirect_call, 0
	.section	.AMDGPU.csdata,"",@progbits
; Kernel info:
; codeLenInByte = 1932
; TotalNumSgprs: 36
; NumVgprs: 16
; ScratchSize: 0
; MemoryBound: 0
; FloatMode: 240
; IeeeMode: 1
; LDSByteSize: 8192 bytes/workgroup (compile time only)
; SGPRBlocks: 8
; VGPRBlocks: 7
; NumSGPRsForWavesPerEU: 65
; NumVGPRsForWavesPerEU: 29
; Occupancy: 8
; WaveLimiterHint : 1
; COMPUTE_PGM_RSRC2:SCRATCH_EN: 0
; COMPUTE_PGM_RSRC2:USER_SGPR: 6
; COMPUTE_PGM_RSRC2:TRAP_HANDLER: 0
; COMPUTE_PGM_RSRC2:TGID_X_EN: 1
; COMPUTE_PGM_RSRC2:TGID_Y_EN: 0
; COMPUTE_PGM_RSRC2:TGID_Z_EN: 0
; COMPUTE_PGM_RSRC2:TIDIG_COMP_CNT: 0
	.section	.text._ZN9rocsparseL22csrmvn_adaptive_kernelIlif21rocsparse_complex_numIfES2_S2_EEvbT_PKS3_PjPKT0_NS_24const_host_device_scalarIT4_EES5_S9_PKT1_PKT2_SC_PT3_21rocsparse_index_base_b,"axG",@progbits,_ZN9rocsparseL22csrmvn_adaptive_kernelIlif21rocsparse_complex_numIfES2_S2_EEvbT_PKS3_PjPKT0_NS_24const_host_device_scalarIT4_EES5_S9_PKT1_PKT2_SC_PT3_21rocsparse_index_base_b,comdat
	.globl	_ZN9rocsparseL22csrmvn_adaptive_kernelIlif21rocsparse_complex_numIfES2_S2_EEvbT_PKS3_PjPKT0_NS_24const_host_device_scalarIT4_EES5_S9_PKT1_PKT2_SC_PT3_21rocsparse_index_base_b ; -- Begin function _ZN9rocsparseL22csrmvn_adaptive_kernelIlif21rocsparse_complex_numIfES2_S2_EEvbT_PKS3_PjPKT0_NS_24const_host_device_scalarIT4_EES5_S9_PKT1_PKT2_SC_PT3_21rocsparse_index_base_b
	.p2align	8
	.type	_ZN9rocsparseL22csrmvn_adaptive_kernelIlif21rocsparse_complex_numIfES2_S2_EEvbT_PKS3_PjPKT0_NS_24const_host_device_scalarIT4_EES5_S9_PKT1_PKT2_SC_PT3_21rocsparse_index_base_b,@function
_ZN9rocsparseL22csrmvn_adaptive_kernelIlif21rocsparse_complex_numIfES2_S2_EEvbT_PKS3_PjPKT0_NS_24const_host_device_scalarIT4_EES5_S9_PKT1_PKT2_SC_PT3_21rocsparse_index_base_b: ; @_ZN9rocsparseL22csrmvn_adaptive_kernelIlif21rocsparse_complex_numIfES2_S2_EEvbT_PKS3_PjPKT0_NS_24const_host_device_scalarIT4_EES5_S9_PKT1_PKT2_SC_PT3_21rocsparse_index_base_b
; %bb.0:
	s_load_dwordx2 s[0:1], s[4:5], 0x28
	s_load_dwordx2 s[42:43], s[4:5], 0x60
	s_add_u32 s7, s4, 40
	s_addc_u32 s8, s5, 0
	s_add_u32 s9, s4, 0x50
	s_load_dwordx2 s[2:3], s[4:5], 0x50
	s_addc_u32 s10, s5, 0
	s_waitcnt lgkmcnt(0)
	s_bitcmp1_b32 s43, 0
	s_cselect_b32 s1, s8, s1
	s_cselect_b32 s0, s7, s0
	v_mov_b32_e32 v1, s0
	v_mov_b32_e32 v2, s1
	flat_load_dwordx2 v[1:2], v[1:2]
	s_cselect_b32 s0, s10, s3
	s_cselect_b32 s1, s9, s2
	v_mov_b32_e32 v3, s1
	v_mov_b32_e32 v4, s0
	flat_load_dwordx2 v[5:6], v[3:4]
	s_waitcnt vmcnt(0) lgkmcnt(0)
	v_cmp_eq_f32_e32 vcc, 0, v1
	v_cmp_eq_f32_e64 s[0:1], 0, v2
	s_and_b64 s[8:9], vcc, s[0:1]
	s_mov_b64 s[0:1], -1
	s_and_saveexec_b64 s[2:3], s[8:9]
; %bb.1:
	v_cmp_neq_f32_e32 vcc, 1.0, v5
	v_cmp_neq_f32_e64 s[0:1], 0, v6
	s_or_b64 s[0:1], vcc, s[0:1]
	s_orn2_b64 s[0:1], s[0:1], exec
; %bb.2:
	s_or_b64 exec, exec, s[2:3]
	s_and_saveexec_b64 s[2:3], s[0:1]
	s_cbranch_execz .LBB85_117
; %bb.3:
	s_load_dwordx2 s[0:1], s[4:5], 0x10
	s_load_dwordx2 s[8:9], s[4:5], 0x20
	s_ashr_i32 s7, s6, 31
	s_lshl_b64 s[2:3], s[6:7], 3
	s_waitcnt lgkmcnt(0)
	s_add_u32 s0, s0, s2
	s_addc_u32 s1, s1, s3
	s_load_dwordx4 s[36:39], s[0:1], 0x0
	s_load_dwordx2 s[22:23], s[4:5], 0x58
	s_load_dwordx8 s[24:31], s[4:5], 0x30
	s_lshl_b64 s[46:47], s[6:7], 2
	s_waitcnt lgkmcnt(0)
	s_sub_i32 s2, s38, s36
	s_add_u32 s0, s8, s46
	s_addc_u32 s1, s9, s47
	s_lshl_b64 s[44:45], s[36:37], 3
	s_add_u32 s40, s24, s44
	s_addc_u32 s41, s25, s45
	s_load_dword s33, s[0:1], 0x0
	s_load_dwordx2 s[34:35], s[40:41], 0x0
	s_cmp_lt_i32 s2, 2
	s_mov_b64 s[0:1], -1
	s_cbranch_scc0 .LBB85_73
; %bb.4:
	s_cmp_lg_u32 s2, 1
	s_cselect_b64 s[0:1], -1, 0
	s_waitcnt lgkmcnt(0)
	s_cmp_lg_u32 s33, 0
	s_cselect_b64 s[2:3], -1, 0
	s_or_b64 s[2:3], s[0:1], s[2:3]
	s_mov_b64 s[0:1], -1
	s_and_b64 vcc, exec, s[2:3]
	s_cbranch_vccnz .LBB85_33
; %bb.5:
	v_mov_b32_e32 v3, s36
	v_mov_b32_e32 v4, s37
	v_cmp_le_i64_e32 vcc, s[38:39], v[3:4]
	s_cbranch_vccnz .LBB85_32
; %bb.6:
	v_subrev_co_u32_e32 v16, vcc, s42, v0
	v_subb_co_u32_e64 v17, s[0:1], 0, 0, vcc
	s_movk_i32 s0, 0x80
	v_cmp_neq_f32_e32 vcc, 0, v5
	v_cmp_neq_f32_e64 s[20:21], 0, v6
	v_mov_b32_e32 v3, s38
	v_mov_b32_e32 v15, 0
	v_mul_f32_e32 v18, 0x80000000, v2
	v_mul_f32_e32 v19, 0, v1
	v_lshlrev_b32_e32 v20, 3, v0
	v_cmp_gt_u32_e64 s[0:1], s0, v0
	v_cmp_gt_u32_e64 s[2:3], 64, v0
	v_cmp_gt_u32_e64 s[8:9], 32, v0
	v_cmp_gt_u32_e64 s[10:11], 16, v0
	v_cmp_gt_u32_e64 s[12:13], 8, v0
	v_cmp_gt_u32_e64 s[14:15], 4, v0
	v_cmp_gt_u32_e64 s[16:17], 2, v0
	v_cmp_eq_u32_e64 s[18:19], 0, v0
	s_or_b64 s[48:49], vcc, s[20:21]
	v_mov_b32_e32 v4, s39
	s_movk_i32 s7, 0x100
	s_mov_b64 s[50:51], s[36:37]
	s_branch .LBB85_9
.LBB85_7:                               ;   in Loop: Header=BB85_9 Depth=1
	s_or_b64 exec, exec, s[54:55]
	s_add_u32 s52, s22, s52
	s_addc_u32 s53, s23, s53
	s_waitcnt lgkmcnt(0)
	global_store_dwordx2 v15, v[7:8], s[52:53]
.LBB85_8:                               ;   in Loop: Header=BB85_9 Depth=1
	s_or_b64 exec, exec, s[20:21]
	s_add_u32 s50, s50, 1
	s_addc_u32 s51, s51, 0
	v_cmp_ge_i64_e32 vcc, s[50:51], v[3:4]
	s_cbranch_vccnz .LBB85_32
.LBB85_9:                               ; =>This Loop Header: Depth=1
                                        ;     Child Loop BB85_11 Depth 2
	s_lshl_b64 s[52:53], s[50:51], 3
	s_add_u32 s20, s24, s52
	s_addc_u32 s21, s25, s53
	s_load_dwordx4 s[56:59], s[20:21], 0x0
	v_mov_b32_e32 v10, 0
	v_mov_b32_e32 v9, 0
	s_waitcnt lgkmcnt(0)
	s_sub_u32 s54, s58, s42
	v_mov_b32_e32 v8, s57
	v_add_co_u32_e32 v7, vcc, s56, v16
	s_subb_u32 s55, s59, 0
	v_addc_co_u32_e32 v8, vcc, v8, v17, vcc
	v_cmp_gt_i64_e32 vcc, s[54:55], v[7:8]
	s_and_saveexec_b64 s[56:57], vcc
	s_cbranch_execz .LBB85_13
; %bb.10:                               ;   in Loop: Header=BB85_9 Depth=1
	v_lshlrev_b64 v[9:10], 2, v[7:8]
	v_mov_b32_e32 v12, s29
	v_add_co_u32_e32 v11, vcc, s28, v9
	v_addc_co_u32_e32 v12, vcc, v12, v10, vcc
	v_mov_b32_e32 v14, s27
	v_add_co_u32_e32 v13, vcc, s26, v9
	v_addc_co_u32_e32 v14, vcc, v14, v10, vcc
	v_mov_b32_e32 v10, 0
	s_mov_b64 s[58:59], 0
	v_mov_b32_e32 v9, v10
.LBB85_11:                              ;   Parent Loop BB85_9 Depth=1
                                        ; =>  This Inner Loop Header: Depth=2
	global_load_dword v21, v[13:14], off
	global_load_dword v23, v[11:12], off
	v_mov_b32_e32 v24, s31
	s_waitcnt vmcnt(1)
	v_subrev_u32_e32 v21, s42, v21
	v_ashrrev_i32_e32 v22, 31, v21
	v_lshlrev_b64 v[21:22], 3, v[21:22]
	v_add_co_u32_e32 v21, vcc, s30, v21
	v_addc_co_u32_e32 v22, vcc, v24, v22, vcc
	global_load_dwordx2 v[21:22], v[21:22], off
	v_add_co_u32_e32 v7, vcc, s7, v7
	v_addc_co_u32_e32 v8, vcc, 0, v8, vcc
	v_add_co_u32_e32 v11, vcc, 0x400, v11
	v_addc_co_u32_e32 v12, vcc, 0, v12, vcc
	v_cmp_le_i64_e64 s[20:21], s[54:55], v[7:8]
	s_waitcnt vmcnt(1)
	v_fma_f32 v24, v1, v23, v18
	v_fma_f32 v23, v2, v23, v19
	v_add_co_u32_e32 v13, vcc, 0x400, v13
	v_addc_co_u32_e32 v14, vcc, 0, v14, vcc
	s_or_b64 s[58:59], s[20:21], s[58:59]
	s_waitcnt vmcnt(0)
	v_fmac_f32_e32 v9, v24, v21
	v_fmac_f32_e32 v10, v23, v21
	v_fma_f32 v9, -v23, v22, v9
	v_fmac_f32_e32 v10, v24, v22
	s_andn2_b64 exec, exec, s[58:59]
	s_cbranch_execnz .LBB85_11
; %bb.12:                               ;   in Loop: Header=BB85_9 Depth=1
	s_or_b64 exec, exec, s[58:59]
.LBB85_13:                              ;   in Loop: Header=BB85_9 Depth=1
	s_or_b64 exec, exec, s[56:57]
	ds_write_b64 v20, v[9:10]
	s_waitcnt vmcnt(0) lgkmcnt(0)
	s_barrier
	s_and_saveexec_b64 s[20:21], s[0:1]
	s_cbranch_execz .LBB85_15
; %bb.14:                               ;   in Loop: Header=BB85_9 Depth=1
	ds_read2st64_b64 v[7:10], v20 offset1:2
	s_waitcnt lgkmcnt(0)
	v_add_f32_e32 v7, v9, v7
	v_add_f32_e32 v8, v10, v8
	ds_write_b64 v20, v[7:8]
.LBB85_15:                              ;   in Loop: Header=BB85_9 Depth=1
	s_or_b64 exec, exec, s[20:21]
	s_waitcnt lgkmcnt(0)
	s_barrier
	s_and_saveexec_b64 s[20:21], s[2:3]
	s_cbranch_execz .LBB85_17
; %bb.16:                               ;   in Loop: Header=BB85_9 Depth=1
	ds_read2st64_b64 v[7:10], v20 offset1:1
	s_waitcnt lgkmcnt(0)
	v_add_f32_e32 v7, v9, v7
	v_add_f32_e32 v8, v10, v8
	ds_write_b64 v20, v[7:8]
.LBB85_17:                              ;   in Loop: Header=BB85_9 Depth=1
	s_or_b64 exec, exec, s[20:21]
	s_waitcnt lgkmcnt(0)
	s_barrier
	s_and_saveexec_b64 s[20:21], s[8:9]
	s_cbranch_execz .LBB85_19
; %bb.18:                               ;   in Loop: Header=BB85_9 Depth=1
	ds_read2_b64 v[7:10], v20 offset1:32
	s_waitcnt lgkmcnt(0)
	v_add_f32_e32 v7, v9, v7
	v_add_f32_e32 v8, v10, v8
	ds_write_b64 v20, v[7:8]
.LBB85_19:                              ;   in Loop: Header=BB85_9 Depth=1
	s_or_b64 exec, exec, s[20:21]
	s_waitcnt lgkmcnt(0)
	s_barrier
	s_and_saveexec_b64 s[20:21], s[10:11]
	s_cbranch_execz .LBB85_21
; %bb.20:                               ;   in Loop: Header=BB85_9 Depth=1
	ds_read2_b64 v[7:10], v20 offset1:16
	s_waitcnt lgkmcnt(0)
	v_add_f32_e32 v7, v9, v7
	v_add_f32_e32 v8, v10, v8
	ds_write_b64 v20, v[7:8]
.LBB85_21:                              ;   in Loop: Header=BB85_9 Depth=1
	;; [unrolled: 12-line block ×6, first 2 shown]
	s_or_b64 exec, exec, s[20:21]
	s_waitcnt lgkmcnt(0)
	s_barrier
	s_and_saveexec_b64 s[20:21], s[18:19]
	s_cbranch_execz .LBB85_8
; %bb.30:                               ;   in Loop: Header=BB85_9 Depth=1
	ds_read_b64 v[7:8], v15
	s_and_saveexec_b64 s[54:55], s[48:49]
	s_cbranch_execz .LBB85_7
; %bb.31:                               ;   in Loop: Header=BB85_9 Depth=1
	s_add_u32 s56, s22, s52
	s_addc_u32 s57, s23, s53
	global_load_dwordx2 v[9:10], v15, s[56:57]
	s_waitcnt vmcnt(0) lgkmcnt(0)
	v_fma_f32 v7, v5, v9, v7
	v_fmac_f32_e32 v8, v6, v9
	v_fma_f32 v7, -v6, v10, v7
	v_fmac_f32_e32 v8, v5, v10
	s_branch .LBB85_7
.LBB85_32:
	s_mov_b64 s[0:1], 0
.LBB85_33:
	s_andn2_b64 vcc, exec, s[0:1]
	s_cbranch_vccnz .LBB85_72
; %bb.34:
	s_load_dwordx2 s[8:9], s[4:5], 0x18
	s_sub_i32 s6, s6, s33
	v_mov_b32_e32 v3, 0
	v_or_b32_e32 v4, s33, v0
	v_cmp_eq_u32_e32 vcc, 0, v4
	s_waitcnt lgkmcnt(0)
	s_add_u32 s2, s8, s46
	s_addc_u32 s3, s9, s47
	global_load_dword v13, v3, s[2:3]
	v_mov_b32_e32 v4, 0
	s_and_saveexec_b64 s[0:1], vcc
	s_cbranch_execz .LBB85_38
; %bb.35:
	s_add_u32 s12, s22, s44
	s_addc_u32 s13, s23, s45
	v_mov_b32_e32 v10, 0
	global_load_dwordx2 v[7:8], v10, s[12:13]
	s_mov_b64 s[10:11], exec
	v_mbcnt_lo_u32_b32 v3, s10, 0
	v_add_f32_e32 v9, -1.0, v5
	v_mbcnt_hi_u32_b32 v11, s11, v3
	v_cmp_eq_u32_e32 vcc, 0, v11
	s_waitcnt vmcnt(0) expcnt(0) lgkmcnt(0)
	v_mul_f32_e64 v3, v8, -v6
	v_mul_f32_e32 v4, v9, v8
	s_and_saveexec_b64 s[12:13], vcc
	s_cbranch_execz .LBB85_37
; %bb.36:
	s_ashr_i32 s7, s6, 31
	s_lshl_b64 s[14:15], s[6:7], 2
	s_add_u32 s14, s8, s14
	s_addc_u32 s15, s9, s15
	s_bcnt1_i32_b64 s7, s[10:11]
	s_and_b32 s7, s7, 1
	v_mov_b32_e32 v8, s7
	global_atomic_xor v10, v8, s[14:15]
.LBB85_37:
	s_or_b64 exec, exec, s[12:13]
	v_fmac_f32_e32 v3, v9, v7
	v_fmac_f32_e32 v4, v6, v7
.LBB85_38:
	s_or_b64 exec, exec, s[0:1]
	s_load_dwordx2 s[0:1], s[40:41], 0x8
	s_sub_u32 s11, s34, s42
	s_mul_i32 s7, s33, 0xc00
	s_subb_u32 s12, s35, 0
	s_mul_hi_i32 s10, s33, 0xc00
	s_add_u32 s7, s11, s7
	s_addc_u32 s12, s12, s10
	s_waitcnt lgkmcnt(0)
	s_sub_u32 s0, s0, s42
	v_mov_b32_e32 v8, s12
	v_add_co_u32_e32 v7, vcc, s7, v0
	s_subb_u32 s1, s1, 0
	v_addc_co_u32_e32 v8, vcc, 0, v8, vcc
	v_cmp_gt_i64_e32 vcc, s[0:1], v[7:8]
	s_and_saveexec_b64 s[10:11], vcc
	s_cbranch_execz .LBB85_42
; %bb.39:
	s_add_u32 s14, s7, 0xc00
	v_mov_b32_e32 v10, s1
	s_addc_u32 s15, s12, 0
	v_mov_b32_e32 v9, s0
	v_cmp_lt_i64_e32 vcc, s[14:15], v[9:10]
	v_lshlrev_b64 v[11:12], 2, v[7:8]
	s_and_b64 s[12:13], vcc, exec
	v_mov_b32_e32 v10, s29
	v_add_co_u32_e32 v9, vcc, s28, v11
	v_addc_co_u32_e32 v10, vcc, v10, v12, vcc
	v_mov_b32_e32 v16, s27
	v_add_co_u32_e32 v11, vcc, s26, v11
	s_cselect_b32 s13, s15, s1
	s_cselect_b32 s12, s14, s0
	v_mul_f32_e32 v14, 0x80000000, v2
	v_mul_f32_e32 v15, 0, v1
	v_addc_co_u32_e32 v12, vcc, v16, v12, vcc
	s_mov_b64 s[14:15], 0
	v_mov_b32_e32 v16, s31
	s_movk_i32 s7, 0x100
.LBB85_40:                              ; =>This Inner Loop Header: Depth=1
	global_load_dword v17, v[11:12], off
	global_load_dword v19, v[9:10], off
	s_waitcnt vmcnt(1)
	v_subrev_u32_e32 v17, s42, v17
	v_ashrrev_i32_e32 v18, 31, v17
	v_lshlrev_b64 v[17:18], 3, v[17:18]
	s_waitcnt vmcnt(0)
	v_fma_f32 v20, v1, v19, v14
	v_add_co_u32_e32 v17, vcc, s30, v17
	v_addc_co_u32_e32 v18, vcc, v16, v18, vcc
	global_load_dwordx2 v[17:18], v[17:18], off
	v_add_co_u32_e32 v7, vcc, s7, v7
	v_addc_co_u32_e32 v8, vcc, 0, v8, vcc
	v_add_co_u32_e32 v9, vcc, 0x400, v9
	v_addc_co_u32_e32 v10, vcc, 0, v10, vcc
	v_cmp_le_i64_e64 s[0:1], s[12:13], v[7:8]
	v_fma_f32 v19, v2, v19, v15
	v_add_co_u32_e32 v11, vcc, 0x400, v11
	v_addc_co_u32_e32 v12, vcc, 0, v12, vcc
	s_or_b64 s[14:15], s[0:1], s[14:15]
	s_waitcnt vmcnt(0)
	v_fmac_f32_e32 v3, v20, v17
	v_fmac_f32_e32 v4, v19, v17
	v_fma_f32 v3, -v19, v18, v3
	v_fmac_f32_e32 v4, v20, v18
	s_andn2_b64 exec, exec, s[14:15]
	s_cbranch_execnz .LBB85_40
; %bb.41:
	s_or_b64 exec, exec, s[14:15]
.LBB85_42:
	s_or_b64 exec, exec, s[10:11]
	s_movk_i32 s0, 0x80
	v_lshlrev_b32_e32 v7, 3, v0
	v_cmp_gt_u32_e32 vcc, s0, v0
	ds_write_b64 v7, v[3:4]
	s_waitcnt vmcnt(0) lgkmcnt(0)
	s_barrier
	s_and_saveexec_b64 s[0:1], vcc
	s_cbranch_execz .LBB85_44
; %bb.43:
	ds_read2st64_b64 v[8:11], v7 offset1:2
	s_waitcnt lgkmcnt(0)
	v_add_f32_e32 v3, v10, v8
	v_add_f32_e32 v4, v11, v9
	ds_write_b64 v7, v[3:4]
.LBB85_44:
	s_or_b64 exec, exec, s[0:1]
	v_cmp_gt_u32_e32 vcc, 64, v0
	s_waitcnt lgkmcnt(0)
	s_barrier
	s_and_saveexec_b64 s[0:1], vcc
	s_cbranch_execz .LBB85_46
; %bb.45:
	ds_read2st64_b64 v[8:11], v7 offset1:1
	s_waitcnt lgkmcnt(0)
	v_add_f32_e32 v3, v10, v8
	v_add_f32_e32 v4, v11, v9
	ds_write_b64 v7, v[3:4]
.LBB85_46:
	s_or_b64 exec, exec, s[0:1]
	v_cmp_gt_u32_e32 vcc, 32, v0
	s_waitcnt lgkmcnt(0)
	s_barrier
	s_and_saveexec_b64 s[0:1], vcc
	s_cbranch_execz .LBB85_48
; %bb.47:
	ds_read2_b64 v[8:11], v7 offset1:32
	s_waitcnt lgkmcnt(0)
	v_add_f32_e32 v3, v10, v8
	v_add_f32_e32 v4, v11, v9
	ds_write_b64 v7, v[3:4]
.LBB85_48:
	s_or_b64 exec, exec, s[0:1]
	v_cmp_gt_u32_e32 vcc, 16, v0
	s_waitcnt lgkmcnt(0)
	s_barrier
	s_and_saveexec_b64 s[0:1], vcc
	s_cbranch_execz .LBB85_50
; %bb.49:
	ds_read2_b64 v[8:11], v7 offset1:16
	s_waitcnt lgkmcnt(0)
	v_add_f32_e32 v3, v10, v8
	v_add_f32_e32 v4, v11, v9
	ds_write_b64 v7, v[3:4]
.LBB85_50:
	;; [unrolled: 13-line block ×5, first 2 shown]
	s_or_b64 exec, exec, s[0:1]
	v_cmp_eq_u32_e32 vcc, 0, v0
	s_waitcnt lgkmcnt(0)
	s_barrier
	s_and_saveexec_b64 s[0:1], vcc
	s_cbranch_execz .LBB85_58
; %bb.57:
	v_mov_b32_e32 v11, 0
	ds_read2_b64 v[7:10], v11 offset1:1
	s_waitcnt lgkmcnt(0)
	v_add_f32_e32 v3, v9, v7
	v_add_f32_e32 v4, v10, v8
	ds_write_b64 v11, v[3:4]
.LBB85_58:
	s_or_b64 exec, exec, s[0:1]
	s_waitcnt lgkmcnt(0)
	s_barrier
	s_and_saveexec_b64 s[0:1], vcc
	s_cbranch_execz .LBB85_71
; %bb.59:
	s_cmp_eq_u32 s33, 0
	s_cbranch_scc1 .LBB85_65
; %bb.60:
	s_ashr_i32 s7, s6, 31
	s_lshl_b64 s[6:7], s[6:7], 2
	s_add_u32 s6, s8, s6
	s_addc_u32 s7, s9, s7
	v_mov_b32_e32 v3, 0
	s_branch .LBB85_62
.LBB85_61:                              ;   in Loop: Header=BB85_62 Depth=1
	s_or_b64 exec, exec, s[8:9]
	s_waitcnt vmcnt(0)
	v_readfirstlane_b32 s8, v4
	v_cmp_eq_u32_e32 vcc, s8, v13
	s_cbranch_vccz .LBB85_64
.LBB85_62:                              ; =>This Inner Loop Header: Depth=1
	v_mbcnt_lo_u32_b32 v4, exec_lo, 0
	v_mbcnt_hi_u32_b32 v4, exec_hi, v4
	v_cmp_eq_u32_e32 vcc, 0, v4
                                        ; implicit-def: $vgpr4
	s_and_saveexec_b64 s[8:9], vcc
	s_cbranch_execz .LBB85_61
; %bb.63:                               ;   in Loop: Header=BB85_62 Depth=1
	global_load_dword v4, v3, s[6:7] glc
	s_branch .LBB85_61
.LBB85_64:
	v_mov_b32_e32 v3, 0
	global_load_ushort v4, v3, s[2:3]
	s_waitcnt vmcnt(0)
	v_xor_b32_e32 v4, 1, v4
	global_store_short v3, v4, s[2:3]
.LBB85_65:
	v_mov_b32_e32 v9, 0
	ds_read_b64 v[3:4], v9
	s_mov_b64 s[8:9], exec
	v_mbcnt_lo_u32_b32 v7, s8, 0
	s_add_u32 s2, s22, s44
	v_mbcnt_hi_u32_b32 v7, s9, v7
	s_addc_u32 s3, s23, s45
	v_cmp_eq_u32_e32 vcc, 0, v7
	s_and_saveexec_b64 s[6:7], vcc
	s_cbranch_execz .LBB85_68
; %bb.66:
	global_load_dword v8, v9, s[2:3]
	s_bcnt1_i32_b64 s8, s[8:9]
	v_cvt_f32_ubyte0_e32 v7, s8
	s_waitcnt lgkmcnt(0)
	v_mul_f32_e32 v3, v3, v7
	s_mov_b64 s[8:9], 0
.LBB85_67:                              ; =>This Inner Loop Header: Depth=1
	s_waitcnt vmcnt(0)
	v_add_f32_e32 v7, v8, v3
	global_atomic_cmpswap v7, v9, v[7:8], s[2:3] glc
	s_waitcnt vmcnt(0)
	v_cmp_eq_u32_e32 vcc, v7, v8
	s_or_b64 s[8:9], vcc, s[8:9]
	v_mov_b32_e32 v8, v7
	s_andn2_b64 exec, exec, s[8:9]
	s_cbranch_execnz .LBB85_67
.LBB85_68:
	s_or_b64 exec, exec, s[6:7]
	s_mov_b64 s[6:7], exec
	s_waitcnt lgkmcnt(0)
	v_mbcnt_lo_u32_b32 v3, s6, 0
	v_mbcnt_hi_u32_b32 v3, s7, v3
	v_cmp_eq_u32_e32 vcc, 0, v3
	s_and_b64 s[8:9], exec, vcc
	s_mov_b64 exec, s[8:9]
	s_cbranch_execz .LBB85_71
; %bb.69:
	v_mov_b32_e32 v3, 0
	global_load_dword v8, v3, s[2:3] offset:4
	s_bcnt1_i32_b64 s6, s[6:7]
	v_cvt_f32_ubyte0_e32 v7, s6
	v_mul_f32_e32 v4, v4, v7
	s_mov_b64 s[6:7], 0
.LBB85_70:                              ; =>This Inner Loop Header: Depth=1
	s_waitcnt vmcnt(0)
	v_add_f32_e32 v7, v8, v4
	global_atomic_cmpswap v7, v3, v[7:8], s[2:3] offset:4 glc
	s_waitcnt vmcnt(0)
	v_cmp_eq_u32_e32 vcc, v7, v8
	s_or_b64 s[6:7], vcc, s[6:7]
	v_mov_b32_e32 v8, v7
	s_andn2_b64 exec, exec, s[6:7]
	s_cbranch_execnz .LBB85_70
.LBB85_71:
	s_or_b64 exec, exec, s[0:1]
.LBB85_72:
	s_mov_b64 s[0:1], 0
.LBB85_73:
	s_andn2_b64 vcc, exec, s[0:1]
	s_cbranch_vccnz .LBB85_117
; %bb.74:
	s_load_dwordx2 s[0:1], s[4:5], 0x8
	v_subrev_co_u32_e32 v3, vcc, s42, v0
	v_subb_co_u32_e64 v4, s[2:3], 0, 0, vcc
	s_waitcnt lgkmcnt(0)
	v_mov_b32_e32 v7, s35
	v_add_co_u32_e32 v3, vcc, s34, v3
	v_addc_co_u32_e32 v4, vcc, v7, v4, vcc
	v_add_co_u32_e32 v7, vcc, 0x300, v3
	v_addc_co_u32_e32 v8, vcc, 0, v4, vcc
	v_cmp_le_i64_e32 vcc, s[0:1], v[7:8]
	s_and_saveexec_b64 s[0:1], vcc
	s_xor_b64 s[2:3], exec, s[0:1]
	s_cbranch_execz .LBB85_79
; %bb.75:
	s_lshl_b64 s[0:1], s[38:39], 3
	s_add_u32 s0, s24, s0
	s_addc_u32 s1, s25, s1
	s_load_dwordx2 s[0:1], s[0:1], 0x0
	s_waitcnt lgkmcnt(0)
	s_sub_u32 s4, s0, s42
	s_subb_u32 s5, s1, 0
	v_cmp_gt_i64_e32 vcc, s[4:5], v[3:4]
	s_and_saveexec_b64 s[6:7], vcc
	s_cbranch_execz .LBB85_78
; %bb.76:
	v_lshlrev_b64 v[9:10], 2, v[3:4]
	v_mov_b32_e32 v8, s29
	v_add_co_u32_e32 v7, vcc, s28, v9
	v_addc_co_u32_e32 v8, vcc, v8, v10, vcc
	v_mov_b32_e32 v14, s27
	v_add_co_u32_e32 v9, vcc, s26, v9
	v_lshlrev_b32_e32 v11, 3, v0
	v_mul_f32_e32 v12, 0x80000000, v2
	v_mul_f32_e32 v13, 0, v1
	v_addc_co_u32_e32 v10, vcc, v14, v10, vcc
	s_mov_b64 s[8:9], 0
	v_mov_b32_e32 v14, s31
	s_movk_i32 s10, 0x100
.LBB85_77:                              ; =>This Inner Loop Header: Depth=1
	global_load_dword v15, v[9:10], off
	global_load_dword v17, v[7:8], off
	s_waitcnt vmcnt(1)
	v_subrev_u32_e32 v15, s42, v15
	v_ashrrev_i32_e32 v16, 31, v15
	v_lshlrev_b64 v[15:16], 3, v[15:16]
	s_waitcnt vmcnt(0)
	v_fma_f32 v19, v1, v17, v12
	v_add_co_u32_e32 v15, vcc, s30, v15
	v_addc_co_u32_e32 v16, vcc, v14, v16, vcc
	global_load_dwordx2 v[15:16], v[15:16], off
	v_add_co_u32_e32 v3, vcc, s10, v3
	v_addc_co_u32_e32 v4, vcc, 0, v4, vcc
	v_add_co_u32_e32 v7, vcc, 0x400, v7
	v_fma_f32 v20, v2, v17, v13
	v_addc_co_u32_e32 v8, vcc, 0, v8, vcc
	v_cmp_le_i64_e64 s[0:1], s[4:5], v[3:4]
	v_add_co_u32_e32 v9, vcc, 0x400, v9
	v_addc_co_u32_e32 v10, vcc, 0, v10, vcc
	s_or_b64 s[8:9], s[0:1], s[8:9]
	s_waitcnt vmcnt(0)
	v_mul_f32_e64 v17, v16, -v20
	v_mul_f32_e32 v18, v19, v16
	v_fmac_f32_e32 v17, v19, v15
	v_fmac_f32_e32 v18, v20, v15
	ds_write_b64 v11, v[17:18]
	v_add_u32_e32 v11, 0x800, v11
	s_andn2_b64 exec, exec, s[8:9]
	s_cbranch_execnz .LBB85_77
.LBB85_78:
	s_or_b64 exec, exec, s[6:7]
                                        ; implicit-def: $vgpr1_vgpr2
                                        ; implicit-def: $vgpr3_vgpr4
.LBB85_79:
	s_or_saveexec_b64 s[0:1], s[2:3]
	v_lshlrev_b32_e32 v11, 3, v0
	s_xor_b64 exec, exec, s[0:1]
	s_cbranch_execz .LBB85_81
; %bb.80:
	v_lshlrev_b64 v[3:4], 2, v[3:4]
	v_mov_b32_e32 v8, s27
	v_add_co_u32_e32 v7, vcc, s26, v3
	v_addc_co_u32_e32 v8, vcc, v8, v4, vcc
	global_load_dword v9, v[7:8], off
	global_load_dword v10, v[7:8], off offset:1024
	global_load_dword v12, v[7:8], off offset:2048
	;; [unrolled: 1-line block ×3, first 2 shown]
	v_mov_b32_e32 v7, s29
	v_add_co_u32_e32 v3, vcc, s28, v3
	v_addc_co_u32_e32 v4, vcc, v7, v4, vcc
	global_load_dword v21, v[3:4], off
	global_load_dword v22, v[3:4], off offset:1024
	global_load_dword v23, v[3:4], off offset:2048
	;; [unrolled: 1-line block ×3, first 2 shown]
	v_mov_b32_e32 v14, s31
	v_mov_b32_e32 v15, s31
	;; [unrolled: 1-line block ×4, first 2 shown]
	v_mul_f32_e32 v25, 0, v1
	s_waitcnt vmcnt(7)
	v_subrev_u32_e32 v3, s42, v9
	v_ashrrev_i32_e32 v4, 31, v3
	s_waitcnt vmcnt(6)
	v_subrev_u32_e32 v7, s42, v10
	v_lshlrev_b64 v[3:4], 3, v[3:4]
	v_ashrrev_i32_e32 v8, 31, v7
	s_waitcnt vmcnt(5)
	v_subrev_u32_e32 v9, s42, v12
	v_lshlrev_b64 v[7:8], 3, v[7:8]
	v_add_co_u32_e32 v3, vcc, s30, v3
	v_ashrrev_i32_e32 v10, 31, v9
	v_addc_co_u32_e32 v4, vcc, v14, v4, vcc
	s_waitcnt vmcnt(4)
	v_subrev_u32_e32 v12, s42, v13
	v_lshlrev_b64 v[9:10], 3, v[9:10]
	v_add_co_u32_e32 v7, vcc, s30, v7
	v_ashrrev_i32_e32 v13, 31, v12
	v_addc_co_u32_e32 v8, vcc, v15, v8, vcc
	v_lshlrev_b64 v[12:13], 3, v[12:13]
	v_add_co_u32_e32 v9, vcc, s30, v9
	v_addc_co_u32_e32 v10, vcc, v16, v10, vcc
	global_load_dwordx2 v[14:15], v[3:4], off
	global_load_dwordx2 v[16:17], v[7:8], off
	;; [unrolled: 1-line block ×3, first 2 shown]
	v_add_co_u32_e32 v3, vcc, s30, v12
	v_addc_co_u32_e32 v4, vcc, v20, v13, vcc
	global_load_dwordx2 v[3:4], v[3:4], off
	v_mul_f32_e32 v20, 0x80000000, v2
	s_waitcnt vmcnt(7)
	v_fma_f32 v26, v1, v21, v20
	v_fma_f32 v21, v2, v21, v25
	s_waitcnt vmcnt(6)
	v_fma_f32 v27, v1, v22, v20
	v_fma_f32 v22, v2, v22, v25
	;; [unrolled: 3-line block ×3, first 2 shown]
	s_waitcnt vmcnt(4)
	v_fmac_f32_e32 v20, v1, v24
	v_fmac_f32_e32 v25, v2, v24
	s_waitcnt vmcnt(3)
	v_mul_f32_e64 v1, v15, -v21
	v_mul_f32_e32 v2, v26, v15
	s_waitcnt vmcnt(2)
	v_mul_f32_e64 v7, v17, -v22
	v_mul_f32_e32 v8, v27, v17
	;; [unrolled: 3-line block ×3, first 2 shown]
	v_fmac_f32_e32 v1, v26, v14
	s_waitcnt vmcnt(0)
	v_mul_f32_e64 v12, v4, -v25
	v_mul_f32_e32 v13, v20, v4
	v_fmac_f32_e32 v2, v21, v14
	v_fmac_f32_e32 v7, v27, v16
	;; [unrolled: 1-line block ×7, first 2 shown]
	ds_write2st64_b64 v11, v[1:2], v[7:8] offset1:4
	ds_write2st64_b64 v11, v[9:10], v[12:13] offset0:8 offset1:12
.LBB85_81:
	s_or_b64 exec, exec, s[0:1]
	s_cmp_lt_i32 s33, 2
	s_mov_b64 s[0:1], -1
	s_waitcnt vmcnt(0) lgkmcnt(0)
	s_barrier
	s_cbranch_scc0 .LBB85_92
; %bb.82:
	v_mov_b32_e32 v1, s37
	v_add_co_u32_e32 v7, vcc, s36, v0
	v_addc_co_u32_e32 v8, vcc, 0, v1, vcc
	v_cmp_gt_i64_e32 vcc, s[38:39], v[7:8]
	s_and_saveexec_b64 s[2:3], vcc
	s_cbranch_execz .LBB85_91
; %bb.83:
	v_cmp_neq_f32_e32 vcc, 0, v5
	v_cmp_neq_f32_e64 s[0:1], 0, v6
	s_or_b64 s[4:5], vcc, s[0:1]
	s_lshl_b32 s0, s34, 3
	s_sub_i32 s10, 0, s0
	s_mov_b64 s[6:7], 0
	v_mov_b32_e32 v12, s25
	v_mov_b32_e32 v13, s23
	s_branch .LBB85_85
.LBB85_84:                              ;   in Loop: Header=BB85_85 Depth=1
	s_or_b64 exec, exec, s[0:1]
	v_add_co_u32_e32 v7, vcc, 0x100, v7
	v_addc_co_u32_e32 v8, vcc, 0, v8, vcc
	v_cmp_le_i64_e32 vcc, s[38:39], v[7:8]
	v_add_co_u32_e64 v1, s[0:1], s22, v9
	v_addc_co_u32_e64 v2, s[0:1], v13, v10, s[0:1]
	s_or_b64 s[6:7], vcc, s[6:7]
	global_store_dwordx2 v[1:2], v[3:4], off
	s_andn2_b64 exec, exec, s[6:7]
	s_cbranch_execz .LBB85_91
.LBB85_85:                              ; =>This Loop Header: Depth=1
                                        ;     Child Loop BB85_87 Depth 2
	v_lshlrev_b64 v[9:10], 3, v[7:8]
	v_add_co_u32_e32 v1, vcc, s24, v9
	v_addc_co_u32_e32 v2, vcc, v12, v10, vcc
	global_load_dwordx4 v[1:4], v[1:2], off
	s_waitcnt vmcnt(0)
	v_mov_b32_e32 v4, 0
	v_subrev_u32_e32 v2, s34, v1
	v_subrev_u32_e32 v14, s34, v3
	v_cmp_lt_i32_e32 vcc, v2, v14
	v_mov_b32_e32 v3, 0
	s_and_saveexec_b64 s[0:1], vcc
	s_cbranch_execz .LBB85_89
; %bb.86:                               ;   in Loop: Header=BB85_85 Depth=1
	v_mov_b32_e32 v4, 0
	v_lshl_add_u32 v1, v1, 3, s10
	s_mov_b64 s[8:9], 0
	v_mov_b32_e32 v3, v4
.LBB85_87:                              ;   Parent Loop BB85_85 Depth=1
                                        ; =>  This Inner Loop Header: Depth=2
	ds_read_b64 v[15:16], v1
	v_add_u32_e32 v2, 1, v2
	v_cmp_ge_i32_e32 vcc, v2, v14
	v_add_u32_e32 v1, 8, v1
	s_or_b64 s[8:9], vcc, s[8:9]
	s_waitcnt lgkmcnt(0)
	v_add_f32_e32 v3, v3, v15
	v_add_f32_e32 v4, v4, v16
	s_andn2_b64 exec, exec, s[8:9]
	s_cbranch_execnz .LBB85_87
; %bb.88:                               ;   in Loop: Header=BB85_85 Depth=1
	s_or_b64 exec, exec, s[8:9]
.LBB85_89:                              ;   in Loop: Header=BB85_85 Depth=1
	s_or_b64 exec, exec, s[0:1]
	s_and_saveexec_b64 s[0:1], s[4:5]
	s_cbranch_execz .LBB85_84
; %bb.90:                               ;   in Loop: Header=BB85_85 Depth=1
	v_mov_b32_e32 v2, s23
	v_add_co_u32_e32 v1, vcc, s22, v9
	v_addc_co_u32_e32 v2, vcc, v2, v10, vcc
	global_load_dwordx2 v[1:2], v[1:2], off
	s_waitcnt vmcnt(0)
	v_fmac_f32_e32 v3, v5, v1
	v_fmac_f32_e32 v4, v6, v1
	v_fma_f32 v3, -v6, v2, v3
	v_fmac_f32_e32 v4, v5, v2
	s_branch .LBB85_84
.LBB85_91:
	s_or_b64 exec, exec, s[2:3]
	s_mov_b64 s[0:1], 0
.LBB85_92:
	s_andn2_b64 vcc, exec, s[0:1]
	s_cbranch_vccnz .LBB85_117
; %bb.93:
	s_flbit_i32_b32 s0, s33
	s_xor_b32 s0, s0, 31
	v_lshrrev_b32_e32 v7, s0, v0
	v_mov_b32_e32 v2, s37
	v_add_co_u32_e32 v1, vcc, s36, v7
	v_addc_co_u32_e32 v2, vcc, 0, v2, vcc
	s_add_i32 s0, s33, -1
	v_mov_b32_e32 v3, 0
	v_and_b32_e32 v0, s0, v0
	v_cmp_le_i64_e32 vcc, s[38:39], v[1:2]
	v_cmp_gt_i64_e64 s[0:1], s[38:39], v[1:2]
	v_mov_b32_e32 v4, v3
	s_and_saveexec_b64 s[2:3], s[0:1]
	s_cbranch_execz .LBB85_99
; %bb.94:
	v_lshlrev_b32_e32 v3, 3, v7
	global_load_dword v7, v3, s[40:41] offset:8
	global_load_dword v8, v3, s[40:41]
	v_mov_b32_e32 v4, 0
	s_waitcnt vmcnt(1)
	v_subrev_u32_e32 v7, s34, v7
	s_waitcnt vmcnt(0)
	v_subrev_u32_e32 v3, s34, v8
	v_add_u32_e32 v8, v0, v3
	v_cmp_lt_i32_e64 s[0:1], v8, v7
	v_mov_b32_e32 v3, 0
	s_and_saveexec_b64 s[4:5], s[0:1]
	s_cbranch_execz .LBB85_98
; %bb.95:
	v_mov_b32_e32 v4, 0
	v_lshlrev_b32_e32 v9, 3, v8
	s_lshl_b32 s8, s33, 3
	s_mov_b64 s[6:7], 0
	v_mov_b32_e32 v3, v4
.LBB85_96:                              ; =>This Inner Loop Header: Depth=1
	ds_read_b64 v[12:13], v9
	v_add_u32_e32 v8, s33, v8
	v_cmp_ge_i32_e64 s[0:1], v8, v7
	v_add_u32_e32 v9, s8, v9
	s_or_b64 s[6:7], s[0:1], s[6:7]
	s_waitcnt lgkmcnt(0)
	v_add_f32_e32 v3, v3, v12
	v_add_f32_e32 v4, v4, v13
	s_andn2_b64 exec, exec, s[6:7]
	s_cbranch_execnz .LBB85_96
; %bb.97:
	s_or_b64 exec, exec, s[6:7]
.LBB85_98:
	s_or_b64 exec, exec, s[4:5]
.LBB85_99:
	s_or_b64 exec, exec, s[2:3]
	s_cmpk_lt_u32 s33, 0x81
	s_waitcnt vmcnt(0)
	s_barrier
	ds_write_b64 v11, v[3:4]
	s_waitcnt lgkmcnt(0)
	s_barrier
	s_cbranch_scc1 .LBB85_101
; %bb.100:
	ds_read_b64 v[7:8], v11 offset:1024
	s_waitcnt lgkmcnt(0)
	s_barrier
	v_add_f32_e32 v3, v3, v7
	v_add_f32_e32 v4, v4, v8
	ds_write_b64 v11, v[3:4]
.LBB85_101:
	s_cmpk_lt_u32 s33, 0x41
	s_waitcnt lgkmcnt(0)
	s_barrier
	s_cbranch_scc1 .LBB85_103
; %bb.102:
	ds_read_b64 v[7:8], v11 offset:512
	s_waitcnt lgkmcnt(0)
	s_barrier
	v_add_f32_e32 v3, v3, v7
	v_add_f32_e32 v4, v4, v8
	ds_write_b64 v11, v[3:4]
.LBB85_103:
	s_cmp_lt_u32 s33, 33
	s_waitcnt lgkmcnt(0)
	s_barrier
	s_cbranch_scc1 .LBB85_105
; %bb.104:
	ds_read_b64 v[7:8], v11 offset:256
	s_waitcnt lgkmcnt(0)
	s_barrier
	v_add_f32_e32 v3, v3, v7
	v_add_f32_e32 v4, v4, v8
	ds_write_b64 v11, v[3:4]
.LBB85_105:
	s_cmp_lt_u32 s33, 17
	;; [unrolled: 12-line block ×4, first 2 shown]
	s_waitcnt lgkmcnt(0)
	s_barrier
	s_cbranch_scc1 .LBB85_111
; %bb.110:
	ds_read_b64 v[7:8], v11 offset:32
	s_waitcnt lgkmcnt(0)
	s_barrier
	v_add_f32_e32 v3, v3, v7
	v_add_f32_e32 v4, v4, v8
	ds_write_b64 v11, v[3:4]
.LBB85_111:
	s_cmp_eq_u32 s33, 2
	s_waitcnt lgkmcnt(0)
	s_barrier
	s_cbranch_scc1 .LBB85_113
; %bb.112:
	ds_read_b64 v[7:8], v11 offset:16
	s_waitcnt lgkmcnt(0)
	s_barrier
	v_add_f32_e32 v3, v3, v7
	v_add_f32_e32 v4, v4, v8
	ds_write_b64 v11, v[3:4]
.LBB85_113:
	s_waitcnt lgkmcnt(0)
	s_barrier
	ds_read_b64 v[7:8], v11 offset:8
	v_cmp_eq_u32_e64 s[0:1], 0, v0
	s_xor_b64 s[2:3], vcc, -1
	s_and_b64 s[0:1], s[0:1], s[2:3]
	s_waitcnt lgkmcnt(0)
	v_add_f32_e32 v3, v3, v7
	v_add_f32_e32 v4, v4, v8
	s_barrier
	ds_write_b64 v11, v[3:4]
	s_and_b64 exec, exec, s[0:1]
	s_cbranch_execz .LBB85_117
; %bb.114:
	v_cmp_neq_f32_e32 vcc, 0, v5
	v_cmp_neq_f32_e64 s[0:1], 0, v6
	v_lshlrev_b64 v[0:1], 3, v[1:2]
	s_or_b64 s[2:3], vcc, s[0:1]
	s_and_saveexec_b64 s[0:1], s[2:3]
	s_cbranch_execz .LBB85_116
; %bb.115:
	v_mov_b32_e32 v2, s23
	v_add_co_u32_e32 v7, vcc, s22, v0
	v_addc_co_u32_e32 v8, vcc, v2, v1, vcc
	global_load_dwordx2 v[7:8], v[7:8], off
	s_waitcnt vmcnt(0)
	v_fmac_f32_e32 v3, v5, v7
	v_fmac_f32_e32 v4, v6, v7
	v_fma_f32 v3, -v6, v8, v3
	v_fmac_f32_e32 v4, v5, v8
.LBB85_116:
	s_or_b64 exec, exec, s[0:1]
	v_mov_b32_e32 v2, s23
	v_add_co_u32_e32 v0, vcc, s22, v0
	v_addc_co_u32_e32 v1, vcc, v2, v1, vcc
	global_store_dwordx2 v[0:1], v[3:4], off
.LBB85_117:
	s_endpgm
	.section	.rodata,"a",@progbits
	.p2align	6, 0x0
	.amdhsa_kernel _ZN9rocsparseL22csrmvn_adaptive_kernelIlif21rocsparse_complex_numIfES2_S2_EEvbT_PKS3_PjPKT0_NS_24const_host_device_scalarIT4_EES5_S9_PKT1_PKT2_SC_PT3_21rocsparse_index_base_b
		.amdhsa_group_segment_fixed_size 8192
		.amdhsa_private_segment_fixed_size 0
		.amdhsa_kernarg_size 104
		.amdhsa_user_sgpr_count 6
		.amdhsa_user_sgpr_private_segment_buffer 1
		.amdhsa_user_sgpr_dispatch_ptr 0
		.amdhsa_user_sgpr_queue_ptr 0
		.amdhsa_user_sgpr_kernarg_segment_ptr 1
		.amdhsa_user_sgpr_dispatch_id 0
		.amdhsa_user_sgpr_flat_scratch_init 0
		.amdhsa_user_sgpr_private_segment_size 0
		.amdhsa_uses_dynamic_stack 0
		.amdhsa_system_sgpr_private_segment_wavefront_offset 0
		.amdhsa_system_sgpr_workgroup_id_x 1
		.amdhsa_system_sgpr_workgroup_id_y 0
		.amdhsa_system_sgpr_workgroup_id_z 0
		.amdhsa_system_sgpr_workgroup_info 0
		.amdhsa_system_vgpr_workitem_id 0
		.amdhsa_next_free_vgpr 29
		.amdhsa_next_free_sgpr 61
		.amdhsa_reserve_vcc 1
		.amdhsa_reserve_flat_scratch 0
		.amdhsa_float_round_mode_32 0
		.amdhsa_float_round_mode_16_64 0
		.amdhsa_float_denorm_mode_32 3
		.amdhsa_float_denorm_mode_16_64 3
		.amdhsa_dx10_clamp 1
		.amdhsa_ieee_mode 1
		.amdhsa_fp16_overflow 0
		.amdhsa_exception_fp_ieee_invalid_op 0
		.amdhsa_exception_fp_denorm_src 0
		.amdhsa_exception_fp_ieee_div_zero 0
		.amdhsa_exception_fp_ieee_overflow 0
		.amdhsa_exception_fp_ieee_underflow 0
		.amdhsa_exception_fp_ieee_inexact 0
		.amdhsa_exception_int_div_zero 0
	.end_amdhsa_kernel
	.section	.text._ZN9rocsparseL22csrmvn_adaptive_kernelIlif21rocsparse_complex_numIfES2_S2_EEvbT_PKS3_PjPKT0_NS_24const_host_device_scalarIT4_EES5_S9_PKT1_PKT2_SC_PT3_21rocsparse_index_base_b,"axG",@progbits,_ZN9rocsparseL22csrmvn_adaptive_kernelIlif21rocsparse_complex_numIfES2_S2_EEvbT_PKS3_PjPKT0_NS_24const_host_device_scalarIT4_EES5_S9_PKT1_PKT2_SC_PT3_21rocsparse_index_base_b,comdat
.Lfunc_end85:
	.size	_ZN9rocsparseL22csrmvn_adaptive_kernelIlif21rocsparse_complex_numIfES2_S2_EEvbT_PKS3_PjPKT0_NS_24const_host_device_scalarIT4_EES5_S9_PKT1_PKT2_SC_PT3_21rocsparse_index_base_b, .Lfunc_end85-_ZN9rocsparseL22csrmvn_adaptive_kernelIlif21rocsparse_complex_numIfES2_S2_EEvbT_PKS3_PjPKT0_NS_24const_host_device_scalarIT4_EES5_S9_PKT1_PKT2_SC_PT3_21rocsparse_index_base_b
                                        ; -- End function
	.set _ZN9rocsparseL22csrmvn_adaptive_kernelIlif21rocsparse_complex_numIfES2_S2_EEvbT_PKS3_PjPKT0_NS_24const_host_device_scalarIT4_EES5_S9_PKT1_PKT2_SC_PT3_21rocsparse_index_base_b.num_vgpr, 29
	.set _ZN9rocsparseL22csrmvn_adaptive_kernelIlif21rocsparse_complex_numIfES2_S2_EEvbT_PKS3_PjPKT0_NS_24const_host_device_scalarIT4_EES5_S9_PKT1_PKT2_SC_PT3_21rocsparse_index_base_b.num_agpr, 0
	.set _ZN9rocsparseL22csrmvn_adaptive_kernelIlif21rocsparse_complex_numIfES2_S2_EEvbT_PKS3_PjPKT0_NS_24const_host_device_scalarIT4_EES5_S9_PKT1_PKT2_SC_PT3_21rocsparse_index_base_b.numbered_sgpr, 60
	.set _ZN9rocsparseL22csrmvn_adaptive_kernelIlif21rocsparse_complex_numIfES2_S2_EEvbT_PKS3_PjPKT0_NS_24const_host_device_scalarIT4_EES5_S9_PKT1_PKT2_SC_PT3_21rocsparse_index_base_b.num_named_barrier, 0
	.set _ZN9rocsparseL22csrmvn_adaptive_kernelIlif21rocsparse_complex_numIfES2_S2_EEvbT_PKS3_PjPKT0_NS_24const_host_device_scalarIT4_EES5_S9_PKT1_PKT2_SC_PT3_21rocsparse_index_base_b.private_seg_size, 0
	.set _ZN9rocsparseL22csrmvn_adaptive_kernelIlif21rocsparse_complex_numIfES2_S2_EEvbT_PKS3_PjPKT0_NS_24const_host_device_scalarIT4_EES5_S9_PKT1_PKT2_SC_PT3_21rocsparse_index_base_b.uses_vcc, 1
	.set _ZN9rocsparseL22csrmvn_adaptive_kernelIlif21rocsparse_complex_numIfES2_S2_EEvbT_PKS3_PjPKT0_NS_24const_host_device_scalarIT4_EES5_S9_PKT1_PKT2_SC_PT3_21rocsparse_index_base_b.uses_flat_scratch, 0
	.set _ZN9rocsparseL22csrmvn_adaptive_kernelIlif21rocsparse_complex_numIfES2_S2_EEvbT_PKS3_PjPKT0_NS_24const_host_device_scalarIT4_EES5_S9_PKT1_PKT2_SC_PT3_21rocsparse_index_base_b.has_dyn_sized_stack, 0
	.set _ZN9rocsparseL22csrmvn_adaptive_kernelIlif21rocsparse_complex_numIfES2_S2_EEvbT_PKS3_PjPKT0_NS_24const_host_device_scalarIT4_EES5_S9_PKT1_PKT2_SC_PT3_21rocsparse_index_base_b.has_recursion, 0
	.set _ZN9rocsparseL22csrmvn_adaptive_kernelIlif21rocsparse_complex_numIfES2_S2_EEvbT_PKS3_PjPKT0_NS_24const_host_device_scalarIT4_EES5_S9_PKT1_PKT2_SC_PT3_21rocsparse_index_base_b.has_indirect_call, 0
	.section	.AMDGPU.csdata,"",@progbits
; Kernel info:
; codeLenInByte = 4460
; TotalNumSgprs: 64
; NumVgprs: 29
; ScratchSize: 0
; MemoryBound: 0
; FloatMode: 240
; IeeeMode: 1
; LDSByteSize: 8192 bytes/workgroup (compile time only)
; SGPRBlocks: 8
; VGPRBlocks: 7
; NumSGPRsForWavesPerEU: 65
; NumVGPRsForWavesPerEU: 29
; Occupancy: 8
; WaveLimiterHint : 1
; COMPUTE_PGM_RSRC2:SCRATCH_EN: 0
; COMPUTE_PGM_RSRC2:USER_SGPR: 6
; COMPUTE_PGM_RSRC2:TRAP_HANDLER: 0
; COMPUTE_PGM_RSRC2:TGID_X_EN: 1
; COMPUTE_PGM_RSRC2:TGID_Y_EN: 0
; COMPUTE_PGM_RSRC2:TGID_Z_EN: 0
; COMPUTE_PGM_RSRC2:TIDIG_COMP_CNT: 0
	.section	.text._ZN9rocsparseL27csrmvn_symm_adaptive_kernelIlif21rocsparse_complex_numIfES2_S2_EEvbT_S3_PKS3_NS_24const_host_device_scalarIT4_EES5_PKT0_PKT1_PKT2_S8_PT3_21rocsparse_index_base_b,"axG",@progbits,_ZN9rocsparseL27csrmvn_symm_adaptive_kernelIlif21rocsparse_complex_numIfES2_S2_EEvbT_S3_PKS3_NS_24const_host_device_scalarIT4_EES5_PKT0_PKT1_PKT2_S8_PT3_21rocsparse_index_base_b,comdat
	.globl	_ZN9rocsparseL27csrmvn_symm_adaptive_kernelIlif21rocsparse_complex_numIfES2_S2_EEvbT_S3_PKS3_NS_24const_host_device_scalarIT4_EES5_PKT0_PKT1_PKT2_S8_PT3_21rocsparse_index_base_b ; -- Begin function _ZN9rocsparseL27csrmvn_symm_adaptive_kernelIlif21rocsparse_complex_numIfES2_S2_EEvbT_S3_PKS3_NS_24const_host_device_scalarIT4_EES5_PKT0_PKT1_PKT2_S8_PT3_21rocsparse_index_base_b
	.p2align	8
	.type	_ZN9rocsparseL27csrmvn_symm_adaptive_kernelIlif21rocsparse_complex_numIfES2_S2_EEvbT_S3_PKS3_NS_24const_host_device_scalarIT4_EES5_PKT0_PKT1_PKT2_S8_PT3_21rocsparse_index_base_b,@function
_ZN9rocsparseL27csrmvn_symm_adaptive_kernelIlif21rocsparse_complex_numIfES2_S2_EEvbT_S3_PKS3_NS_24const_host_device_scalarIT4_EES5_PKT0_PKT1_PKT2_S8_PT3_21rocsparse_index_base_b: ; @_ZN9rocsparseL27csrmvn_symm_adaptive_kernelIlif21rocsparse_complex_numIfES2_S2_EEvbT_S3_PKS3_NS_24const_host_device_scalarIT4_EES5_PKT0_PKT1_PKT2_S8_PT3_21rocsparse_index_base_b
; %bb.0:
	s_load_dwordx2 s[30:31], s[4:5], 0x58
	s_load_dwordx2 s[0:1], s[4:5], 0x20
	s_add_u32 s7, s4, 32
	s_addc_u32 s10, s5, 0
	s_waitcnt lgkmcnt(0)
	s_bitcmp1_b32 s31, 0
	s_cselect_b64 s[8:9], -1, 0
	s_and_b64 s[2:3], s[8:9], exec
	s_cselect_b32 s1, s10, s1
	s_cselect_b32 s0, s7, s0
	v_mov_b32_e32 v1, s0
	v_mov_b32_e32 v2, s1
	flat_load_dwordx2 v[6:7], v[1:2]
	s_waitcnt vmcnt(0) lgkmcnt(0)
	v_cmp_eq_f32_e32 vcc, 0, v6
	v_cmp_eq_f32_e64 s[0:1], 0, v7
	s_and_b64 s[10:11], vcc, s[0:1]
	s_mov_b64 s[0:1], -1
	s_and_saveexec_b64 s[2:3], s[10:11]
	s_cbranch_execz .LBB86_2
; %bb.1:
	s_load_dwordx2 s[0:1], s[4:5], 0x48
	s_add_u32 s7, s4, 0x48
	s_addc_u32 s10, s5, 0
	s_and_b64 s[8:9], s[8:9], exec
	s_waitcnt lgkmcnt(0)
	s_cselect_b32 s1, s10, s1
	s_cselect_b32 s0, s7, s0
	v_mov_b32_e32 v1, s0
	v_mov_b32_e32 v2, s1
	flat_load_dwordx2 v[1:2], v[1:2]
	s_waitcnt vmcnt(0) lgkmcnt(0)
	v_cmp_neq_f32_e32 vcc, 1.0, v1
	v_cmp_neq_f32_e64 s[0:1], 0, v2
	s_or_b64 s[0:1], vcc, s[0:1]
	s_orn2_b64 s[0:1], s[0:1], exec
.LBB86_2:
	s_or_b64 exec, exec, s[2:3]
	s_and_saveexec_b64 s[2:3], s[0:1]
	s_cbranch_execz .LBB86_179
; %bb.3:
	s_load_dwordx2 s[0:1], s[4:5], 0x18
	s_mov_b32 s2, 0
	s_mov_b32 s3, s2
	v_mov_b32_e32 v1, s2
	s_ashr_i32 s7, s6, 31
	v_mov_b32_e32 v2, s3
	s_lshl_b64 s[2:3], s[6:7], 3
	s_waitcnt lgkmcnt(0)
	s_add_u32 s0, s0, s2
	v_lshlrev_b32_e32 v18, 3, v0
	s_addc_u32 s1, s1, s3
	ds_write2st64_b64 v18, v[1:2], v[1:2] offset1:4
	ds_write2st64_b64 v18, v[1:2], v[1:2] offset0:8 offset1:12
	s_waitcnt lgkmcnt(0)
	s_barrier
	s_load_dwordx4 s[24:27], s[0:1], 0x0
	s_load_dwordx8 s[16:23], s[4:5], 0x28
	s_load_dwordx2 s[14:15], s[4:5], 0x50
	s_mov_b64 s[0:1], -1
	s_waitcnt lgkmcnt(0)
	s_sub_u32 s28, s26, s24
	s_subb_u32 s29, s27, s25
	v_cmp_gt_i64_e64 s[2:3], s[28:29], 2
	s_and_b64 vcc, exec, s[2:3]
	s_cbranch_vccnz .LBB86_47
; %bb.4:
	v_mov_b32_e32 v1, s24
	v_mov_b32_e32 v2, s25
	v_cmp_le_i64_e32 vcc, s[26:27], v[1:2]
	v_subrev_co_u32_e64 v5, s[0:1], s30, v0
	v_mov_b32_e32 v15, 0
	v_subb_co_u32_e64 v14, s[0:1], 0, 0, s[0:1]
	s_cbranch_vccnz .LBB86_34
; %bb.5:
	s_movk_i32 s31, 0x100
	v_mov_b32_e32 v1, s26
	v_cmp_gt_u32_e64 s[0:1], s31, v0
	v_cmp_gt_u32_e64 s[2:3], 64, v0
	;; [unrolled: 1-line block ×4, first 2 shown]
	v_cmp_eq_u32_e64 s[10:11], 0, v0
	v_mov_b32_e32 v2, s27
	s_mov_b64 s[34:35], s[24:25]
	s_branch .LBB86_7
.LBB86_6:                               ;   in Loop: Header=BB86_7 Depth=1
	s_or_b64 exec, exec, s[12:13]
	s_add_u32 s34, s34, 1
	s_addc_u32 s35, s35, 0
	v_cmp_ge_i64_e32 vcc, s[34:35], v[1:2]
	s_cbranch_vccnz .LBB86_34
.LBB86_7:                               ; =>This Loop Header: Depth=1
                                        ;     Child Loop BB86_9 Depth 2
                                        ;     Child Loop BB86_23 Depth 2
                                        ;     Child Loop BB86_26 Depth 2
                                        ;     Child Loop BB86_29 Depth 2
                                        ;     Child Loop BB86_32 Depth 2
	s_lshl_b64 s[36:37], s[34:35], 3
	s_add_u32 s12, s16, s36
	s_addc_u32 s13, s17, s37
	s_load_dwordx4 s[40:43], s[12:13], 0x0
	v_mov_b32_e32 v9, 0
	v_mov_b32_e32 v8, 0
	s_waitcnt lgkmcnt(0)
	s_sub_u32 s38, s42, s30
	v_mov_b32_e32 v4, s41
	v_add_co_u32_e32 v3, vcc, s40, v5
	s_subb_u32 s39, s43, 0
	v_addc_co_u32_e32 v4, vcc, v4, v14, vcc
	v_cmp_gt_i64_e32 vcc, s[38:39], v[3:4]
	s_and_saveexec_b64 s[40:41], vcc
	s_cbranch_execz .LBB86_11
; %bb.8:                                ;   in Loop: Header=BB86_7 Depth=1
	v_lshlrev_b64 v[8:9], 2, v[3:4]
	v_mov_b32_e32 v11, s19
	v_add_co_u32_e32 v10, vcc, s18, v8
	v_addc_co_u32_e32 v11, vcc, v11, v9, vcc
	v_mov_b32_e32 v13, s21
	v_add_co_u32_e32 v12, vcc, s20, v8
	v_addc_co_u32_e32 v13, vcc, v13, v9, vcc
	v_mov_b32_e32 v9, 0
	s_mov_b64 s[42:43], 0
	v_mov_b32_e32 v8, v9
.LBB86_9:                               ;   Parent Loop BB86_7 Depth=1
                                        ; =>  This Inner Loop Header: Depth=2
	global_load_dword v16, v[10:11], off
	global_load_dword v19, v[12:13], off
	v_mov_b32_e32 v20, s23
	s_waitcnt vmcnt(1)
	v_subrev_u32_e32 v16, s30, v16
	v_ashrrev_i32_e32 v17, 31, v16
	v_lshlrev_b64 v[16:17], 3, v[16:17]
	v_add_co_u32_e32 v16, vcc, s22, v16
	v_addc_co_u32_e32 v17, vcc, v20, v17, vcc
	global_load_dwordx2 v[16:17], v[16:17], off
	v_add_co_u32_e32 v3, vcc, s31, v3
	v_addc_co_u32_e32 v4, vcc, 0, v4, vcc
	v_add_co_u32_e32 v10, vcc, 0x400, v10
	v_addc_co_u32_e32 v11, vcc, 0, v11, vcc
	v_cmp_le_i64_e64 s[12:13], s[38:39], v[3:4]
	v_add_co_u32_e32 v12, vcc, 0x400, v12
	v_addc_co_u32_e32 v13, vcc, 0, v13, vcc
	s_or_b64 s[42:43], s[12:13], s[42:43]
	s_waitcnt vmcnt(0)
	v_fmac_f32_e32 v8, v19, v16
	v_fmac_f32_e32 v9, 0, v16
	;; [unrolled: 1-line block ×4, first 2 shown]
	s_andn2_b64 exec, exec, s[42:43]
	s_cbranch_execnz .LBB86_9
; %bb.10:                               ;   in Loop: Header=BB86_7 Depth=1
	s_or_b64 exec, exec, s[42:43]
.LBB86_11:                              ;   in Loop: Header=BB86_7 Depth=1
	s_or_b64 exec, exec, s[40:41]
	ds_write_b64 v18, v[8:9]
	s_waitcnt lgkmcnt(0)
	s_barrier
	s_and_saveexec_b64 s[12:13], s[0:1]
	s_cbranch_execz .LBB86_13
; %bb.12:                               ;   in Loop: Header=BB86_7 Depth=1
	ds_read2st64_b64 v[8:11], v18 offset1:4
	ds_read2st64_b64 v[19:22], v18 offset0:8 offset1:12
	s_waitcnt lgkmcnt(0)
	v_add_f32_e32 v3, v19, v10
	v_add_f32_e32 v4, v20, v11
	;; [unrolled: 1-line block ×6, first 2 shown]
	ds_write_b64 v18, v[3:4]
.LBB86_13:                              ;   in Loop: Header=BB86_7 Depth=1
	s_or_b64 exec, exec, s[12:13]
	s_waitcnt lgkmcnt(0)
	s_barrier
	s_and_saveexec_b64 s[12:13], s[2:3]
	s_cbranch_execz .LBB86_15
; %bb.14:                               ;   in Loop: Header=BB86_7 Depth=1
	ds_read2st64_b64 v[8:11], v18 offset1:1
	ds_read2st64_b64 v[19:22], v18 offset0:2 offset1:3
	s_waitcnt lgkmcnt(0)
	v_add_f32_e32 v3, v19, v10
	v_add_f32_e32 v4, v20, v11
	;; [unrolled: 1-line block ×6, first 2 shown]
	ds_write_b64 v18, v[3:4]
.LBB86_15:                              ;   in Loop: Header=BB86_7 Depth=1
	s_or_b64 exec, exec, s[12:13]
	s_waitcnt lgkmcnt(0)
	s_barrier
	s_and_saveexec_b64 s[12:13], s[6:7]
	s_cbranch_execz .LBB86_17
; %bb.16:                               ;   in Loop: Header=BB86_7 Depth=1
	ds_read2_b64 v[8:11], v18 offset1:16
	ds_read2_b64 v[19:22], v18 offset0:32 offset1:48
	s_waitcnt lgkmcnt(0)
	v_add_f32_e32 v3, v19, v10
	v_add_f32_e32 v4, v20, v11
	;; [unrolled: 1-line block ×6, first 2 shown]
	ds_write_b64 v18, v[3:4]
.LBB86_17:                              ;   in Loop: Header=BB86_7 Depth=1
	s_or_b64 exec, exec, s[12:13]
	s_waitcnt lgkmcnt(0)
	s_barrier
	s_and_saveexec_b64 s[12:13], s[8:9]
	s_cbranch_execz .LBB86_19
; %bb.18:                               ;   in Loop: Header=BB86_7 Depth=1
	ds_read2_b64 v[8:11], v18 offset1:4
	ds_read2_b64 v[19:22], v18 offset0:8 offset1:12
	s_waitcnt lgkmcnt(0)
	v_add_f32_e32 v3, v19, v10
	v_add_f32_e32 v4, v20, v11
	v_add_f32_e32 v3, v21, v3
	v_add_f32_e32 v4, v22, v4
	v_add_f32_e32 v3, v3, v8
	v_add_f32_e32 v4, v4, v9
	ds_write_b64 v18, v[3:4]
.LBB86_19:                              ;   in Loop: Header=BB86_7 Depth=1
	s_or_b64 exec, exec, s[12:13]
	s_waitcnt lgkmcnt(0)
	s_barrier
	s_and_saveexec_b64 s[12:13], s[10:11]
	s_cbranch_execz .LBB86_21
; %bb.20:                               ;   in Loop: Header=BB86_7 Depth=1
	ds_read_b128 v[8:11], v15 offset:16
	ds_read_b64 v[3:4], v15 offset:8
	ds_read_b64 v[12:13], v18
	s_waitcnt lgkmcnt(1)
	v_add_f32_e32 v3, v8, v3
	v_add_f32_e32 v4, v9, v4
	v_add_f32_e32 v3, v10, v3
	v_add_f32_e32 v4, v11, v4
	s_waitcnt lgkmcnt(0)
	v_add_f32_e32 v3, v3, v12
	v_add_f32_e32 v4, v4, v13
	ds_write_b64 v18, v[3:4]
.LBB86_21:                              ;   in Loop: Header=BB86_7 Depth=1
	s_or_b64 exec, exec, s[12:13]
	s_waitcnt lgkmcnt(0)
	s_barrier
	s_and_saveexec_b64 s[12:13], s[10:11]
	s_cbranch_execz .LBB86_6
; %bb.22:                               ;   in Loop: Header=BB86_7 Depth=1
	ds_read_b64 v[3:4], v15
	s_mov_b64 s[38:39], exec
	v_bfrev_b32_e32 v10, 1
	s_waitcnt lgkmcnt(0)
	v_mul_f32_e64 v8, v4, -v7
	v_fmac_f32_e32 v8, v6, v3
.LBB86_23:                              ;   Parent Loop BB86_7 Depth=1
                                        ; =>  This Inner Loop Header: Depth=2
	s_ff1_i32_b64 s33, s[38:39]
	s_lshl_b64 s[40:41], 1, s33
	v_readlane_b32 s42, v8, s33
	s_andn2_b64 s[38:39], s[38:39], s[40:41]
	s_cmp_lg_u64 s[38:39], 0
	v_add_f32_e32 v10, s42, v10
	s_cbranch_scc1 .LBB86_23
; %bb.24:                               ;   in Loop: Header=BB86_7 Depth=1
	v_mbcnt_lo_u32_b32 v8, exec_lo, 0
	s_add_u32 s36, s14, s36
	v_mbcnt_hi_u32_b32 v8, exec_hi, v8
	s_addc_u32 s37, s15, s37
	v_cmp_eq_u32_e32 vcc, 0, v8
	s_and_saveexec_b64 s[38:39], vcc
	s_xor_b64 s[38:39], exec, s[38:39]
	s_cbranch_execz .LBB86_28
; %bb.25:                               ;   in Loop: Header=BB86_7 Depth=1
	global_load_dword v9, v15, s[36:37]
	s_mov_b64 s[40:41], 0
.LBB86_26:                              ;   Parent Loop BB86_7 Depth=1
                                        ; =>  This Inner Loop Header: Depth=2
	s_waitcnt vmcnt(0)
	v_add_f32_e32 v8, v9, v10
	global_atomic_cmpswap v8, v15, v[8:9], s[36:37] glc
	s_waitcnt vmcnt(0)
	v_cmp_eq_u32_e32 vcc, v8, v9
	s_or_b64 s[40:41], vcc, s[40:41]
	v_mov_b32_e32 v9, v8
	s_andn2_b64 exec, exec, s[40:41]
	s_cbranch_execnz .LBB86_26
; %bb.27:                               ;   in Loop: Header=BB86_7 Depth=1
	s_or_b64 exec, exec, s[40:41]
.LBB86_28:                              ;   in Loop: Header=BB86_7 Depth=1
	s_or_b64 exec, exec, s[38:39]
	v_mul_f32_e32 v4, v6, v4
	s_mov_b64 s[38:39], exec
	v_fmac_f32_e32 v4, v7, v3
	v_bfrev_b32_e32 v8, 1
.LBB86_29:                              ;   Parent Loop BB86_7 Depth=1
                                        ; =>  This Inner Loop Header: Depth=2
	s_ff1_i32_b64 s33, s[38:39]
	s_lshl_b64 s[40:41], 1, s33
	v_readlane_b32 s42, v4, s33
	s_andn2_b64 s[38:39], s[38:39], s[40:41]
	s_cmp_lg_u64 s[38:39], 0
	v_add_f32_e32 v8, s42, v8
	s_cbranch_scc1 .LBB86_29
; %bb.30:                               ;   in Loop: Header=BB86_7 Depth=1
	v_mbcnt_lo_u32_b32 v3, exec_lo, 0
	v_mbcnt_hi_u32_b32 v3, exec_hi, v3
	v_cmp_eq_u32_e32 vcc, 0, v3
	s_and_saveexec_b64 s[38:39], vcc
	s_xor_b64 s[38:39], exec, s[38:39]
	s_cbranch_execz .LBB86_6
; %bb.31:                               ;   in Loop: Header=BB86_7 Depth=1
	global_load_dword v4, v15, s[36:37] offset:4
	s_mov_b64 s[38:39], 0
.LBB86_32:                              ;   Parent Loop BB86_7 Depth=1
                                        ; =>  This Inner Loop Header: Depth=2
	s_waitcnt vmcnt(0)
	v_add_f32_e32 v3, v4, v8
	global_atomic_cmpswap v3, v15, v[3:4], s[36:37] offset:4 glc
	s_waitcnt vmcnt(0)
	v_cmp_eq_u32_e32 vcc, v3, v4
	s_or_b64 s[38:39], vcc, s[38:39]
	v_mov_b32_e32 v4, v3
	s_andn2_b64 exec, exec, s[38:39]
	s_cbranch_execnz .LBB86_32
; %bb.33:                               ;   in Loop: Header=BB86_7 Depth=1
	s_or_b64 exec, exec, s[38:39]
	s_branch .LBB86_6
.LBB86_34:
	s_lshl_b64 s[0:1], s[24:25], 3
	s_add_u32 s0, s16, s0
	s_addc_u32 s1, s17, s1
	s_lshl_b64 s[2:3], s[26:27], 3
	s_add_u32 s2, s16, s2
	s_addc_u32 s3, s17, s3
	s_load_dwordx2 s[8:9], s[0:1], 0x0
	s_load_dwordx2 s[6:7], s[2:3], 0x0
	s_waitcnt lgkmcnt(0)
	v_mov_b32_e32 v2, s9
	s_sub_u32 s6, s6, s30
	v_add_co_u32_e32 v1, vcc, s8, v5
	s_subb_u32 s7, s7, 0
	v_addc_co_u32_e32 v2, vcc, v2, v14, vcc
	v_cmp_gt_i64_e32 vcc, s[6:7], v[1:2]
	s_and_saveexec_b64 s[8:9], vcc
	s_cbranch_execz .LBB86_46
; %bb.35:
	s_add_u32 s10, s26, -1
	s_addc_u32 s11, s27, -1
	v_mov_b32_e32 v3, s10
	s_add_u32 s0, s26, -2
	v_mov_b32_e32 v4, s11
	s_addc_u32 s1, s27, -1
	v_cmp_lt_i64_e32 vcc, s[24:25], v[3:4]
	s_cmp_lg_u64 s[24:25], s[0:1]
	s_cselect_b64 s[0:1], -1, 0
	s_and_b64 s[0:1], vcc, s[0:1]
	v_cndmask_b32_e64 v3, 0, 1, s[0:1]
	v_mul_f32_e32 v5, 0x80000000, v7
	v_mul_f32_e32 v14, 0, v6
	s_mov_b64 s[12:13], 0
	v_cmp_ne_u32_e64 s[0:1], 1, v3
	v_mov_b32_e32 v15, s17
	v_mov_b32_e32 v16, s19
	s_branch .LBB86_37
.LBB86_36:                              ;   in Loop: Header=BB86_37 Depth=1
	s_or_b64 exec, exec, s[2:3]
	v_add_co_u32_e32 v1, vcc, 0x100, v1
	v_addc_co_u32_e32 v2, vcc, 0, v2, vcc
	v_cmp_le_i64_e32 vcc, s[6:7], v[1:2]
	s_or_b64 s[12:13], vcc, s[12:13]
	s_andn2_b64 exec, exec, s[12:13]
	s_cbranch_execz .LBB86_46
.LBB86_37:                              ; =>This Loop Header: Depth=1
                                        ;     Child Loop BB86_39 Depth 2
                                        ;     Child Loop BB86_43 Depth 2
                                        ;     Child Loop BB86_45 Depth 2
	v_mov_b32_e32 v3, s24
	v_mov_b32_e32 v8, s10
	s_and_b64 vcc, exec, s[0:1]
	v_mov_b32_e32 v4, s25
	v_mov_b32_e32 v9, s11
	s_cbranch_vccnz .LBB86_41
; %bb.38:                               ;   in Loop: Header=BB86_37 Depth=1
	v_mov_b32_e32 v3, s24
	v_mov_b32_e32 v8, s10
	s_mov_b64 s[34:35], 0
	v_mov_b32_e32 v4, s25
	v_mov_b32_e32 v9, s11
.LBB86_39:                              ;   Parent Loop BB86_37 Depth=1
                                        ; =>  This Inner Loop Header: Depth=2
	v_add_co_u32_e32 v10, vcc, v8, v3
	v_addc_co_u32_e32 v11, vcc, v9, v4, vcc
	v_lshrrev_b32_e32 v12, 31, v11
	v_add_co_u32_e32 v10, vcc, v10, v12
	v_addc_co_u32_e32 v11, vcc, 0, v11, vcc
	v_ashrrev_i64 v[10:11], 1, v[10:11]
	v_mov_b32_e32 v17, s17
	v_lshlrev_b64 v[12:13], 3, v[10:11]
	v_add_co_u32_e32 v12, vcc, s16, v12
	v_addc_co_u32_e32 v13, vcc, v17, v13, vcc
	global_load_dwordx2 v[12:13], v[12:13], off
	s_waitcnt vmcnt(0)
	v_subrev_co_u32_e32 v12, vcc, s30, v12
	v_subbrev_co_u32_e32 v13, vcc, 0, v13, vcc
	v_cmp_lt_i64_e32 vcc, v[1:2], v[12:13]
	v_cndmask_b32_e32 v8, v8, v10, vcc
	v_cndmask_b32_e32 v9, v9, v11, vcc
	v_cndmask_b32_e32 v3, v10, v3, vcc
	v_add_co_u32_e64 v10, s[2:3], -1, v8
	v_cndmask_b32_e32 v4, v11, v4, vcc
	v_addc_co_u32_e64 v11, s[2:3], -1, v9, s[2:3]
	v_cmp_ge_i64_e32 vcc, v[3:4], v[8:9]
	v_cmp_eq_u64_e64 s[2:3], v[3:4], v[10:11]
	s_or_b64 s[2:3], vcc, s[2:3]
	s_and_b64 s[2:3], exec, s[2:3]
	s_or_b64 s[34:35], s[2:3], s[34:35]
	s_andn2_b64 exec, exec, s[34:35]
	s_cbranch_execnz .LBB86_39
; %bb.40:                               ;   in Loop: Header=BB86_37 Depth=1
	s_or_b64 exec, exec, s[34:35]
.LBB86_41:                              ;   in Loop: Header=BB86_37 Depth=1
	v_lshlrev_b64 v[10:11], 3, v[8:9]
	v_add_co_u32_e32 v10, vcc, s16, v10
	v_addc_co_u32_e32 v11, vcc, v15, v11, vcc
	global_load_dwordx2 v[12:13], v[10:11], off
	v_lshlrev_b64 v[10:11], 2, v[1:2]
	v_add_co_u32_e32 v19, vcc, s18, v10
	v_addc_co_u32_e32 v20, vcc, v16, v11, vcc
	global_load_dword v17, v[19:20], off
	s_waitcnt vmcnt(1)
	v_subrev_co_u32_e32 v19, vcc, s30, v12
	v_subbrev_co_u32_e32 v20, vcc, 0, v13, vcc
	v_cmp_lt_i64_e32 vcc, v[1:2], v[19:20]
	v_cndmask_b32_e32 v4, v9, v4, vcc
	s_waitcnt vmcnt(0)
	v_subrev_u32_e32 v12, s30, v17
	v_cndmask_b32_e32 v3, v8, v3, vcc
	v_ashrrev_i32_e32 v13, 31, v12
	v_cmp_ne_u64_e32 vcc, v[3:4], v[12:13]
	s_and_saveexec_b64 s[2:3], vcc
	s_cbranch_execz .LBB86_36
; %bb.42:                               ;   in Loop: Header=BB86_37 Depth=1
	v_mov_b32_e32 v9, s21
	v_add_co_u32_e32 v8, vcc, s20, v10
	v_lshlrev_b64 v[3:4], 3, v[3:4]
	v_addc_co_u32_e32 v9, vcc, v9, v11, vcc
	v_lshlrev_b64 v[12:13], 3, v[12:13]
	global_load_dword v10, v[8:9], off
	v_mov_b32_e32 v8, s23
	v_add_co_u32_e32 v3, vcc, s22, v3
	v_addc_co_u32_e32 v4, vcc, v8, v4, vcc
	v_mov_b32_e32 v17, s15
	global_load_dwordx2 v[8:9], v[3:4], off
	v_add_co_u32_e32 v3, vcc, s14, v12
	v_addc_co_u32_e32 v4, vcc, v17, v13, vcc
	global_load_dword v11, v[3:4], off
	s_mov_b64 s[34:35], 0
	s_waitcnt vmcnt(2)
	v_fma_f32 v13, v7, v10, v14
	v_fma_f32 v12, v6, v10, v5
	s_waitcnt vmcnt(1)
	v_mul_f32_e64 v17, v9, -v13
	v_fmac_f32_e32 v17, v12, v8
.LBB86_43:                              ;   Parent Loop BB86_37 Depth=1
                                        ; =>  This Inner Loop Header: Depth=2
	s_waitcnt vmcnt(0)
	v_add_f32_e32 v10, v11, v17
	global_atomic_cmpswap v10, v[3:4], v[10:11], off glc
	s_waitcnt vmcnt(0)
	v_cmp_eq_u32_e32 vcc, v10, v11
	s_or_b64 s[34:35], vcc, s[34:35]
	v_mov_b32_e32 v11, v10
	s_andn2_b64 exec, exec, s[34:35]
	s_cbranch_execnz .LBB86_43
; %bb.44:                               ;   in Loop: Header=BB86_37 Depth=1
	s_or_b64 exec, exec, s[34:35]
	global_load_dword v10, v[3:4], off offset:4
	v_mul_f32_e32 v11, v12, v9
	v_fmac_f32_e32 v11, v13, v8
	s_mov_b64 s[34:35], 0
.LBB86_45:                              ;   Parent Loop BB86_37 Depth=1
                                        ; =>  This Inner Loop Header: Depth=2
	s_waitcnt vmcnt(0)
	v_add_f32_e32 v9, v10, v11
	global_atomic_cmpswap v8, v[3:4], v[9:10], off offset:4 glc
	s_waitcnt vmcnt(0)
	v_cmp_eq_u32_e32 vcc, v8, v10
	s_or_b64 s[34:35], vcc, s[34:35]
	v_mov_b32_e32 v10, v8
	s_andn2_b64 exec, exec, s[34:35]
	s_cbranch_execnz .LBB86_45
	s_branch .LBB86_36
.LBB86_46:
	s_or_b64 exec, exec, s[8:9]
	s_mov_b64 s[0:1], 0
.LBB86_47:
	s_and_b64 vcc, exec, s[0:1]
	s_cbranch_vccz .LBB86_179
; %bb.48:
	s_load_dword s0, s[4:5], 0x6c
	v_mov_b32_e32 v1, s28
	s_mov_b32 s13, 0
	v_mov_b32_e32 v2, s29
	s_mov_b64 s[36:37], 0
	s_waitcnt lgkmcnt(0)
	s_and_b32 s12, s0, 0xffff
	v_cmp_lt_u64_e32 vcc, s[12:13], v[1:2]
	s_cbranch_vccnz .LBB86_50
; %bb.49:
	v_cvt_f32_u32_e32 v1, s28
	s_sub_i32 s0, 0, s28
	v_rcp_iflag_f32_e32 v1, v1
	v_mul_f32_e32 v1, 0x4f7ffffe, v1
	v_cvt_u32_f32_e32 v1, v1
	v_readfirstlane_b32 s1, v1
	s_mul_i32 s0, s0, s1
	s_mul_hi_u32 s0, s1, s0
	s_add_i32 s1, s1, s0
	s_mul_hi_u32 s0, s12, s1
	s_mul_i32 s2, s0, s28
	s_sub_i32 s2, s12, s2
	s_add_i32 s1, s0, 1
	s_sub_i32 s3, s2, s28
	s_cmp_ge_u32 s2, s28
	s_cselect_b32 s0, s1, s0
	s_cselect_b32 s2, s3, s2
	s_add_i32 s1, s0, 1
	s_cmp_ge_u32 s2, s28
	s_cselect_b32 s36, s1, s0
.LBB86_50:
	s_lshl_b64 s[0:1], s[24:25], 3
	s_add_u32 s34, s16, s0
	s_addc_u32 s35, s17, s1
	s_load_dwordx2 s[6:7], s[34:35], 0x0
	s_load_dwordx4 s[8:11], s[4:5], 0x8
	v_subrev_co_u32_e32 v1, vcc, s30, v0
	v_subb_co_u32_e64 v3, s[0:1], 0, 0, vcc
	s_waitcnt lgkmcnt(0)
	v_mov_b32_e32 v4, s7
	v_add_co_u32_e32 v2, vcc, s6, v1
	v_addc_co_u32_e32 v3, vcc, v4, v3, vcc
	v_add_co_u32_e32 v4, vcc, 0x300, v2
	v_addc_co_u32_e32 v5, vcc, 0, v3, vcc
	v_cmp_le_i64_e64 s[0:1], s[8:9], v[4:5]
	v_mov_b32_e32 v1, 0
	s_and_saveexec_b64 s[2:3], s[0:1]
	s_xor_b64 s[2:3], exec, s[2:3]
	s_cbranch_execnz .LBB86_53
; %bb.51:
	s_or_saveexec_b64 s[2:3], s[2:3]
	v_lshlrev_b64 v[8:9], 2, v[2:3]
	s_xor_b64 exec, exec, s[2:3]
	s_cbranch_execnz .LBB86_57
.LBB86_52:
	s_or_b64 exec, exec, s[2:3]
	v_cmp_gt_i64_e32 vcc, s[10:11], v[0:1]
	s_and_saveexec_b64 s[2:3], vcc
	s_cbranch_execnz .LBB86_58
	s_branch .LBB86_60
.LBB86_53:
	s_lshl_b64 s[4:5], s[26:27], 3
	s_add_u32 s4, s16, s4
	s_addc_u32 s5, s17, s5
	s_load_dwordx2 s[4:5], s[4:5], 0x0
	s_waitcnt lgkmcnt(0)
	s_sub_u32 s4, s4, s6
	s_subb_u32 s5, s5, s7
	v_cmp_gt_i64_e32 vcc, s[4:5], v[0:1]
	s_and_saveexec_b64 s[8:9], vcc
	s_cbranch_execz .LBB86_56
; %bb.54:
	v_lshlrev_b64 v[8:9], 2, v[2:3]
	v_mov_b32_e32 v10, s21
	v_add_co_u32_e32 v8, vcc, s20, v8
	v_addc_co_u32_e32 v9, vcc, v10, v9, vcc
	v_mov_b32_e32 v11, v1
	v_mul_f32_e32 v12, 0x80000000, v7
	v_mul_f32_e32 v13, 0, v6
	s_mov_b64 s[38:39], 0
	v_mov_b32_e32 v14, v18
	v_mov_b32_e32 v10, v0
.LBB86_55:                              ; =>This Inner Loop Header: Depth=1
	global_load_dword v16, v[8:9], off
	v_add_co_u32_e32 v8, vcc, 0x400, v8
	v_addc_co_u32_e32 v9, vcc, 0, v9, vcc
	v_add_co_u32_e32 v10, vcc, 0x100, v10
	v_addc_co_u32_e32 v11, vcc, 0, v11, vcc
	v_cmp_le_i64_e32 vcc, s[4:5], v[10:11]
	s_or_b64 s[38:39], vcc, s[38:39]
	s_waitcnt vmcnt(0)
	v_fma_f32 v15, v6, v16, v12
	v_fma_f32 v16, v7, v16, v13
	ds_write_b64 v14, v[15:16]
	v_add_u32_e32 v14, 0x800, v14
	s_andn2_b64 exec, exec, s[38:39]
	s_cbranch_execnz .LBB86_55
.LBB86_56:
	s_or_b64 exec, exec, s[8:9]
                                        ; implicit-def: $vgpr6_vgpr7
	s_or_saveexec_b64 s[2:3], s[2:3]
	v_lshlrev_b64 v[8:9], 2, v[2:3]
	s_xor_b64 exec, exec, s[2:3]
	s_cbranch_execz .LBB86_52
.LBB86_57:
	v_mov_b32_e32 v11, s21
	v_add_co_u32_e32 v10, vcc, s20, v8
	v_addc_co_u32_e32 v11, vcc, v11, v9, vcc
	global_load_dword v13, v[10:11], off
	global_load_dword v15, v[10:11], off offset:1024
	global_load_dword v17, v[10:11], off offset:2048
	;; [unrolled: 1-line block ×3, first 2 shown]
	v_mul_f32_e32 v10, 0x80000000, v7
	v_mul_f32_e32 v11, 0, v6
	s_waitcnt vmcnt(3)
	v_fma_f32 v12, v6, v13, v10
	v_fma_f32 v13, v7, v13, v11
	s_waitcnt vmcnt(2)
	v_fma_f32 v14, v6, v15, v10
	v_fma_f32 v15, v7, v15, v11
	;; [unrolled: 3-line block ×3, first 2 shown]
	s_waitcnt vmcnt(0)
	v_fmac_f32_e32 v10, v6, v19
	v_fmac_f32_e32 v11, v7, v19
	ds_write2st64_b64 v18, v[12:13], v[14:15] offset1:4
	ds_write2st64_b64 v18, v[16:17], v[10:11] offset0:8 offset1:12
	s_or_b64 exec, exec, s[2:3]
	v_cmp_gt_i64_e32 vcc, s[10:11], v[0:1]
	s_and_saveexec_b64 s[2:3], vcc
	s_cbranch_execz .LBB86_60
.LBB86_58:
	v_mov_b32_e32 v6, 0x2000
	v_lshl_add_u32 v10, v0, 3, v6
	v_mov_b32_e32 v7, v1
	s_mov_b64 s[4:5], 0
	v_mov_b32_e32 v11, 0
	v_mov_b32_e32 v6, v0
.LBB86_59:                              ; =>This Inner Loop Header: Depth=1
	v_add_co_u32_e32 v6, vcc, 0x100, v6
	v_addc_co_u32_e32 v7, vcc, 0, v7, vcc
	v_cmp_le_i64_e32 vcc, s[10:11], v[6:7]
	ds_write2_b32 v10, v11, v11 offset1:1
	s_or_b64 s[4:5], vcc, s[4:5]
	v_add_u32_e32 v10, 0x800, v10
	s_andn2_b64 exec, exec, s[4:5]
	s_cbranch_execnz .LBB86_59
.LBB86_60:
	s_or_b64 exec, exec, s[2:3]
	v_mov_b32_e32 v6, s10
	v_mov_b32_e32 v7, s11
	s_sub_u32 s4, s26, s10
	v_cmp_ge_i64_e32 vcc, s[26:27], v[6:7]
	s_subb_u32 s5, s27, s11
	s_and_b64 s[2:3], vcc, exec
	s_cselect_b32 s9, s5, 0
	s_cselect_b32 s8, s4, 0
	s_waitcnt lgkmcnt(0)
	s_barrier
	s_and_saveexec_b64 s[2:3], s[0:1]
	s_xor_b64 s[20:21], exec, s[2:3]
	s_cbranch_execz .LBB86_81
; %bb.61:
	s_lshl_b64 s[0:1], s[26:27], 3
	s_add_u32 s0, s16, s0
	s_addc_u32 s1, s17, s1
	s_load_dwordx2 s[0:1], s[0:1], 0x0
	s_waitcnt lgkmcnt(0)
	s_sub_u32 s38, s0, s6
	s_subb_u32 s39, s1, s7
	v_cmp_gt_i64_e32 vcc, s[38:39], v[0:1]
	s_and_saveexec_b64 s[40:41], vcc
	s_cbranch_execz .LBB86_80
; %bb.62:
	s_add_u32 s42, s26, -1
	s_addc_u32 s43, s27, -1
	s_add_u32 s2, s26, -2
	s_addc_u32 s3, s27, -1
	s_cmp_lg_u64 s[24:25], s[2:3]
	s_cselect_b64 s[2:3], -1, 0
	s_sub_u32 s44, s0, s30
	v_cndmask_b32_e64 v4, 0, 1, s[2:3]
	s_subb_u32 s45, s1, 0
	s_mov_b64 s[46:47], 0
	v_cmp_ne_u32_e64 s[0:1], 1, v4
	v_mov_b32_e32 v14, s17
	v_mov_b32_e32 v15, s19
	;; [unrolled: 1-line block ×4, first 2 shown]
	s_mov_b64 s[48:49], 0
	s_branch .LBB86_65
.LBB86_63:                              ;   in Loop: Header=BB86_65 Depth=1
	s_or_b64 exec, exec, s[2:3]
.LBB86_64:                              ;   in Loop: Header=BB86_65 Depth=1
	s_or_b64 exec, exec, s[4:5]
	v_lshlrev_b64 v[4:5], 3, v[4:5]
	v_lshlrev_b32_e32 v9, 3, v19
	v_add_co_u32_e32 v4, vcc, s22, v4
	v_addc_co_u32_e32 v5, vcc, v16, v5, vcc
	global_load_dwordx2 v[4:5], v[4:5], off
	s_add_u32 s48, s48, 0x100
	ds_read_b32 v10, v9 offset:4
	s_addc_u32 s49, s49, 0
	v_mov_b32_e32 v8, s49
	v_add_co_u32_e32 v7, vcc, s48, v0
	v_addc_co_u32_e32 v8, vcc, 0, v8, vcc
	v_cmp_le_i64_e32 vcc, s[38:39], v[7:8]
	s_or_b64 s[46:47], vcc, s[46:47]
	s_waitcnt vmcnt(0) lgkmcnt(0)
	v_mul_f32_e64 v7, v5, -v10
	v_mul_f32_e32 v8, v5, v6
	v_fmac_f32_e32 v7, v6, v4
	v_fmac_f32_e32 v8, v10, v4
	ds_write_b64 v9, v[7:8]
	s_andn2_b64 exec, exec, s[46:47]
	s_cbranch_execz .LBB86_80
.LBB86_65:                              ; =>This Loop Header: Depth=1
                                        ;     Child Loop BB86_67 Depth 2
                                        ;     Child Loop BB86_74 Depth 2
	;; [unrolled: 1-line block ×3, first 2 shown]
	v_mov_b32_e32 v4, s49
	v_add_co_u32_e32 v5, vcc, s48, v2
	v_addc_co_u32_e32 v6, vcc, v4, v3, vcc
	v_mov_b32_e32 v7, s24
	v_mov_b32_e32 v9, s42
	s_and_b64 vcc, exec, s[0:1]
	v_mov_b32_e32 v8, s25
	v_mov_b32_e32 v10, s43
	s_cbranch_vccnz .LBB86_69
; %bb.66:                               ;   in Loop: Header=BB86_65 Depth=1
	v_mov_b32_e32 v7, s24
	v_mov_b32_e32 v9, s42
	s_mov_b64 s[4:5], 0
	v_mov_b32_e32 v8, s25
	v_mov_b32_e32 v10, s43
.LBB86_67:                              ;   Parent Loop BB86_65 Depth=1
                                        ; =>  This Inner Loop Header: Depth=2
	v_add_co_u32_e32 v4, vcc, v9, v7
	v_addc_co_u32_e32 v12, vcc, v10, v8, vcc
	v_lshrrev_b32_e32 v11, 31, v12
	v_add_co_u32_e32 v11, vcc, v4, v11
	v_addc_co_u32_e32 v12, vcc, 0, v12, vcc
	v_ashrrev_i64 v[11:12], 1, v[11:12]
	v_mov_b32_e32 v13, s17
	v_lshlrev_b64 v[19:20], 3, v[11:12]
	v_add_co_u32_e32 v19, vcc, s16, v19
	v_addc_co_u32_e32 v20, vcc, v13, v20, vcc
	global_load_dwordx2 v[19:20], v[19:20], off
	s_waitcnt vmcnt(0)
	v_subrev_co_u32_e32 v19, vcc, s30, v19
	v_subbrev_co_u32_e32 v20, vcc, 0, v20, vcc
	v_cmp_lt_i64_e32 vcc, v[5:6], v[19:20]
	v_cndmask_b32_e32 v9, v9, v11, vcc
	v_cndmask_b32_e32 v10, v10, v12, vcc
	;; [unrolled: 1-line block ×3, first 2 shown]
	v_add_co_u32_e64 v11, s[2:3], -1, v9
	v_cndmask_b32_e32 v8, v12, v8, vcc
	v_addc_co_u32_e64 v12, s[2:3], -1, v10, s[2:3]
	v_cmp_ge_i64_e32 vcc, v[7:8], v[9:10]
	v_cmp_eq_u64_e64 s[2:3], v[7:8], v[11:12]
	s_or_b64 s[2:3], vcc, s[2:3]
	s_and_b64 s[2:3], exec, s[2:3]
	s_or_b64 s[4:5], s[2:3], s[4:5]
	s_andn2_b64 exec, exec, s[4:5]
	s_cbranch_execnz .LBB86_67
; %bb.68:                               ;   in Loop: Header=BB86_65 Depth=1
	s_or_b64 exec, exec, s[4:5]
.LBB86_69:                              ;   in Loop: Header=BB86_65 Depth=1
	v_lshlrev_b64 v[11:12], 3, v[9:10]
	v_lshlrev_b64 v[19:20], 2, v[5:6]
	v_add_co_u32_e32 v11, vcc, s16, v11
	v_addc_co_u32_e32 v12, vcc, v14, v12, vcc
	global_load_dwordx2 v[11:12], v[11:12], off
	v_add_co_u32_e32 v19, vcc, s18, v19
	v_addc_co_u32_e32 v20, vcc, v15, v20, vcc
	global_load_dword v4, v[19:20], off
	v_cmp_le_i64_e32 vcc, s[44:45], v[5:6]
	v_add_co_u32_e64 v19, s[4:5], s48, v0
	s_waitcnt vmcnt(1)
	v_subrev_co_u32_e64 v11, s[2:3], s30, v11
	v_subbrev_co_u32_e64 v12, s[2:3], 0, v12, s[2:3]
	v_cmp_lt_i64_e64 s[2:3], v[5:6], v[11:12]
	s_waitcnt vmcnt(0)
	v_subrev_u32_e32 v4, s30, v4
	v_cndmask_b32_e64 v8, v10, v8, s[2:3]
	v_ashrrev_i32_e32 v5, 31, v4
	v_cndmask_b32_e64 v7, v9, v7, s[2:3]
	v_cmp_eq_u64_e64 s[2:3], v[7:8], v[4:5]
	v_lshlrev_b32_e32 v12, 3, v19
	s_or_b64 s[2:3], s[2:3], vcc
                                        ; implicit-def: $vgpr6
	s_and_saveexec_b64 s[4:5], s[2:3]
	s_xor_b64 s[2:3], exec, s[4:5]
; %bb.70:                               ;   in Loop: Header=BB86_65 Depth=1
	ds_read_b32 v6, v12
                                        ; implicit-def: $vgpr12
                                        ; implicit-def: $vgpr7_vgpr8
; %bb.71:                               ;   in Loop: Header=BB86_65 Depth=1
	s_andn2_saveexec_b64 s[4:5], s[2:3]
	s_cbranch_execz .LBB86_64
; %bb.72:                               ;   in Loop: Header=BB86_65 Depth=1
	v_cmp_gt_i64_e32 vcc, s[8:9], v[4:5]
	v_cmp_le_i64_e64 s[2:3], s[26:27], v[4:5]
	v_lshlrev_b64 v[7:8], 3, v[7:8]
	s_or_b64 s[2:3], vcc, s[2:3]
                                        ; implicit-def: $vgpr6
	s_and_saveexec_b64 s[50:51], s[2:3]
	s_xor_b64 s[2:3], exec, s[50:51]
	s_cbranch_execz .LBB86_78
; %bb.73:                               ;   in Loop: Header=BB86_65 Depth=1
	v_lshlrev_b64 v[20:21], 3, v[4:5]
	v_mov_b32_e32 v10, s23
	s_waitcnt lgkmcnt(0)
	v_add_co_u32_e32 v6, vcc, s22, v7
	v_addc_co_u32_e32 v7, vcc, v10, v8, vcc
	v_mov_b32_e32 v9, s15
	global_load_dwordx2 v[10:11], v[6:7], off
	v_add_co_u32_e32 v8, vcc, s14, v20
	v_addc_co_u32_e32 v9, vcc, v9, v21, vcc
	global_load_dword v13, v[8:9], off
	ds_read_b64 v[6:7], v12
	s_mov_b64 s[50:51], 0
	s_waitcnt vmcnt(1) lgkmcnt(0)
	v_mul_f32_e64 v20, v11, -v7
	v_fmac_f32_e32 v20, v6, v10
.LBB86_74:                              ;   Parent Loop BB86_65 Depth=1
                                        ; =>  This Inner Loop Header: Depth=2
	s_waitcnt vmcnt(0)
	v_add_f32_e32 v12, v13, v20
	global_atomic_cmpswap v12, v[8:9], v[12:13], off glc
	s_waitcnt vmcnt(0)
	v_cmp_eq_u32_e32 vcc, v12, v13
	s_or_b64 s[50:51], vcc, s[50:51]
	v_mov_b32_e32 v13, v12
	s_andn2_b64 exec, exec, s[50:51]
	s_cbranch_execnz .LBB86_74
; %bb.75:                               ;   in Loop: Header=BB86_65 Depth=1
	s_or_b64 exec, exec, s[50:51]
	global_load_dword v12, v[8:9], off offset:4
	v_mul_f32_e32 v13, v11, v6
	v_fmac_f32_e32 v13, v7, v10
	s_mov_b64 s[50:51], 0
.LBB86_76:                              ;   Parent Loop BB86_65 Depth=1
                                        ; =>  This Inner Loop Header: Depth=2
	s_waitcnt vmcnt(0)
	v_add_f32_e32 v11, v12, v13
	global_atomic_cmpswap v7, v[8:9], v[11:12], off offset:4 glc
	s_waitcnt vmcnt(0)
	v_cmp_eq_u32_e32 vcc, v7, v12
	s_or_b64 s[50:51], vcc, s[50:51]
	v_mov_b32_e32 v12, v7
	s_andn2_b64 exec, exec, s[50:51]
	s_cbranch_execnz .LBB86_76
; %bb.77:                               ;   in Loop: Header=BB86_65 Depth=1
	s_or_b64 exec, exec, s[50:51]
                                        ; implicit-def: $vgpr7_vgpr8
                                        ; implicit-def: $vgpr12
.LBB86_78:                              ;   in Loop: Header=BB86_65 Depth=1
	s_andn2_saveexec_b64 s[2:3], s[2:3]
	s_cbranch_execz .LBB86_63
; %bb.79:                               ;   in Loop: Header=BB86_65 Depth=1
	s_waitcnt lgkmcnt(0)
	v_add_co_u32_e32 v6, vcc, s22, v7
	v_addc_co_u32_e32 v7, vcc, v16, v8, vcc
	global_load_dwordx2 v[8:9], v[6:7], off
	ds_read_b64 v[6:7], v12
	v_subrev_u32_e32 v10, s8, v4
	v_lshl_add_u32 v10, v10, 3, v17
	s_waitcnt vmcnt(0) lgkmcnt(0)
	v_mul_f32_e64 v11, v9, -v7
	v_mul_f32_e32 v9, v9, v6
	v_fmac_f32_e32 v11, v6, v8
	v_fmac_f32_e32 v9, v7, v8
	ds_add_f32 v10, v11
	ds_add_f32 v10, v9 offset:4
	s_branch .LBB86_63
.LBB86_80:
	s_or_b64 exec, exec, s[40:41]
                                        ; implicit-def: $vgpr4_vgpr5
                                        ; implicit-def: $vgpr2
                                        ; implicit-def: $vgpr8_vgpr9
.LBB86_81:
	s_andn2_saveexec_b64 s[4:5], s[20:21]
	s_cbranch_execz .LBB86_139
; %bb.82:
	s_add_u32 s20, s26, -1
	s_addc_u32 s21, s27, -1
	s_add_u32 s0, s26, -2
	s_addc_u32 s1, s27, -1
	s_cmp_lg_u64 s[24:25], s[0:1]
	v_mov_b32_e32 v10, s24
	v_mov_b32_e32 v12, s20
	s_cselect_b64 s[2:3], -1, 0
	s_cmp_eq_u64 s[24:25], s[0:1]
	v_mov_b32_e32 v11, s25
	v_mov_b32_e32 v13, s21
	s_cbranch_scc1 .LBB86_86
; %bb.83:
	v_mov_b32_e32 v10, s24
	v_mov_b32_e32 v12, s20
	s_mov_b64 s[38:39], 0
	v_mov_b32_e32 v11, s25
	v_mov_b32_e32 v13, s21
	;; [unrolled: 1-line block ×3, first 2 shown]
.LBB86_84:                              ; =>This Inner Loop Header: Depth=1
	v_add_co_u32_e32 v7, vcc, v12, v10
	v_addc_co_u32_e32 v15, vcc, v13, v11, vcc
	v_lshrrev_b32_e32 v14, 31, v15
	v_add_co_u32_e32 v14, vcc, v7, v14
	v_addc_co_u32_e32 v15, vcc, 0, v15, vcc
	v_ashrrev_i64 v[14:15], 1, v[14:15]
	v_lshlrev_b64 v[16:17], 3, v[14:15]
	v_add_co_u32_e32 v16, vcc, s16, v16
	v_addc_co_u32_e32 v17, vcc, v6, v17, vcc
	global_load_dwordx2 v[16:17], v[16:17], off
	s_waitcnt vmcnt(0)
	v_subrev_co_u32_e32 v16, vcc, s30, v16
	v_subbrev_co_u32_e32 v17, vcc, 0, v17, vcc
	v_cmp_lt_i64_e32 vcc, v[2:3], v[16:17]
	v_cndmask_b32_e32 v12, v12, v14, vcc
	v_cndmask_b32_e32 v13, v13, v15, vcc
	;; [unrolled: 1-line block ×3, first 2 shown]
	v_add_co_u32_e64 v14, s[0:1], -1, v12
	v_cndmask_b32_e32 v11, v15, v11, vcc
	v_addc_co_u32_e64 v15, s[0:1], -1, v13, s[0:1]
	v_cmp_ge_i64_e32 vcc, v[10:11], v[12:13]
	v_cmp_eq_u64_e64 s[0:1], v[10:11], v[14:15]
	s_or_b64 s[0:1], vcc, s[0:1]
	s_and_b64 s[0:1], exec, s[0:1]
	s_or_b64 s[38:39], s[0:1], s[38:39]
	s_andn2_b64 exec, exec, s[38:39]
	s_cbranch_execnz .LBB86_84
; %bb.85:
	s_or_b64 exec, exec, s[38:39]
.LBB86_86:
	v_lshlrev_b64 v[14:15], 3, v[12:13]
	v_mov_b32_e32 v7, s19
	v_add_co_u32_e32 v6, vcc, s18, v8
	v_addc_co_u32_e32 v7, vcc, v7, v9, vcc
	v_mov_b32_e32 v16, s17
	v_add_co_u32_e32 v8, vcc, s16, v14
	v_addc_co_u32_e32 v9, vcc, v16, v15, vcc
	global_load_dwordx2 v[14:15], v[8:9], off
	global_load_dword v17, v[6:7], off
	s_lshl_b64 s[0:1], s[26:27], 3
	s_add_u32 s18, s16, s0
	s_addc_u32 s19, s17, s1
	s_waitcnt vmcnt(1)
	v_subrev_co_u32_e32 v14, vcc, s30, v14
	v_subbrev_co_u32_e32 v15, vcc, 0, v15, vcc
	v_cmp_lt_i64_e32 vcc, v[2:3], v[14:15]
	s_waitcnt vmcnt(0)
	v_subrev_u32_e32 v8, s30, v17
	v_cndmask_b32_e32 v11, v13, v11, vcc
	v_cndmask_b32_e32 v10, v12, v10, vcc
	v_ashrrev_i32_e32 v9, 31, v8
	v_cmp_ne_u64_e32 vcc, v[10:11], v[8:9]
	s_and_saveexec_b64 s[38:39], vcc
	s_cbranch_execz .LBB86_96
; %bb.87:
	s_load_dwordx2 s[0:1], s[18:19], 0x0
	s_waitcnt lgkmcnt(0)
	s_sub_u32 s0, s0, s30
	s_subb_u32 s1, s1, 0
	v_cmp_gt_i64_e32 vcc, s[0:1], v[2:3]
	s_and_b64 exec, exec, vcc
	s_cbranch_execz .LBB86_96
; %bb.88:
	v_cmp_gt_i64_e32 vcc, s[8:9], v[8:9]
	v_cmp_le_i64_e64 s[0:1], s[26:27], v[8:9]
	v_lshlrev_b64 v[10:11], 3, v[10:11]
	s_or_b64 s[0:1], vcc, s[0:1]
	s_and_saveexec_b64 s[40:41], s[0:1]
	s_xor_b64 s[0:1], exec, s[40:41]
	s_cbranch_execz .LBB86_94
; %bb.89:
	v_lshlrev_b64 v[14:15], 3, v[8:9]
	v_mov_b32_e32 v12, s23
	v_add_co_u32_e32 v10, vcc, s22, v10
	v_addc_co_u32_e32 v11, vcc, v12, v11, vcc
	v_mov_b32_e32 v16, s15
	global_load_dwordx2 v[12:13], v[10:11], off
	v_add_co_u32_e32 v10, vcc, s14, v14
	v_addc_co_u32_e32 v11, vcc, v16, v15, vcc
	global_load_dword v17, v[10:11], off
	ds_read_b64 v[14:15], v18
	s_mov_b64 s[40:41], 0
	s_waitcnt vmcnt(1) lgkmcnt(0)
	v_mul_f32_e64 v19, v13, -v15
	v_fmac_f32_e32 v19, v14, v12
.LBB86_90:                              ; =>This Inner Loop Header: Depth=1
	s_waitcnt vmcnt(0)
	v_add_f32_e32 v16, v17, v19
	global_atomic_cmpswap v16, v[10:11], v[16:17], off glc
	s_waitcnt vmcnt(0)
	v_cmp_eq_u32_e32 vcc, v16, v17
	s_or_b64 s[40:41], vcc, s[40:41]
	v_mov_b32_e32 v17, v16
	s_andn2_b64 exec, exec, s[40:41]
	s_cbranch_execnz .LBB86_90
; %bb.91:
	s_or_b64 exec, exec, s[40:41]
	global_load_dword v16, v[10:11], off offset:4
	v_mul_f32_e32 v13, v13, v14
	v_fmac_f32_e32 v13, v15, v12
	s_mov_b64 s[40:41], 0
.LBB86_92:                              ; =>This Inner Loop Header: Depth=1
	s_waitcnt vmcnt(0)
	v_add_f32_e32 v15, v16, v13
	global_atomic_cmpswap v12, v[10:11], v[15:16], off offset:4 glc
	s_waitcnt vmcnt(0)
	v_cmp_eq_u32_e32 vcc, v12, v16
	s_or_b64 s[40:41], vcc, s[40:41]
	v_mov_b32_e32 v16, v12
	s_andn2_b64 exec, exec, s[40:41]
	s_cbranch_execnz .LBB86_92
; %bb.93:
	s_or_b64 exec, exec, s[40:41]
                                        ; implicit-def: $vgpr10_vgpr11
.LBB86_94:
	s_andn2_saveexec_b64 s[0:1], s[0:1]
	s_cbranch_execz .LBB86_96
; %bb.95:
	v_mov_b32_e32 v12, s23
	v_add_co_u32_e32 v10, vcc, s22, v10
	v_addc_co_u32_e32 v11, vcc, v12, v11, vcc
	global_load_dwordx2 v[10:11], v[10:11], off
	ds_read_b64 v[12:13], v18
	v_subrev_u32_e32 v14, s8, v8
	v_mov_b32_e32 v15, 0x2000
	v_lshl_add_u32 v14, v14, 3, v15
	s_waitcnt vmcnt(0) lgkmcnt(0)
	v_mul_f32_e64 v15, v11, -v13
	v_mul_f32_e32 v11, v11, v12
	v_fmac_f32_e32 v15, v12, v10
	v_fmac_f32_e32 v11, v13, v10
	ds_add_f32 v14, v15
	ds_add_f32 v14, v11 offset:4
.LBB86_96:
	s_or_b64 exec, exec, s[38:39]
	v_lshlrev_b64 v[8:9], 3, v[8:9]
	v_mov_b32_e32 v10, s23
	v_add_co_u32_e32 v8, vcc, s22, v8
	v_addc_co_u32_e32 v9, vcc, v10, v9, vcc
	global_load_dwordx2 v[8:9], v[8:9], off
	ds_read_b64 v[14:15], v18
	v_cndmask_b32_e64 v16, 0, 1, s[2:3]
	v_add_co_u32_e32 v10, vcc, 0x100, v2
	v_cmp_ne_u32_e64 s[0:1], 1, v16
	v_mov_b32_e32 v12, s24
	v_addc_co_u32_e32 v11, vcc, 0, v3, vcc
	v_mov_b32_e32 v13, s25
	s_andn2_b64 vcc, exec, s[2:3]
	s_waitcnt vmcnt(0) lgkmcnt(0)
	v_mul_f32_e64 v16, v9, -v15
	v_mul_f32_e32 v17, v9, v14
	v_fmac_f32_e32 v16, v14, v8
	v_fmac_f32_e32 v17, v15, v8
	v_mov_b32_e32 v14, s20
	v_mov_b32_e32 v15, s21
	ds_write_b64 v18, v[16:17]
	s_cbranch_vccnz .LBB86_100
; %bb.97:
	v_mov_b32_e32 v12, s24
	v_mov_b32_e32 v14, s20
	s_mov_b64 s[38:39], 0
	v_mov_b32_e32 v13, s25
	v_mov_b32_e32 v15, s21
	;; [unrolled: 1-line block ×3, first 2 shown]
.LBB86_98:                              ; =>This Inner Loop Header: Depth=1
	v_add_co_u32_e32 v9, vcc, v14, v12
	v_addc_co_u32_e32 v17, vcc, v15, v13, vcc
	v_lshrrev_b32_e32 v16, 31, v17
	v_add_co_u32_e32 v16, vcc, v9, v16
	v_addc_co_u32_e32 v17, vcc, 0, v17, vcc
	v_ashrrev_i64 v[16:17], 1, v[16:17]
	v_lshlrev_b64 v[19:20], 3, v[16:17]
	v_add_co_u32_e32 v19, vcc, s16, v19
	v_addc_co_u32_e32 v20, vcc, v8, v20, vcc
	global_load_dwordx2 v[19:20], v[19:20], off
	s_waitcnt vmcnt(0)
	v_subrev_co_u32_e32 v19, vcc, s30, v19
	v_subbrev_co_u32_e32 v20, vcc, 0, v20, vcc
	v_cmp_lt_i64_e32 vcc, v[10:11], v[19:20]
	v_cndmask_b32_e32 v14, v14, v16, vcc
	v_cndmask_b32_e32 v15, v15, v17, vcc
	;; [unrolled: 1-line block ×3, first 2 shown]
	v_add_co_u32_e64 v16, s[2:3], -1, v14
	v_cndmask_b32_e32 v13, v17, v13, vcc
	v_addc_co_u32_e64 v17, s[2:3], -1, v15, s[2:3]
	v_cmp_ge_i64_e32 vcc, v[12:13], v[14:15]
	v_cmp_eq_u64_e64 s[2:3], v[12:13], v[16:17]
	s_or_b64 s[2:3], vcc, s[2:3]
	s_and_b64 s[2:3], exec, s[2:3]
	s_or_b64 s[38:39], s[2:3], s[38:39]
	s_andn2_b64 exec, exec, s[38:39]
	s_cbranch_execnz .LBB86_98
; %bb.99:
	s_or_b64 exec, exec, s[38:39]
.LBB86_100:
	v_lshlrev_b64 v[8:9], 3, v[14:15]
	v_mov_b32_e32 v16, s17
	v_add_co_u32_e32 v8, vcc, s16, v8
	v_addc_co_u32_e32 v9, vcc, v16, v9, vcc
	global_load_dwordx2 v[16:17], v[8:9], off
	global_load_dword v19, v[6:7], off offset:1024
	s_waitcnt vmcnt(1)
	v_subrev_co_u32_e32 v16, vcc, s30, v16
	v_subbrev_co_u32_e32 v17, vcc, 0, v17, vcc
	v_cmp_lt_i64_e32 vcc, v[10:11], v[16:17]
	s_waitcnt vmcnt(0)
	v_subrev_u32_e32 v8, s30, v19
	v_cndmask_b32_e32 v13, v15, v13, vcc
	v_cndmask_b32_e32 v12, v14, v12, vcc
	v_ashrrev_i32_e32 v9, 31, v8
	v_cmp_ne_u64_e32 vcc, v[12:13], v[8:9]
	s_and_saveexec_b64 s[38:39], vcc
	s_cbranch_execz .LBB86_110
; %bb.101:
	s_load_dwordx2 s[2:3], s[18:19], 0x0
	s_waitcnt lgkmcnt(0)
	s_sub_u32 s2, s2, s30
	s_subb_u32 s3, s3, 0
	v_cmp_gt_i64_e32 vcc, s[2:3], v[10:11]
	s_and_b64 exec, exec, vcc
	s_cbranch_execz .LBB86_110
; %bb.102:
	v_cmp_gt_i64_e32 vcc, s[8:9], v[8:9]
	v_cmp_le_i64_e64 s[2:3], s[26:27], v[8:9]
	v_lshlrev_b64 v[10:11], 3, v[12:13]
	s_or_b64 s[2:3], vcc, s[2:3]
	s_and_saveexec_b64 s[40:41], s[2:3]
	s_xor_b64 s[2:3], exec, s[40:41]
	s_cbranch_execz .LBB86_108
; %bb.103:
	v_lshlrev_b64 v[14:15], 3, v[8:9]
	v_mov_b32_e32 v12, s23
	v_add_co_u32_e32 v10, vcc, s22, v10
	v_addc_co_u32_e32 v11, vcc, v12, v11, vcc
	v_mov_b32_e32 v16, s15
	global_load_dwordx2 v[12:13], v[10:11], off
	v_add_co_u32_e32 v10, vcc, s14, v14
	v_addc_co_u32_e32 v11, vcc, v16, v15, vcc
	global_load_dword v17, v[10:11], off
	ds_read_b64 v[14:15], v18 offset:2048
	s_mov_b64 s[40:41], 0
	s_waitcnt vmcnt(1) lgkmcnt(0)
	v_mul_f32_e64 v19, v13, -v15
	v_fmac_f32_e32 v19, v14, v12
.LBB86_104:                             ; =>This Inner Loop Header: Depth=1
	s_waitcnt vmcnt(0)
	v_add_f32_e32 v16, v17, v19
	global_atomic_cmpswap v16, v[10:11], v[16:17], off glc
	s_waitcnt vmcnt(0)
	v_cmp_eq_u32_e32 vcc, v16, v17
	s_or_b64 s[40:41], vcc, s[40:41]
	v_mov_b32_e32 v17, v16
	s_andn2_b64 exec, exec, s[40:41]
	s_cbranch_execnz .LBB86_104
; %bb.105:
	s_or_b64 exec, exec, s[40:41]
	global_load_dword v16, v[10:11], off offset:4
	v_mul_f32_e32 v13, v13, v14
	v_fmac_f32_e32 v13, v15, v12
	s_mov_b64 s[40:41], 0
.LBB86_106:                             ; =>This Inner Loop Header: Depth=1
	s_waitcnt vmcnt(0)
	v_add_f32_e32 v15, v16, v13
	global_atomic_cmpswap v12, v[10:11], v[15:16], off offset:4 glc
	s_waitcnt vmcnt(0)
	v_cmp_eq_u32_e32 vcc, v12, v16
	s_or_b64 s[40:41], vcc, s[40:41]
	v_mov_b32_e32 v16, v12
	s_andn2_b64 exec, exec, s[40:41]
	s_cbranch_execnz .LBB86_106
; %bb.107:
	s_or_b64 exec, exec, s[40:41]
                                        ; implicit-def: $vgpr10_vgpr11
.LBB86_108:
	s_andn2_saveexec_b64 s[2:3], s[2:3]
	s_cbranch_execz .LBB86_110
; %bb.109:
	v_mov_b32_e32 v12, s23
	v_add_co_u32_e32 v10, vcc, s22, v10
	v_addc_co_u32_e32 v11, vcc, v12, v11, vcc
	global_load_dwordx2 v[10:11], v[10:11], off
	ds_read_b64 v[12:13], v18 offset:2048
	v_subrev_u32_e32 v14, s8, v8
	v_mov_b32_e32 v15, 0x2000
	v_lshl_add_u32 v14, v14, 3, v15
	s_waitcnt vmcnt(0) lgkmcnt(0)
	v_mul_f32_e64 v15, v11, -v13
	v_mul_f32_e32 v11, v11, v12
	v_fmac_f32_e32 v15, v12, v10
	v_fmac_f32_e32 v11, v13, v10
	ds_add_f32 v14, v15
	ds_add_f32 v14, v11 offset:4
.LBB86_110:
	s_or_b64 exec, exec, s[38:39]
	v_lshlrev_b64 v[8:9], 3, v[8:9]
	v_mov_b32_e32 v10, s23
	v_add_co_u32_e32 v8, vcc, s22, v8
	v_addc_co_u32_e32 v9, vcc, v10, v9, vcc
	global_load_dwordx2 v[12:13], v[8:9], off
	ds_read_b64 v[14:15], v18 offset:2048
	v_add_co_u32_e32 v8, vcc, 0x200, v2
	v_addc_co_u32_e32 v9, vcc, 0, v3, vcc
	v_mov_b32_e32 v10, s24
	v_mov_b32_e32 v11, s25
	s_and_b64 vcc, exec, s[0:1]
	s_waitcnt vmcnt(0) lgkmcnt(0)
	v_mul_f32_e64 v2, v13, -v15
	v_mul_f32_e32 v3, v13, v14
	v_fmac_f32_e32 v2, v14, v12
	v_fmac_f32_e32 v3, v15, v12
	v_mov_b32_e32 v12, s20
	v_mov_b32_e32 v13, s21
	ds_write_b64 v18, v[2:3] offset:2048
	s_cbranch_vccnz .LBB86_114
; %bb.111:
	v_mov_b32_e32 v10, s24
	v_mov_b32_e32 v12, s20
	s_mov_b64 s[38:39], 0
	v_mov_b32_e32 v11, s25
	v_mov_b32_e32 v13, s21
	;; [unrolled: 1-line block ×3, first 2 shown]
.LBB86_112:                             ; =>This Inner Loop Header: Depth=1
	v_add_co_u32_e32 v3, vcc, v12, v10
	v_addc_co_u32_e32 v15, vcc, v13, v11, vcc
	v_lshrrev_b32_e32 v14, 31, v15
	v_add_co_u32_e32 v14, vcc, v3, v14
	v_addc_co_u32_e32 v15, vcc, 0, v15, vcc
	v_ashrrev_i64 v[14:15], 1, v[14:15]
	v_lshlrev_b64 v[16:17], 3, v[14:15]
	v_add_co_u32_e32 v16, vcc, s16, v16
	v_addc_co_u32_e32 v17, vcc, v2, v17, vcc
	global_load_dwordx2 v[16:17], v[16:17], off
	s_waitcnt vmcnt(0)
	v_subrev_co_u32_e32 v16, vcc, s30, v16
	v_subbrev_co_u32_e32 v17, vcc, 0, v17, vcc
	v_cmp_lt_i64_e32 vcc, v[8:9], v[16:17]
	v_cndmask_b32_e32 v12, v12, v14, vcc
	v_cndmask_b32_e32 v13, v13, v15, vcc
	v_cndmask_b32_e32 v10, v14, v10, vcc
	v_add_co_u32_e64 v14, s[2:3], -1, v12
	v_cndmask_b32_e32 v11, v15, v11, vcc
	v_addc_co_u32_e64 v15, s[2:3], -1, v13, s[2:3]
	v_cmp_ge_i64_e32 vcc, v[10:11], v[12:13]
	v_cmp_eq_u64_e64 s[2:3], v[10:11], v[14:15]
	s_or_b64 s[2:3], vcc, s[2:3]
	s_and_b64 s[2:3], exec, s[2:3]
	s_or_b64 s[38:39], s[2:3], s[38:39]
	s_andn2_b64 exec, exec, s[38:39]
	s_cbranch_execnz .LBB86_112
; %bb.113:
	s_or_b64 exec, exec, s[38:39]
.LBB86_114:
	v_lshlrev_b64 v[2:3], 3, v[12:13]
	v_mov_b32_e32 v14, s17
	v_add_co_u32_e32 v2, vcc, s16, v2
	v_addc_co_u32_e32 v3, vcc, v14, v3, vcc
	global_load_dwordx2 v[14:15], v[2:3], off
	global_load_dword v16, v[6:7], off offset:2048
	s_waitcnt vmcnt(1)
	v_subrev_co_u32_e32 v14, vcc, s30, v14
	v_subbrev_co_u32_e32 v15, vcc, 0, v15, vcc
	v_cmp_lt_i64_e32 vcc, v[8:9], v[14:15]
	s_waitcnt vmcnt(0)
	v_subrev_u32_e32 v2, s30, v16
	v_cndmask_b32_e32 v11, v13, v11, vcc
	v_cndmask_b32_e32 v10, v12, v10, vcc
	v_ashrrev_i32_e32 v3, 31, v2
	v_cmp_ne_u64_e32 vcc, v[10:11], v[2:3]
	s_and_saveexec_b64 s[38:39], vcc
	s_cbranch_execz .LBB86_124
; %bb.115:
	s_load_dwordx2 s[2:3], s[18:19], 0x0
	s_waitcnt lgkmcnt(0)
	s_sub_u32 s2, s2, s30
	s_subb_u32 s3, s3, 0
	v_cmp_gt_i64_e32 vcc, s[2:3], v[8:9]
	s_and_b64 exec, exec, vcc
	s_cbranch_execz .LBB86_124
; %bb.116:
	v_cmp_gt_i64_e32 vcc, s[8:9], v[2:3]
	v_cmp_le_i64_e64 s[2:3], s[26:27], v[2:3]
	v_lshlrev_b64 v[8:9], 3, v[10:11]
	s_or_b64 s[2:3], vcc, s[2:3]
	s_and_saveexec_b64 s[40:41], s[2:3]
	s_xor_b64 s[2:3], exec, s[40:41]
	s_cbranch_execz .LBB86_122
; %bb.117:
	v_lshlrev_b64 v[12:13], 3, v[2:3]
	v_mov_b32_e32 v10, s23
	v_add_co_u32_e32 v8, vcc, s22, v8
	v_addc_co_u32_e32 v9, vcc, v10, v9, vcc
	v_mov_b32_e32 v14, s15
	global_load_dwordx2 v[10:11], v[8:9], off
	v_add_co_u32_e32 v8, vcc, s14, v12
	v_addc_co_u32_e32 v9, vcc, v14, v13, vcc
	global_load_dword v15, v[8:9], off
	ds_read_b64 v[12:13], v18 offset:4096
	s_mov_b64 s[40:41], 0
	s_waitcnt vmcnt(1) lgkmcnt(0)
	v_mul_f32_e64 v16, v11, -v13
	v_fmac_f32_e32 v16, v12, v10
.LBB86_118:                             ; =>This Inner Loop Header: Depth=1
	s_waitcnt vmcnt(0)
	v_add_f32_e32 v14, v15, v16
	global_atomic_cmpswap v14, v[8:9], v[14:15], off glc
	s_waitcnt vmcnt(0)
	v_cmp_eq_u32_e32 vcc, v14, v15
	s_or_b64 s[40:41], vcc, s[40:41]
	v_mov_b32_e32 v15, v14
	s_andn2_b64 exec, exec, s[40:41]
	s_cbranch_execnz .LBB86_118
; %bb.119:
	s_or_b64 exec, exec, s[40:41]
	global_load_dword v14, v[8:9], off offset:4
	v_mul_f32_e32 v11, v11, v12
	v_fmac_f32_e32 v11, v13, v10
	s_mov_b64 s[40:41], 0
.LBB86_120:                             ; =>This Inner Loop Header: Depth=1
	s_waitcnt vmcnt(0)
	v_add_f32_e32 v13, v14, v11
	global_atomic_cmpswap v10, v[8:9], v[13:14], off offset:4 glc
	s_waitcnt vmcnt(0)
	v_cmp_eq_u32_e32 vcc, v10, v14
	s_or_b64 s[40:41], vcc, s[40:41]
	v_mov_b32_e32 v14, v10
	s_andn2_b64 exec, exec, s[40:41]
	s_cbranch_execnz .LBB86_120
; %bb.121:
	s_or_b64 exec, exec, s[40:41]
                                        ; implicit-def: $vgpr8_vgpr9
.LBB86_122:
	s_andn2_saveexec_b64 s[2:3], s[2:3]
	s_cbranch_execz .LBB86_124
; %bb.123:
	v_mov_b32_e32 v10, s23
	v_add_co_u32_e32 v8, vcc, s22, v8
	v_addc_co_u32_e32 v9, vcc, v10, v9, vcc
	global_load_dwordx2 v[8:9], v[8:9], off
	ds_read_b64 v[10:11], v18 offset:4096
	v_subrev_u32_e32 v12, s8, v2
	v_mov_b32_e32 v13, 0x2000
	v_lshl_add_u32 v12, v12, 3, v13
	s_waitcnt vmcnt(0) lgkmcnt(0)
	v_mul_f32_e64 v13, v9, -v11
	v_mul_f32_e32 v9, v9, v10
	v_fmac_f32_e32 v13, v10, v8
	v_fmac_f32_e32 v9, v11, v8
	ds_add_f32 v12, v13
	ds_add_f32 v12, v9 offset:4
.LBB86_124:
	s_or_b64 exec, exec, s[38:39]
	v_lshlrev_b64 v[2:3], 3, v[2:3]
	v_mov_b32_e32 v8, s23
	v_add_co_u32_e32 v2, vcc, s22, v2
	v_addc_co_u32_e32 v3, vcc, v8, v3, vcc
	global_load_dwordx2 v[2:3], v[2:3], off
	ds_read_b64 v[10:11], v18 offset:4096
	v_mov_b32_e32 v8, s24
	s_and_b64 vcc, exec, s[0:1]
	v_mov_b32_e32 v9, s25
	s_waitcnt vmcnt(0) lgkmcnt(0)
	v_mul_f32_e64 v12, v3, -v11
	v_mul_f32_e32 v13, v3, v10
	v_fmac_f32_e32 v12, v10, v2
	v_fmac_f32_e32 v13, v11, v2
	v_mov_b32_e32 v10, s20
	v_mov_b32_e32 v11, s21
	ds_write_b64 v18, v[12:13] offset:4096
	s_cbranch_vccnz .LBB86_128
; %bb.125:
	v_mov_b32_e32 v8, s24
	v_mov_b32_e32 v10, s20
	s_mov_b64 s[2:3], 0
	v_mov_b32_e32 v9, s25
	v_mov_b32_e32 v11, s21
	;; [unrolled: 1-line block ×3, first 2 shown]
.LBB86_126:                             ; =>This Inner Loop Header: Depth=1
	v_add_co_u32_e32 v3, vcc, v10, v8
	v_addc_co_u32_e32 v13, vcc, v11, v9, vcc
	v_lshrrev_b32_e32 v12, 31, v13
	v_add_co_u32_e32 v12, vcc, v3, v12
	v_addc_co_u32_e32 v13, vcc, 0, v13, vcc
	v_ashrrev_i64 v[12:13], 1, v[12:13]
	v_lshlrev_b64 v[14:15], 3, v[12:13]
	v_add_co_u32_e32 v14, vcc, s16, v14
	v_addc_co_u32_e32 v15, vcc, v2, v15, vcc
	global_load_dwordx2 v[14:15], v[14:15], off
	s_waitcnt vmcnt(0)
	v_subrev_co_u32_e32 v14, vcc, s30, v14
	v_subbrev_co_u32_e32 v15, vcc, 0, v15, vcc
	v_cmp_lt_i64_e32 vcc, v[4:5], v[14:15]
	v_cndmask_b32_e32 v10, v10, v12, vcc
	v_cndmask_b32_e32 v11, v11, v13, vcc
	v_cndmask_b32_e32 v8, v12, v8, vcc
	v_add_co_u32_e64 v12, s[0:1], -1, v10
	v_cndmask_b32_e32 v9, v13, v9, vcc
	v_addc_co_u32_e64 v13, s[0:1], -1, v11, s[0:1]
	v_cmp_ge_i64_e32 vcc, v[8:9], v[10:11]
	v_cmp_eq_u64_e64 s[0:1], v[8:9], v[12:13]
	s_or_b64 s[0:1], vcc, s[0:1]
	s_and_b64 s[0:1], exec, s[0:1]
	s_or_b64 s[2:3], s[0:1], s[2:3]
	s_andn2_b64 exec, exec, s[2:3]
	s_cbranch_execnz .LBB86_126
; %bb.127:
	s_or_b64 exec, exec, s[2:3]
.LBB86_128:
	v_lshlrev_b64 v[2:3], 3, v[10:11]
	v_mov_b32_e32 v12, s17
	v_add_co_u32_e32 v2, vcc, s16, v2
	v_addc_co_u32_e32 v3, vcc, v12, v3, vcc
	global_load_dword v13, v[6:7], off offset:3072
	s_nop 0
	global_load_dwordx2 v[6:7], v[2:3], off
	s_waitcnt vmcnt(1)
	v_subrev_u32_e32 v2, s30, v13
	v_ashrrev_i32_e32 v3, 31, v2
	s_waitcnt vmcnt(0)
	v_subrev_co_u32_e32 v6, vcc, s30, v6
	v_subbrev_co_u32_e32 v7, vcc, 0, v7, vcc
	v_cmp_lt_i64_e32 vcc, v[4:5], v[6:7]
	v_cndmask_b32_e32 v7, v11, v9, vcc
	v_cndmask_b32_e32 v6, v10, v8, vcc
	v_cmp_ne_u64_e32 vcc, v[6:7], v[2:3]
	s_and_saveexec_b64 s[2:3], vcc
	s_cbranch_execz .LBB86_138
; %bb.129:
	s_load_dwordx2 s[0:1], s[18:19], 0x0
	s_waitcnt lgkmcnt(0)
	s_sub_u32 s0, s0, s30
	s_subb_u32 s1, s1, 0
	v_cmp_gt_i64_e32 vcc, s[0:1], v[4:5]
	s_and_b64 exec, exec, vcc
	s_cbranch_execz .LBB86_138
; %bb.130:
	v_cmp_gt_i64_e32 vcc, s[8:9], v[2:3]
	v_cmp_le_i64_e64 s[0:1], s[26:27], v[2:3]
	v_lshlrev_b64 v[4:5], 3, v[6:7]
	s_or_b64 s[0:1], vcc, s[0:1]
	s_and_saveexec_b64 s[18:19], s[0:1]
	s_xor_b64 s[0:1], exec, s[18:19]
	s_cbranch_execz .LBB86_136
; %bb.131:
	v_lshlrev_b64 v[8:9], 3, v[2:3]
	v_mov_b32_e32 v6, s23
	v_add_co_u32_e32 v4, vcc, s22, v4
	v_addc_co_u32_e32 v5, vcc, v6, v5, vcc
	v_mov_b32_e32 v10, s15
	global_load_dwordx2 v[6:7], v[4:5], off
	v_add_co_u32_e32 v4, vcc, s14, v8
	v_addc_co_u32_e32 v5, vcc, v10, v9, vcc
	global_load_dword v11, v[4:5], off
	ds_read_b64 v[8:9], v18 offset:6144
	s_mov_b64 s[18:19], 0
	s_waitcnt vmcnt(1) lgkmcnt(0)
	v_mul_f32_e64 v12, v7, -v9
	v_fmac_f32_e32 v12, v8, v6
.LBB86_132:                             ; =>This Inner Loop Header: Depth=1
	s_waitcnt vmcnt(0)
	v_add_f32_e32 v10, v11, v12
	global_atomic_cmpswap v10, v[4:5], v[10:11], off glc
	s_waitcnt vmcnt(0)
	v_cmp_eq_u32_e32 vcc, v10, v11
	s_or_b64 s[18:19], vcc, s[18:19]
	v_mov_b32_e32 v11, v10
	s_andn2_b64 exec, exec, s[18:19]
	s_cbranch_execnz .LBB86_132
; %bb.133:
	s_or_b64 exec, exec, s[18:19]
	global_load_dword v10, v[4:5], off offset:4
	v_mul_f32_e32 v7, v7, v8
	v_fmac_f32_e32 v7, v9, v6
	s_mov_b64 s[18:19], 0
.LBB86_134:                             ; =>This Inner Loop Header: Depth=1
	s_waitcnt vmcnt(0)
	v_add_f32_e32 v9, v10, v7
	global_atomic_cmpswap v6, v[4:5], v[9:10], off offset:4 glc
	s_waitcnt vmcnt(0)
	v_cmp_eq_u32_e32 vcc, v6, v10
	s_or_b64 s[18:19], vcc, s[18:19]
	v_mov_b32_e32 v10, v6
	s_andn2_b64 exec, exec, s[18:19]
	s_cbranch_execnz .LBB86_134
; %bb.135:
	s_or_b64 exec, exec, s[18:19]
                                        ; implicit-def: $vgpr4_vgpr5
.LBB86_136:
	s_andn2_saveexec_b64 s[0:1], s[0:1]
	s_cbranch_execz .LBB86_138
; %bb.137:
	v_mov_b32_e32 v6, s23
	v_add_co_u32_e32 v4, vcc, s22, v4
	v_addc_co_u32_e32 v5, vcc, v6, v5, vcc
	global_load_dwordx2 v[4:5], v[4:5], off
	ds_read_b64 v[6:7], v18 offset:6144
	v_subrev_u32_e32 v8, s8, v2
	v_mov_b32_e32 v9, 0x2000
	v_lshl_add_u32 v8, v8, 3, v9
	s_waitcnt vmcnt(0) lgkmcnt(0)
	v_mul_f32_e64 v9, v5, -v7
	v_mul_f32_e32 v5, v5, v6
	v_fmac_f32_e32 v9, v6, v4
	v_fmac_f32_e32 v5, v7, v4
	ds_add_f32 v8, v9
	ds_add_f32 v8, v5 offset:4
.LBB86_138:
	s_or_b64 exec, exec, s[2:3]
	v_lshlrev_b64 v[2:3], 3, v[2:3]
	v_mov_b32_e32 v4, s23
	v_add_co_u32_e32 v2, vcc, s22, v2
	v_addc_co_u32_e32 v3, vcc, v4, v3, vcc
	global_load_dwordx2 v[2:3], v[2:3], off
	ds_read_b64 v[4:5], v18 offset:6144
	s_waitcnt vmcnt(0) lgkmcnt(0)
	v_mul_f32_e64 v6, v3, -v5
	v_mul_f32_e32 v7, v3, v4
	v_fmac_f32_e32 v6, v4, v2
	v_fmac_f32_e32 v7, v5, v2
	ds_write_b64 v18, v[6:7] offset:6144
.LBB86_139:
	s_or_b64 exec, exec, s[4:5]
	v_mov_b32_e32 v2, s10
	v_mov_b32_e32 v3, s11
	v_cmp_lt_i64_e32 vcc, s[26:27], v[2:3]
	s_waitcnt lgkmcnt(0)
	s_and_b64 s[0:1], vcc, exec
	s_cselect_b32 s10, s26, s10
	s_cselect_b32 s0, s27, s11
	s_sub_u32 s2, s10, s28
	s_subb_u32 s3, s0, s29
	v_cmp_gt_i64_e32 vcc, s[2:3], v[0:1]
	s_barrier
	s_and_saveexec_b64 s[0:1], vcc
	s_cbranch_execz .LBB86_146
; %bb.140:
	s_lshl_b64 s[4:5], s[8:9], 3
	s_add_u32 s11, s14, s4
	s_addc_u32 s8, s15, s5
	v_mov_b32_e32 v3, v1
	s_mov_b64 s[4:5], 0
	v_mov_b32_e32 v10, s8
	v_mov_b32_e32 v11, 0x2000
	;; [unrolled: 1-line block ×3, first 2 shown]
.LBB86_141:                             ; =>This Loop Header: Depth=1
                                        ;     Child Loop BB86_142 Depth 2
                                        ;     Child Loop BB86_144 Depth 2
	v_lshlrev_b64 v[4:5], 3, v[2:3]
	v_lshl_add_u32 v6, v2, 3, v11
	v_add_co_u32_e32 v4, vcc, s11, v4
	v_addc_co_u32_e32 v5, vcc, v10, v5, vcc
	global_load_dword v9, v[4:5], off
	ds_read2_b32 v[6:7], v6 offset1:1
	s_mov_b64 s[8:9], 0
.LBB86_142:                             ;   Parent Loop BB86_141 Depth=1
                                        ; =>  This Inner Loop Header: Depth=2
	s_waitcnt vmcnt(0) lgkmcnt(0)
	v_add_f32_e32 v8, v9, v6
	global_atomic_cmpswap v8, v[4:5], v[8:9], off glc
	s_waitcnt vmcnt(0)
	v_cmp_eq_u32_e32 vcc, v8, v9
	s_or_b64 s[8:9], vcc, s[8:9]
	v_mov_b32_e32 v9, v8
	s_andn2_b64 exec, exec, s[8:9]
	s_cbranch_execnz .LBB86_142
; %bb.143:                              ;   in Loop: Header=BB86_141 Depth=1
	s_or_b64 exec, exec, s[8:9]
	global_load_dword v9, v[4:5], off offset:4
	s_mov_b64 s[8:9], 0
.LBB86_144:                             ;   Parent Loop BB86_141 Depth=1
                                        ; =>  This Inner Loop Header: Depth=2
	s_waitcnt vmcnt(0)
	v_add_f32_e32 v8, v9, v7
	global_atomic_cmpswap v6, v[4:5], v[8:9], off offset:4 glc
	s_waitcnt vmcnt(0)
	v_cmp_eq_u32_e32 vcc, v6, v9
	s_or_b64 s[8:9], vcc, s[8:9]
	v_mov_b32_e32 v9, v6
	s_andn2_b64 exec, exec, s[8:9]
	s_cbranch_execnz .LBB86_144
; %bb.145:                              ;   in Loop: Header=BB86_141 Depth=1
	s_or_b64 exec, exec, s[8:9]
	v_add_co_u32_e32 v2, vcc, 0x100, v2
	v_addc_co_u32_e32 v3, vcc, 0, v3, vcc
	v_cmp_le_i64_e32 vcc, s[2:3], v[2:3]
	s_or_b64 s[4:5], vcc, s[4:5]
	s_andn2_b64 exec, exec, s[4:5]
	s_cbranch_execnz .LBB86_141
.LBB86_146:
	s_or_b64 exec, exec, s[0:1]
	s_add_i32 s0, s36, -1
	s_ashr_i32 s1, s0, 1
	s_or_b32 s0, s1, s0
	s_ashr_i32 s1, s0, 2
	s_or_b32 s0, s1, s0
	;; [unrolled: 2-line block ×5, first 2 shown]
	s_add_i32 s0, s0, 1
	s_ashr_i32 s3, s0, 1
	v_mov_b32_e32 v2, s25
	v_add_co_u32_e32 v6, vcc, s24, v0
	v_addc_co_u32_e32 v7, vcc, 0, v2, vcc
	s_cmp_gt_i32 s3, 1
	s_mov_b64 s[0:1], -1
	s_barrier
	s_cbranch_scc1 .LBB86_159
; %bb.147:
	v_cmp_gt_i64_e32 vcc, s[26:27], v[6:7]
	s_and_saveexec_b64 s[0:1], vcc
	s_cbranch_execz .LBB86_158
; %bb.148:
	s_sub_i32 s4, s10, s26
	s_lshl_b32 s4, s4, 3
	s_add_i32 s13, s4, 0x2000
	s_lshl_b32 s4, s6, 3
	v_mov_b32_e32 v9, v7
	s_sub_i32 s18, 0, s4
	s_mov_b64 s[4:5], 0
	v_mov_b32_e32 v14, s17
	v_mov_b32_e32 v15, s15
	v_mov_b32_e32 v8, v6
.LBB86_149:                             ; =>This Loop Header: Depth=1
                                        ;     Child Loop BB86_151 Depth 2
                                        ;     Child Loop BB86_154 Depth 2
	;; [unrolled: 1-line block ×3, first 2 shown]
	v_lshlrev_b64 v[10:11], 3, v[8:9]
	v_mov_b32_e32 v16, 0
	v_add_co_u32_e32 v2, vcc, s16, v10
	v_addc_co_u32_e32 v3, vcc, v14, v11, vcc
	global_load_dwordx4 v[2:5], v[2:3], off
	v_mov_b32_e32 v17, 0
	s_waitcnt vmcnt(0)
	v_cmp_lt_i64_e32 vcc, v[2:3], v[4:5]
	s_and_saveexec_b64 s[8:9], vcc
	s_cbranch_execz .LBB86_153
; %bb.150:                              ;   in Loop: Header=BB86_149 Depth=1
	v_mov_b32_e32 v12, s7
	v_subrev_co_u32_e32 v4, vcc, s6, v4
	v_subb_co_u32_e32 v5, vcc, v5, v12, vcc
	v_mov_b32_e32 v13, s7
	v_subrev_co_u32_e32 v12, vcc, s6, v2
	v_subb_co_u32_e32 v13, vcc, v3, v13, vcc
	v_lshl_add_u32 v2, v2, 3, s18
	v_mov_b32_e32 v16, 0
	s_mov_b64 s[10:11], 0
	v_mov_b32_e32 v17, 0
.LBB86_151:                             ;   Parent Loop BB86_149 Depth=1
                                        ; =>  This Inner Loop Header: Depth=2
	ds_read_b64 v[19:20], v2
	v_add_co_u32_e32 v12, vcc, 1, v12
	v_addc_co_u32_e32 v13, vcc, 0, v13, vcc
	v_cmp_ge_i64_e32 vcc, v[12:13], v[4:5]
	v_add_u32_e32 v2, 8, v2
	s_or_b64 s[10:11], vcc, s[10:11]
	s_waitcnt lgkmcnt(0)
	v_add_f32_e32 v17, v17, v19
	v_add_f32_e32 v16, v16, v20
	s_andn2_b64 exec, exec, s[10:11]
	s_cbranch_execnz .LBB86_151
; %bb.152:                              ;   in Loop: Header=BB86_149 Depth=1
	s_or_b64 exec, exec, s[10:11]
.LBB86_153:                             ;   in Loop: Header=BB86_149 Depth=1
	s_or_b64 exec, exec, s[8:9]
	v_add_co_u32_e32 v2, vcc, s14, v10
	v_addc_co_u32_e32 v3, vcc, v15, v11, vcc
	global_load_dword v11, v[2:3], off
	v_lshl_add_u32 v4, v8, 3, s13
	ds_read2_b32 v[4:5], v4 offset1:1
	s_mov_b64 s[8:9], 0
	s_waitcnt lgkmcnt(0)
	v_add_f32_e32 v4, v17, v4
.LBB86_154:                             ;   Parent Loop BB86_149 Depth=1
                                        ; =>  This Inner Loop Header: Depth=2
	s_waitcnt vmcnt(0)
	v_add_f32_e32 v10, v11, v4
	global_atomic_cmpswap v10, v[2:3], v[10:11], off glc
	s_waitcnt vmcnt(0)
	v_cmp_eq_u32_e32 vcc, v10, v11
	s_or_b64 s[8:9], vcc, s[8:9]
	v_mov_b32_e32 v11, v10
	s_andn2_b64 exec, exec, s[8:9]
	s_cbranch_execnz .LBB86_154
; %bb.155:                              ;   in Loop: Header=BB86_149 Depth=1
	s_or_b64 exec, exec, s[8:9]
	global_load_dword v11, v[2:3], off offset:4
	v_add_f32_e32 v4, v16, v5
	s_mov_b64 s[8:9], 0
.LBB86_156:                             ;   Parent Loop BB86_149 Depth=1
                                        ; =>  This Inner Loop Header: Depth=2
	s_waitcnt vmcnt(0)
	v_add_f32_e32 v10, v11, v4
	global_atomic_cmpswap v5, v[2:3], v[10:11], off offset:4 glc
	s_waitcnt vmcnt(0)
	v_cmp_eq_u32_e32 vcc, v5, v11
	s_or_b64 s[8:9], vcc, s[8:9]
	v_mov_b32_e32 v11, v5
	s_andn2_b64 exec, exec, s[8:9]
	s_cbranch_execnz .LBB86_156
; %bb.157:                              ;   in Loop: Header=BB86_149 Depth=1
	s_or_b64 exec, exec, s[8:9]
	v_add_co_u32_e32 v8, vcc, s12, v8
	v_addc_co_u32_e32 v9, vcc, 0, v9, vcc
	v_cmp_le_i64_e32 vcc, s[26:27], v[8:9]
	s_or_b64 s[4:5], vcc, s[4:5]
	s_andn2_b64 exec, exec, s[4:5]
	s_cbranch_execnz .LBB86_149
.LBB86_158:
	s_or_b64 exec, exec, s[0:1]
	s_mov_b64 s[0:1], 0
.LBB86_159:
	s_andn2_b64 vcc, exec, s[0:1]
	s_cbranch_vccnz .LBB86_179
; %bb.160:
	v_cvt_f32_u32_e32 v2, s3
	s_sub_i32 s8, 0, s3
	v_mov_b32_e32 v5, 0
	v_mov_b32_e32 v8, s35
	v_rcp_iflag_f32_e32 v2, v2
	v_mov_b32_e32 v12, s7
	v_mul_f32_e32 v2, 0x4f7ffffe, v2
	v_cvt_u32_f32_e32 v2, v2
	v_mul_lo_u32 v3, s8, v2
	v_mul_hi_u32 v3, v2, v3
	v_add_u32_e32 v2, v2, v3
	v_mul_hi_u32 v2, v0, v2
	v_mul_lo_u32 v3, v2, s3
	v_add_u32_e32 v4, 1, v2
	v_sub_u32_e32 v3, v0, v3
	v_cmp_le_u32_e32 vcc, s3, v3
	v_cndmask_b32_e32 v2, v2, v4, vcc
	v_subrev_u32_e32 v4, s3, v3
	v_cndmask_b32_e32 v3, v3, v4, vcc
	v_add_u32_e32 v4, 1, v2
	v_cmp_le_u32_e32 vcc, s3, v3
	v_cndmask_b32_e32 v4, v2, v4, vcc
	v_lshlrev_b64 v[2:3], 3, v[4:5]
	v_add_co_u32_e32 v2, vcc, s34, v2
	v_addc_co_u32_e32 v3, vcc, v8, v3, vcc
	global_load_dwordx4 v[8:11], v[2:3], off
	v_mov_b32_e32 v3, s7
	s_waitcnt vmcnt(0)
	v_subrev_co_u32_e32 v2, vcc, s6, v8
	v_subb_co_u32_e32 v3, vcc, v9, v3, vcc
	v_subrev_co_u32_e32 v13, vcc, s6, v10
	v_subb_co_u32_e32 v14, vcc, v11, v12, vcc
	v_sub_co_u32_e32 v11, vcc, v13, v2
	v_subb_co_u32_e32 v10, vcc, v14, v3, vcc
	v_mov_b32_e32 v9, v5
	v_cmp_ne_u64_e32 vcc, 0, v[9:10]
                                        ; implicit-def: $vgpr8_vgpr9
	s_and_saveexec_b64 s[0:1], vcc
	s_xor_b64 s[4:5], exec, s[0:1]
	s_cbranch_execz .LBB86_162
; %bb.161:
	s_add_u32 s0, s3, 0
	s_addc_u32 s1, 0, 0
	s_xor_b64 s[6:7], s[0:1], 0
	v_cvt_f32_u32_e32 v8, s6
	v_cvt_f32_u32_e32 v9, s7
	s_sub_u32 s9, 0, s6
	s_subb_u32 s10, 0, s7
	v_ashrrev_i32_e32 v12, 31, v10
	v_madmk_f32 v8, v9, 0x4f800000, v8
	v_rcp_f32_e32 v8, v8
	v_mul_f32_e32 v8, 0x5f7ffffc, v8
	v_mul_f32_e32 v9, 0x2f800000, v8
	v_trunc_f32_e32 v9, v9
	v_madmk_f32 v8, v9, 0xcf800000, v8
	v_cvt_u32_f32_e32 v9, v9
	v_cvt_u32_f32_e32 v8, v8
	v_readfirstlane_b32 s11, v9
	v_readfirstlane_b32 s0, v8
	s_mul_i32 s1, s9, s11
	s_mul_hi_u32 s13, s9, s0
	s_mul_i32 s12, s10, s0
	s_add_i32 s1, s13, s1
	s_mul_i32 s16, s9, s0
	s_add_i32 s1, s1, s12
	s_mul_i32 s13, s0, s1
	s_mul_hi_u32 s17, s0, s16
	s_mul_hi_u32 s12, s0, s1
	s_add_u32 s13, s17, s13
	s_addc_u32 s12, 0, s12
	s_mul_hi_u32 s18, s11, s16
	s_mul_i32 s16, s11, s16
	s_add_u32 s13, s13, s16
	s_mul_hi_u32 s17, s11, s1
	s_addc_u32 s12, s12, s18
	s_addc_u32 s13, s17, 0
	s_mul_i32 s1, s11, s1
	s_add_u32 s1, s12, s1
	s_addc_u32 s12, 0, s13
	s_add_u32 s13, s0, s1
	s_cselect_b64 s[0:1], -1, 0
	s_cmp_lg_u64 s[0:1], 0
	s_addc_u32 s11, s11, s12
	s_mul_i32 s0, s9, s11
	s_mul_hi_u32 s1, s9, s13
	s_add_i32 s0, s1, s0
	s_mul_i32 s10, s10, s13
	s_add_i32 s0, s0, s10
	s_mul_i32 s9, s9, s13
	s_mul_hi_u32 s10, s11, s9
	s_mul_i32 s12, s11, s9
	s_mul_i32 s17, s13, s0
	s_mul_hi_u32 s9, s13, s9
	s_mul_hi_u32 s16, s13, s0
	s_add_u32 s9, s9, s17
	s_addc_u32 s16, 0, s16
	s_add_u32 s9, s9, s12
	s_mul_hi_u32 s1, s11, s0
	s_addc_u32 s9, s16, s10
	s_addc_u32 s1, s1, 0
	s_mul_i32 s0, s11, s0
	s_add_u32 s0, s9, s0
	s_addc_u32 s9, 0, s1
	s_add_u32 s10, s13, s0
	s_cselect_b64 s[0:1], -1, 0
	s_cmp_lg_u64 s[0:1], 0
	v_add_co_u32_e32 v8, vcc, v11, v12
	s_addc_u32 s9, s11, s9
	v_xor_b32_e32 v15, v8, v12
	v_mad_u64_u32 v[8:9], s[0:1], v15, s9, 0
	v_mul_hi_u32 v11, v15, s10
	v_addc_co_u32_e32 v10, vcc, v10, v12, vcc
	v_xor_b32_e32 v16, v10, v12
	v_add_co_u32_e32 v17, vcc, v11, v8
	v_addc_co_u32_e32 v19, vcc, 0, v9, vcc
	v_mad_u64_u32 v[8:9], s[0:1], v16, s10, 0
	v_mad_u64_u32 v[10:11], s[0:1], v16, s9, 0
	v_add_co_u32_e32 v8, vcc, v17, v8
	v_addc_co_u32_e32 v8, vcc, v19, v9, vcc
	v_addc_co_u32_e32 v9, vcc, 0, v11, vcc
	v_add_co_u32_e32 v10, vcc, v8, v10
	v_addc_co_u32_e32 v11, vcc, 0, v9, vcc
	v_mul_lo_u32 v17, s7, v10
	v_mul_lo_u32 v19, s6, v11
	v_mad_u64_u32 v[8:9], s[0:1], s6, v10, 0
	v_add3_u32 v9, v9, v19, v17
	v_sub_u32_e32 v17, v16, v9
	v_mov_b32_e32 v19, s7
	v_sub_co_u32_e32 v8, vcc, v15, v8
	v_subb_co_u32_e64 v15, s[0:1], v17, v19, vcc
	v_subrev_co_u32_e64 v17, s[0:1], s6, v8
	v_subbrev_co_u32_e64 v15, s[0:1], 0, v15, s[0:1]
	v_cmp_le_u32_e64 s[0:1], s7, v15
	v_cndmask_b32_e64 v19, 0, -1, s[0:1]
	v_cmp_le_u32_e64 s[0:1], s6, v17
	v_cndmask_b32_e64 v17, 0, -1, s[0:1]
	v_cmp_eq_u32_e64 s[0:1], s7, v15
	v_cndmask_b32_e64 v15, v19, v17, s[0:1]
	v_add_co_u32_e64 v17, s[0:1], 2, v10
	v_subb_co_u32_e32 v9, vcc, v16, v9, vcc
	v_addc_co_u32_e64 v19, s[0:1], 0, v11, s[0:1]
	v_cmp_le_u32_e32 vcc, s7, v9
	v_add_co_u32_e64 v20, s[0:1], 1, v10
	v_cndmask_b32_e64 v16, 0, -1, vcc
	v_cmp_le_u32_e32 vcc, s6, v8
	v_addc_co_u32_e64 v21, s[0:1], 0, v11, s[0:1]
	v_cndmask_b32_e64 v8, 0, -1, vcc
	v_cmp_eq_u32_e32 vcc, s7, v9
	v_cmp_ne_u32_e64 s[0:1], 0, v15
	v_cndmask_b32_e32 v8, v16, v8, vcc
	v_cndmask_b32_e64 v15, v21, v19, s[0:1]
	v_cmp_ne_u32_e32 vcc, 0, v8
	v_cndmask_b32_e64 v9, v20, v17, s[0:1]
	v_cndmask_b32_e32 v8, v11, v15, vcc
	v_cndmask_b32_e32 v9, v10, v9, vcc
	v_xor_b32_e32 v10, v8, v12
	v_xor_b32_e32 v8, v9, v12
	v_sub_co_u32_e32 v8, vcc, v8, v12
	v_subb_co_u32_e32 v9, vcc, v10, v12, vcc
                                        ; implicit-def: $vgpr11
.LBB86_162:
	s_andn2_saveexec_b64 s[0:1], s[4:5]
	s_cbranch_execz .LBB86_164
; %bb.163:
	v_cvt_f32_u32_e32 v8, s3
	v_rcp_iflag_f32_e32 v8, v8
	v_mul_f32_e32 v8, 0x4f7ffffe, v8
	v_cvt_u32_f32_e32 v8, v8
	v_mul_lo_u32 v9, s8, v8
	v_mul_hi_u32 v9, v8, v9
	v_add_u32_e32 v8, v8, v9
	v_mul_hi_u32 v8, v11, v8
	v_mul_lo_u32 v9, v8, s3
	v_add_u32_e32 v10, 1, v8
	v_sub_u32_e32 v9, v11, v9
	v_subrev_u32_e32 v11, s3, v9
	v_cmp_le_u32_e32 vcc, s3, v9
	v_cndmask_b32_e32 v9, v9, v11, vcc
	v_cndmask_b32_e32 v8, v8, v10, vcc
	v_add_u32_e32 v10, 1, v8
	v_cmp_le_u32_e32 vcc, s3, v9
	v_cndmask_b32_e32 v8, v8, v10, vcc
	v_mov_b32_e32 v9, 0
.LBB86_164:
	s_or_b64 exec, exec, s[0:1]
	v_cmp_gt_i64_e32 vcc, s[28:29], v[4:5]
	v_mov_b32_e32 v5, 0
	v_mov_b32_e32 v4, 0
	s_and_saveexec_b64 s[0:1], vcc
	s_cbranch_execz .LBB86_172
; %bb.165:
	s_add_i32 s4, s3, -1
	v_and_b32_e32 v10, s4, v0
	v_cmp_lt_i64_e32 vcc, 0, v[8:9]
	s_mov_b64 s[4:5], 0
	v_mov_b32_e32 v5, 0
	v_lshlrev_b32_e32 v15, 3, v10
	v_mov_b32_e32 v4, 0
	s_and_saveexec_b64 s[6:7], vcc
	s_cbranch_execz .LBB86_169
; %bb.166:
	v_mov_b32_e32 v5, 0
	v_mov_b32_e32 v12, v9
	v_lshl_add_u32 v16, v2, 3, v15
	s_lshl_b32 s8, s3, 3
	v_mov_b32_e32 v11, v8
	v_mov_b32_e32 v4, v5
.LBB86_167:                             ; =>This Inner Loop Header: Depth=1
	ds_read_b64 v[19:20], v16
	v_add_co_u32_e32 v11, vcc, -1, v11
	v_addc_co_u32_e32 v12, vcc, -1, v12, vcc
	v_cmp_eq_u64_e32 vcc, 0, v[11:12]
	v_add_u32_e32 v16, s8, v16
	s_or_b64 s[4:5], vcc, s[4:5]
	s_waitcnt lgkmcnt(0)
	v_add_f32_e32 v4, v4, v19
	v_add_f32_e32 v5, v5, v20
	s_andn2_b64 exec, exec, s[4:5]
	s_cbranch_execnz .LBB86_167
; %bb.168:
	s_or_b64 exec, exec, s[4:5]
.LBB86_169:
	s_or_b64 exec, exec, s[6:7]
	v_mad_u64_u32 v[2:3], s[4:5], v8, s3, v[2:3]
	v_mov_b32_e32 v11, 0
	v_mad_u64_u32 v[8:9], s[4:5], v9, s3, v[3:4]
	v_sub_co_u32_e32 v12, vcc, v13, v2
	v_subb_co_u32_e32 v13, vcc, v14, v8, vcc
	v_cmp_gt_i64_e32 vcc, v[12:13], v[10:11]
	s_and_saveexec_b64 s[4:5], vcc
	s_cbranch_execz .LBB86_171
; %bb.170:
	v_lshl_add_u32 v2, v2, 3, v15
	ds_read_b64 v[2:3], v2
	s_waitcnt lgkmcnt(0)
	v_add_f32_e32 v4, v4, v2
	v_add_f32_e32 v5, v5, v3
.LBB86_171:
	s_or_b64 exec, exec, s[4:5]
.LBB86_172:
	s_or_b64 exec, exec, s[0:1]
	v_cmp_gt_i64_e32 vcc, s[28:29], v[0:1]
	s_barrier
	ds_write_b64 v18, v[4:5]
	s_waitcnt lgkmcnt(0)
	s_barrier
	s_and_b64 exec, exec, vcc
	s_cbranch_execz .LBB86_179
; %bb.173:
	v_mul_lo_u32 v1, s3, v0
	v_mov_b32_e32 v8, 0
	v_mov_b32_e32 v5, 0
	v_lshlrev_b32_e32 v1, 3, v1
.LBB86_174:                             ; =>This Inner Loop Header: Depth=1
	ds_read_b64 v[2:3], v1
	s_add_i32 s3, s3, -1
	v_add_u32_e32 v1, 8, v1
	s_cmp_eq_u32 s3, 0
	s_waitcnt lgkmcnt(0)
	v_add_f32_e32 v5, v5, v2
	v_add_f32_e32 v8, v8, v3
	s_cbranch_scc0 .LBB86_174
; %bb.175:
	v_lshlrev_b64 v[1:2], 3, v[6:7]
	v_mov_b32_e32 v3, s15
	v_add_co_u32_e32 v1, vcc, s14, v1
	v_addc_co_u32_e32 v2, vcc, v3, v2, vcc
	global_load_dword v6, v[1:2], off
	s_lshl_b32 s0, s2, 3
	s_addk_i32 s0, 0x2000
	v_lshl_add_u32 v0, v0, 3, s0
	ds_read2_b32 v[3:4], v0 offset1:1
	s_mov_b64 s[0:1], 0
	s_waitcnt lgkmcnt(0)
	v_add_f32_e32 v0, v5, v3
.LBB86_176:                             ; =>This Inner Loop Header: Depth=1
	s_waitcnt vmcnt(0)
	v_add_f32_e32 v5, v6, v0
	global_atomic_cmpswap v3, v[1:2], v[5:6], off glc
	s_waitcnt vmcnt(0)
	v_cmp_eq_u32_e32 vcc, v3, v6
	s_or_b64 s[0:1], vcc, s[0:1]
	v_mov_b32_e32 v6, v3
	s_andn2_b64 exec, exec, s[0:1]
	s_cbranch_execnz .LBB86_176
; %bb.177:
	s_or_b64 exec, exec, s[0:1]
	global_load_dword v5, v[1:2], off offset:4
	v_add_f32_e32 v0, v8, v4
	s_mov_b64 s[0:1], 0
.LBB86_178:                             ; =>This Inner Loop Header: Depth=1
	s_waitcnt vmcnt(0)
	v_add_f32_e32 v4, v5, v0
	global_atomic_cmpswap v3, v[1:2], v[4:5], off offset:4 glc
	s_waitcnt vmcnt(0)
	v_cmp_eq_u32_e32 vcc, v3, v5
	s_or_b64 s[0:1], vcc, s[0:1]
	v_mov_b32_e32 v5, v3
	s_andn2_b64 exec, exec, s[0:1]
	s_cbranch_execnz .LBB86_178
.LBB86_179:
	s_endpgm
	.section	.rodata,"a",@progbits
	.p2align	6, 0x0
	.amdhsa_kernel _ZN9rocsparseL27csrmvn_symm_adaptive_kernelIlif21rocsparse_complex_numIfES2_S2_EEvbT_S3_PKS3_NS_24const_host_device_scalarIT4_EES5_PKT0_PKT1_PKT2_S8_PT3_21rocsparse_index_base_b
		.amdhsa_group_segment_fixed_size 8192
		.amdhsa_private_segment_fixed_size 0
		.amdhsa_kernarg_size 352
		.amdhsa_user_sgpr_count 6
		.amdhsa_user_sgpr_private_segment_buffer 1
		.amdhsa_user_sgpr_dispatch_ptr 0
		.amdhsa_user_sgpr_queue_ptr 0
		.amdhsa_user_sgpr_kernarg_segment_ptr 1
		.amdhsa_user_sgpr_dispatch_id 0
		.amdhsa_user_sgpr_flat_scratch_init 0
		.amdhsa_user_sgpr_private_segment_size 0
		.amdhsa_uses_dynamic_stack 0
		.amdhsa_system_sgpr_private_segment_wavefront_offset 0
		.amdhsa_system_sgpr_workgroup_id_x 1
		.amdhsa_system_sgpr_workgroup_id_y 0
		.amdhsa_system_sgpr_workgroup_id_z 0
		.amdhsa_system_sgpr_workgroup_info 0
		.amdhsa_system_vgpr_workitem_id 0
		.amdhsa_next_free_vgpr 29
		.amdhsa_next_free_sgpr 61
		.amdhsa_reserve_vcc 1
		.amdhsa_reserve_flat_scratch 0
		.amdhsa_float_round_mode_32 0
		.amdhsa_float_round_mode_16_64 0
		.amdhsa_float_denorm_mode_32 3
		.amdhsa_float_denorm_mode_16_64 3
		.amdhsa_dx10_clamp 1
		.amdhsa_ieee_mode 1
		.amdhsa_fp16_overflow 0
		.amdhsa_exception_fp_ieee_invalid_op 0
		.amdhsa_exception_fp_denorm_src 0
		.amdhsa_exception_fp_ieee_div_zero 0
		.amdhsa_exception_fp_ieee_overflow 0
		.amdhsa_exception_fp_ieee_underflow 0
		.amdhsa_exception_fp_ieee_inexact 0
		.amdhsa_exception_int_div_zero 0
	.end_amdhsa_kernel
	.section	.text._ZN9rocsparseL27csrmvn_symm_adaptive_kernelIlif21rocsparse_complex_numIfES2_S2_EEvbT_S3_PKS3_NS_24const_host_device_scalarIT4_EES5_PKT0_PKT1_PKT2_S8_PT3_21rocsparse_index_base_b,"axG",@progbits,_ZN9rocsparseL27csrmvn_symm_adaptive_kernelIlif21rocsparse_complex_numIfES2_S2_EEvbT_S3_PKS3_NS_24const_host_device_scalarIT4_EES5_PKT0_PKT1_PKT2_S8_PT3_21rocsparse_index_base_b,comdat
.Lfunc_end86:
	.size	_ZN9rocsparseL27csrmvn_symm_adaptive_kernelIlif21rocsparse_complex_numIfES2_S2_EEvbT_S3_PKS3_NS_24const_host_device_scalarIT4_EES5_PKT0_PKT1_PKT2_S8_PT3_21rocsparse_index_base_b, .Lfunc_end86-_ZN9rocsparseL27csrmvn_symm_adaptive_kernelIlif21rocsparse_complex_numIfES2_S2_EEvbT_S3_PKS3_NS_24const_host_device_scalarIT4_EES5_PKT0_PKT1_PKT2_S8_PT3_21rocsparse_index_base_b
                                        ; -- End function
	.set _ZN9rocsparseL27csrmvn_symm_adaptive_kernelIlif21rocsparse_complex_numIfES2_S2_EEvbT_S3_PKS3_NS_24const_host_device_scalarIT4_EES5_PKT0_PKT1_PKT2_S8_PT3_21rocsparse_index_base_b.num_vgpr, 23
	.set _ZN9rocsparseL27csrmvn_symm_adaptive_kernelIlif21rocsparse_complex_numIfES2_S2_EEvbT_S3_PKS3_NS_24const_host_device_scalarIT4_EES5_PKT0_PKT1_PKT2_S8_PT3_21rocsparse_index_base_b.num_agpr, 0
	.set _ZN9rocsparseL27csrmvn_symm_adaptive_kernelIlif21rocsparse_complex_numIfES2_S2_EEvbT_S3_PKS3_NS_24const_host_device_scalarIT4_EES5_PKT0_PKT1_PKT2_S8_PT3_21rocsparse_index_base_b.numbered_sgpr, 52
	.set _ZN9rocsparseL27csrmvn_symm_adaptive_kernelIlif21rocsparse_complex_numIfES2_S2_EEvbT_S3_PKS3_NS_24const_host_device_scalarIT4_EES5_PKT0_PKT1_PKT2_S8_PT3_21rocsparse_index_base_b.num_named_barrier, 0
	.set _ZN9rocsparseL27csrmvn_symm_adaptive_kernelIlif21rocsparse_complex_numIfES2_S2_EEvbT_S3_PKS3_NS_24const_host_device_scalarIT4_EES5_PKT0_PKT1_PKT2_S8_PT3_21rocsparse_index_base_b.private_seg_size, 0
	.set _ZN9rocsparseL27csrmvn_symm_adaptive_kernelIlif21rocsparse_complex_numIfES2_S2_EEvbT_S3_PKS3_NS_24const_host_device_scalarIT4_EES5_PKT0_PKT1_PKT2_S8_PT3_21rocsparse_index_base_b.uses_vcc, 1
	.set _ZN9rocsparseL27csrmvn_symm_adaptive_kernelIlif21rocsparse_complex_numIfES2_S2_EEvbT_S3_PKS3_NS_24const_host_device_scalarIT4_EES5_PKT0_PKT1_PKT2_S8_PT3_21rocsparse_index_base_b.uses_flat_scratch, 0
	.set _ZN9rocsparseL27csrmvn_symm_adaptive_kernelIlif21rocsparse_complex_numIfES2_S2_EEvbT_S3_PKS3_NS_24const_host_device_scalarIT4_EES5_PKT0_PKT1_PKT2_S8_PT3_21rocsparse_index_base_b.has_dyn_sized_stack, 0
	.set _ZN9rocsparseL27csrmvn_symm_adaptive_kernelIlif21rocsparse_complex_numIfES2_S2_EEvbT_S3_PKS3_NS_24const_host_device_scalarIT4_EES5_PKT0_PKT1_PKT2_S8_PT3_21rocsparse_index_base_b.has_recursion, 0
	.set _ZN9rocsparseL27csrmvn_symm_adaptive_kernelIlif21rocsparse_complex_numIfES2_S2_EEvbT_S3_PKS3_NS_24const_host_device_scalarIT4_EES5_PKT0_PKT1_PKT2_S8_PT3_21rocsparse_index_base_b.has_indirect_call, 0
	.section	.AMDGPU.csdata,"",@progbits
; Kernel info:
; codeLenInByte = 8708
; TotalNumSgprs: 56
; NumVgprs: 23
; ScratchSize: 0
; MemoryBound: 0
; FloatMode: 240
; IeeeMode: 1
; LDSByteSize: 8192 bytes/workgroup (compile time only)
; SGPRBlocks: 8
; VGPRBlocks: 7
; NumSGPRsForWavesPerEU: 65
; NumVGPRsForWavesPerEU: 29
; Occupancy: 8
; WaveLimiterHint : 1
; COMPUTE_PGM_RSRC2:SCRATCH_EN: 0
; COMPUTE_PGM_RSRC2:USER_SGPR: 6
; COMPUTE_PGM_RSRC2:TRAP_HANDLER: 0
; COMPUTE_PGM_RSRC2:TGID_X_EN: 1
; COMPUTE_PGM_RSRC2:TGID_Y_EN: 0
; COMPUTE_PGM_RSRC2:TGID_Z_EN: 0
; COMPUTE_PGM_RSRC2:TIDIG_COMP_CNT: 0
	.section	.text._ZL33csrmvn_symm_large_adaptive_kernelIlif21rocsparse_complex_numIfES1_S1_EvbT_PKS2_N9rocsparse24const_host_device_scalarIT4_EES4_PKT0_PKT1_PKT2_S8_PT3_21rocsparse_index_base_b,"axG",@progbits,_ZL33csrmvn_symm_large_adaptive_kernelIlif21rocsparse_complex_numIfES1_S1_EvbT_PKS2_N9rocsparse24const_host_device_scalarIT4_EES4_PKT0_PKT1_PKT2_S8_PT3_21rocsparse_index_base_b,comdat
	.globl	_ZL33csrmvn_symm_large_adaptive_kernelIlif21rocsparse_complex_numIfES1_S1_EvbT_PKS2_N9rocsparse24const_host_device_scalarIT4_EES4_PKT0_PKT1_PKT2_S8_PT3_21rocsparse_index_base_b ; -- Begin function _ZL33csrmvn_symm_large_adaptive_kernelIlif21rocsparse_complex_numIfES1_S1_EvbT_PKS2_N9rocsparse24const_host_device_scalarIT4_EES4_PKT0_PKT1_PKT2_S8_PT3_21rocsparse_index_base_b
	.p2align	8
	.type	_ZL33csrmvn_symm_large_adaptive_kernelIlif21rocsparse_complex_numIfES1_S1_EvbT_PKS2_N9rocsparse24const_host_device_scalarIT4_EES4_PKT0_PKT1_PKT2_S8_PT3_21rocsparse_index_base_b,@function
_ZL33csrmvn_symm_large_adaptive_kernelIlif21rocsparse_complex_numIfES1_S1_EvbT_PKS2_N9rocsparse24const_host_device_scalarIT4_EES4_PKT0_PKT1_PKT2_S8_PT3_21rocsparse_index_base_b: ; @_ZL33csrmvn_symm_large_adaptive_kernelIlif21rocsparse_complex_numIfES1_S1_EvbT_PKS2_N9rocsparse24const_host_device_scalarIT4_EES4_PKT0_PKT1_PKT2_S8_PT3_21rocsparse_index_base_b
; %bb.0:
	s_load_dwordx2 s[10:11], s[4:5], 0x50
	s_load_dwordx2 s[0:1], s[4:5], 0x18
	s_add_u32 s7, s4, 24
	s_addc_u32 s12, s5, 0
	s_waitcnt lgkmcnt(0)
	s_bitcmp1_b32 s11, 0
	s_cselect_b64 s[8:9], -1, 0
	s_and_b64 s[2:3], s[8:9], exec
	s_cselect_b32 s1, s12, s1
	s_cselect_b32 s0, s7, s0
	v_mov_b32_e32 v1, s0
	v_mov_b32_e32 v2, s1
	flat_load_dwordx2 v[1:2], v[1:2]
	s_waitcnt vmcnt(0) lgkmcnt(0)
	v_cmp_eq_f32_e32 vcc, 0, v1
	v_cmp_eq_f32_e64 s[0:1], 0, v2
	s_and_b64 s[12:13], vcc, s[0:1]
	s_mov_b64 s[0:1], -1
	s_and_saveexec_b64 s[2:3], s[12:13]
	s_cbranch_execz .LBB87_2
; %bb.1:
	s_load_dwordx2 s[0:1], s[4:5], 0x40
	s_add_u32 s7, s4, 64
	s_addc_u32 s11, s5, 0
	s_and_b64 s[8:9], s[8:9], exec
	s_waitcnt lgkmcnt(0)
	s_cselect_b32 s1, s11, s1
	s_cselect_b32 s0, s7, s0
	v_mov_b32_e32 v3, s0
	v_mov_b32_e32 v4, s1
	flat_load_dwordx2 v[3:4], v[3:4]
	s_waitcnt vmcnt(0) lgkmcnt(0)
	v_cmp_neq_f32_e32 vcc, 1.0, v3
	v_cmp_neq_f32_e64 s[0:1], 0, v4
	s_or_b64 s[0:1], vcc, s[0:1]
	s_orn2_b64 s[0:1], s[0:1], exec
.LBB87_2:
	s_or_b64 exec, exec, s[2:3]
	s_and_saveexec_b64 s[2:3], s[0:1]
	s_cbranch_execz .LBB87_43
; %bb.3:
	s_load_dwordx2 s[0:1], s[4:5], 0x10
	s_mov_b32 s2, 0
	s_mov_b32 s3, s2
	v_mov_b32_e32 v4, s3
	s_ashr_i32 s7, s6, 31
	v_mov_b32_e32 v3, s2
	s_lshl_b64 s[2:3], s[6:7], 3
	s_waitcnt lgkmcnt(0)
	s_add_u32 s0, s0, s2
	v_lshlrev_b32_e32 v13, 3, v0
	s_addc_u32 s1, s1, s3
	ds_write2st64_b64 v13, v[3:4], v[3:4] offset1:4
	ds_write2st64_b64 v13, v[3:4], v[3:4] offset0:8 offset1:12
	s_waitcnt lgkmcnt(0)
	s_barrier
	s_load_dwordx4 s[20:23], s[0:1], 0x0
	s_load_dwordx8 s[12:19], s[4:5], 0x20
	s_load_dwordx2 s[24:25], s[4:5], 0x48
	v_subrev_co_u32_e64 v14, s[0:1], s10, v0
	s_waitcnt lgkmcnt(0)
	v_mov_b32_e32 v3, s22
	v_mov_b32_e32 v4, s23
	v_cmp_ge_i64_e32 vcc, s[20:21], v[3:4]
	v_mov_b32_e32 v16, 0
	v_subb_co_u32_e64 v15, s[0:1], 0, 0, s[0:1]
	s_cbranch_vccnz .LBB87_31
; %bb.4:
	v_mov_b32_e32 v3, s22
	v_cmp_gt_u32_e64 s[0:1], 64, v0
	v_cmp_gt_u32_e64 s[2:3], 16, v0
	;; [unrolled: 1-line block ×3, first 2 shown]
	v_cmp_eq_u32_e64 s[6:7], 0, v0
	v_mov_b32_e32 v4, s23
	s_movk_i32 s11, 0x100
	s_mov_b64 s[26:27], s[20:21]
	s_branch .LBB87_6
.LBB87_5:                               ;   in Loop: Header=BB87_6 Depth=1
	s_or_b64 exec, exec, s[8:9]
	s_add_u32 s26, s26, 1
	s_addc_u32 s27, s27, 0
	v_cmp_ge_i64_e32 vcc, s[26:27], v[3:4]
	s_cbranch_vccnz .LBB87_31
.LBB87_6:                               ; =>This Loop Header: Depth=1
                                        ;     Child Loop BB87_8 Depth 2
                                        ;     Child Loop BB87_20 Depth 2
	;; [unrolled: 1-line block ×5, first 2 shown]
	s_lshl_b64 s[28:29], s[26:27], 3
	s_add_u32 s8, s12, s28
	s_addc_u32 s9, s13, s29
	s_load_dwordx4 s[36:39], s[8:9], 0x0
	v_mov_b32_e32 v8, 0
	v_mov_b32_e32 v7, 0
	s_waitcnt lgkmcnt(0)
	s_sub_u32 s30, s38, s10
	v_mov_b32_e32 v0, s37
	v_add_co_u32_e32 v5, vcc, s36, v14
	s_subb_u32 s31, s39, 0
	v_addc_co_u32_e32 v6, vcc, v0, v15, vcc
	v_cmp_gt_i64_e32 vcc, s[30:31], v[5:6]
	s_and_saveexec_b64 s[34:35], vcc
	s_cbranch_execz .LBB87_10
; %bb.7:                                ;   in Loop: Header=BB87_6 Depth=1
	v_lshlrev_b64 v[7:8], 2, v[5:6]
	v_mov_b32_e32 v0, s15
	v_add_co_u32_e32 v9, vcc, s14, v7
	v_addc_co_u32_e32 v10, vcc, v0, v8, vcc
	v_mov_b32_e32 v0, s17
	v_add_co_u32_e32 v11, vcc, s16, v7
	v_addc_co_u32_e32 v12, vcc, v0, v8, vcc
	v_mov_b32_e32 v8, 0
	s_mov_b64 s[36:37], 0
	v_mov_b32_e32 v7, v8
.LBB87_8:                               ;   Parent Loop BB87_6 Depth=1
                                        ; =>  This Inner Loop Header: Depth=2
	global_load_dword v0, v[9:10], off
	global_load_dword v19, v[11:12], off
	v_mov_b32_e32 v20, s19
	s_waitcnt vmcnt(1)
	v_subrev_u32_e32 v17, s10, v0
	v_ashrrev_i32_e32 v18, 31, v17
	v_lshlrev_b64 v[17:18], 3, v[17:18]
	v_add_co_u32_e32 v17, vcc, s18, v17
	v_addc_co_u32_e32 v18, vcc, v20, v18, vcc
	global_load_dwordx2 v[17:18], v[17:18], off
	v_add_co_u32_e32 v5, vcc, s11, v5
	v_addc_co_u32_e32 v6, vcc, 0, v6, vcc
	v_add_co_u32_e32 v9, vcc, 0x400, v9
	v_addc_co_u32_e32 v10, vcc, 0, v10, vcc
	v_cmp_le_i64_e64 s[8:9], s[30:31], v[5:6]
	v_add_co_u32_e32 v11, vcc, 0x400, v11
	v_addc_co_u32_e32 v12, vcc, 0, v12, vcc
	s_or_b64 s[36:37], s[8:9], s[36:37]
	s_waitcnt vmcnt(0)
	v_fmac_f32_e32 v7, v19, v17
	v_fmac_f32_e32 v8, 0, v17
	;; [unrolled: 1-line block ×4, first 2 shown]
	s_andn2_b64 exec, exec, s[36:37]
	s_cbranch_execnz .LBB87_8
; %bb.9:                                ;   in Loop: Header=BB87_6 Depth=1
	s_or_b64 exec, exec, s[36:37]
.LBB87_10:                              ;   in Loop: Header=BB87_6 Depth=1
	s_or_b64 exec, exec, s[34:35]
	ds_write_b64 v13, v[7:8]
	s_waitcnt lgkmcnt(0)
	s_barrier
	ds_read2st64_b64 v[5:8], v13 offset1:4
	ds_read2st64_b64 v[9:12], v13 offset0:8 offset1:12
	s_waitcnt lgkmcnt(0)
	v_add_f32_e32 v0, v9, v7
	v_add_f32_e32 v7, v10, v8
	;; [unrolled: 1-line block ×6, first 2 shown]
	ds_write_b64 v13, v[5:6]
	s_waitcnt lgkmcnt(0)
	s_barrier
	s_and_saveexec_b64 s[8:9], s[0:1]
	s_cbranch_execz .LBB87_12
; %bb.11:                               ;   in Loop: Header=BB87_6 Depth=1
	ds_read2st64_b64 v[5:8], v13 offset1:1
	ds_read2st64_b64 v[9:12], v13 offset0:2 offset1:3
	s_waitcnt lgkmcnt(0)
	v_add_f32_e32 v0, v9, v7
	v_add_f32_e32 v7, v10, v8
	;; [unrolled: 1-line block ×6, first 2 shown]
	ds_write_b64 v13, v[5:6]
.LBB87_12:                              ;   in Loop: Header=BB87_6 Depth=1
	s_or_b64 exec, exec, s[8:9]
	s_waitcnt lgkmcnt(0)
	s_barrier
	s_and_saveexec_b64 s[8:9], s[2:3]
	s_cbranch_execz .LBB87_14
; %bb.13:                               ;   in Loop: Header=BB87_6 Depth=1
	ds_read2_b64 v[5:8], v13 offset1:16
	ds_read2_b64 v[9:12], v13 offset0:32 offset1:48
	s_waitcnt lgkmcnt(0)
	v_add_f32_e32 v0, v9, v7
	v_add_f32_e32 v7, v10, v8
	v_add_f32_e32 v0, v11, v0
	v_add_f32_e32 v7, v12, v7
	v_add_f32_e32 v5, v0, v5
	v_add_f32_e32 v6, v7, v6
	ds_write_b64 v13, v[5:6]
.LBB87_14:                              ;   in Loop: Header=BB87_6 Depth=1
	s_or_b64 exec, exec, s[8:9]
	s_waitcnt lgkmcnt(0)
	s_barrier
	s_and_saveexec_b64 s[8:9], s[4:5]
	s_cbranch_execz .LBB87_16
; %bb.15:                               ;   in Loop: Header=BB87_6 Depth=1
	ds_read2_b64 v[5:8], v13 offset1:4
	ds_read2_b64 v[9:12], v13 offset0:8 offset1:12
	s_waitcnt lgkmcnt(0)
	v_add_f32_e32 v0, v9, v7
	v_add_f32_e32 v7, v10, v8
	;; [unrolled: 1-line block ×6, first 2 shown]
	ds_write_b64 v13, v[5:6]
.LBB87_16:                              ;   in Loop: Header=BB87_6 Depth=1
	s_or_b64 exec, exec, s[8:9]
	s_waitcnt lgkmcnt(0)
	s_barrier
	s_and_saveexec_b64 s[8:9], s[6:7]
	s_cbranch_execz .LBB87_18
; %bb.17:                               ;   in Loop: Header=BB87_6 Depth=1
	ds_read_b128 v[5:8], v16 offset:16
	ds_read_b64 v[9:10], v16 offset:8
	ds_read_b64 v[11:12], v13
	s_waitcnt lgkmcnt(1)
	v_add_f32_e32 v0, v5, v9
	v_add_f32_e32 v5, v6, v10
	;; [unrolled: 1-line block ×4, first 2 shown]
	s_waitcnt lgkmcnt(0)
	v_add_f32_e32 v5, v0, v11
	v_add_f32_e32 v6, v6, v12
	ds_write_b64 v13, v[5:6]
.LBB87_18:                              ;   in Loop: Header=BB87_6 Depth=1
	s_or_b64 exec, exec, s[8:9]
	s_waitcnt lgkmcnt(0)
	s_barrier
	s_and_saveexec_b64 s[8:9], s[6:7]
	s_cbranch_execz .LBB87_5
; %bb.19:                               ;   in Loop: Header=BB87_6 Depth=1
	ds_read_b64 v[5:6], v16
	s_mov_b64 s[30:31], exec
	v_bfrev_b32_e32 v0, 1
	s_waitcnt lgkmcnt(0)
	v_mul_f32_e64 v7, v6, -v2
	v_fmac_f32_e32 v7, v1, v5
.LBB87_20:                              ;   Parent Loop BB87_6 Depth=1
                                        ; =>  This Inner Loop Header: Depth=2
	s_ff1_i32_b64 s33, s[30:31]
	s_lshl_b64 s[34:35], 1, s33
	v_readlane_b32 s36, v7, s33
	s_andn2_b64 s[30:31], s[30:31], s[34:35]
	s_cmp_lg_u64 s[30:31], 0
	v_add_f32_e32 v0, s36, v0
	s_cbranch_scc1 .LBB87_20
; %bb.21:                               ;   in Loop: Header=BB87_6 Depth=1
	v_mbcnt_lo_u32_b32 v7, exec_lo, 0
	s_add_u32 s28, s24, s28
	v_mbcnt_hi_u32_b32 v7, exec_hi, v7
	s_addc_u32 s29, s25, s29
	v_cmp_eq_u32_e32 vcc, 0, v7
	s_and_saveexec_b64 s[30:31], vcc
	s_xor_b64 s[30:31], exec, s[30:31]
	s_cbranch_execz .LBB87_25
; %bb.22:                               ;   in Loop: Header=BB87_6 Depth=1
	global_load_dword v8, v16, s[28:29]
	s_mov_b64 s[34:35], 0
.LBB87_23:                              ;   Parent Loop BB87_6 Depth=1
                                        ; =>  This Inner Loop Header: Depth=2
	s_waitcnt vmcnt(0)
	v_add_f32_e32 v7, v8, v0
	global_atomic_cmpswap v7, v16, v[7:8], s[28:29] glc
	s_waitcnt vmcnt(0)
	v_cmp_eq_u32_e32 vcc, v7, v8
	s_or_b64 s[34:35], vcc, s[34:35]
	v_mov_b32_e32 v8, v7
	s_andn2_b64 exec, exec, s[34:35]
	s_cbranch_execnz .LBB87_23
; %bb.24:                               ;   in Loop: Header=BB87_6 Depth=1
	s_or_b64 exec, exec, s[34:35]
.LBB87_25:                              ;   in Loop: Header=BB87_6 Depth=1
	s_or_b64 exec, exec, s[30:31]
	v_mul_f32_e32 v6, v1, v6
	s_mov_b64 s[30:31], exec
	v_fmac_f32_e32 v6, v2, v5
	v_bfrev_b32_e32 v0, 1
.LBB87_26:                              ;   Parent Loop BB87_6 Depth=1
                                        ; =>  This Inner Loop Header: Depth=2
	s_ff1_i32_b64 s33, s[30:31]
	s_lshl_b64 s[34:35], 1, s33
	v_readlane_b32 s36, v6, s33
	s_andn2_b64 s[30:31], s[30:31], s[34:35]
	s_cmp_lg_u64 s[30:31], 0
	v_add_f32_e32 v0, s36, v0
	s_cbranch_scc1 .LBB87_26
; %bb.27:                               ;   in Loop: Header=BB87_6 Depth=1
	v_mbcnt_lo_u32_b32 v5, exec_lo, 0
	v_mbcnt_hi_u32_b32 v5, exec_hi, v5
	v_cmp_eq_u32_e32 vcc, 0, v5
	s_and_saveexec_b64 s[30:31], vcc
	s_xor_b64 s[30:31], exec, s[30:31]
	s_cbranch_execz .LBB87_5
; %bb.28:                               ;   in Loop: Header=BB87_6 Depth=1
	global_load_dword v6, v16, s[28:29] offset:4
	s_mov_b64 s[30:31], 0
.LBB87_29:                              ;   Parent Loop BB87_6 Depth=1
                                        ; =>  This Inner Loop Header: Depth=2
	s_waitcnt vmcnt(0)
	v_add_f32_e32 v5, v6, v0
	global_atomic_cmpswap v5, v16, v[5:6], s[28:29] offset:4 glc
	s_waitcnt vmcnt(0)
	v_cmp_eq_u32_e32 vcc, v5, v6
	s_or_b64 s[30:31], vcc, s[30:31]
	v_mov_b32_e32 v6, v5
	s_andn2_b64 exec, exec, s[30:31]
	s_cbranch_execnz .LBB87_29
; %bb.30:                               ;   in Loop: Header=BB87_6 Depth=1
	s_or_b64 exec, exec, s[30:31]
	s_branch .LBB87_5
.LBB87_31:
	s_lshl_b64 s[0:1], s[20:21], 3
	s_add_u32 s0, s12, s0
	s_addc_u32 s1, s13, s1
	s_lshl_b64 s[2:3], s[22:23], 3
	s_add_u32 s2, s12, s2
	s_addc_u32 s3, s13, s3
	s_load_dwordx2 s[6:7], s[0:1], 0x0
	s_load_dwordx2 s[4:5], s[2:3], 0x0
	s_waitcnt lgkmcnt(0)
	v_mov_b32_e32 v0, s7
	s_sub_u32 s4, s4, s10
	v_add_co_u32_e32 v3, vcc, s6, v14
	s_subb_u32 s5, s5, 0
	v_addc_co_u32_e32 v4, vcc, v0, v15, vcc
	v_cmp_gt_i64_e32 vcc, s[4:5], v[3:4]
	s_and_b64 exec, exec, vcc
	s_cbranch_execz .LBB87_43
; %bb.32:
	s_add_u32 s6, s22, -1
	s_addc_u32 s7, s23, -1
	v_mov_b32_e32 v5, s6
	s_add_u32 s0, s22, -2
	v_mov_b32_e32 v6, s7
	s_addc_u32 s1, s23, -1
	v_cmp_lt_i64_e32 vcc, s[20:21], v[5:6]
	s_cmp_lg_u64 s[20:21], s[0:1]
	s_cselect_b64 s[0:1], -1, 0
	s_and_b64 s[0:1], vcc, s[0:1]
	v_cndmask_b32_e64 v5, 0, 1, s[0:1]
	v_mul_f32_e32 v0, 0x80000000, v2
	v_mul_f32_e32 v13, 0, v1
	s_mov_b64 s[8:9], 0
	v_cmp_ne_u32_e64 s[0:1], 1, v5
	v_mov_b32_e32 v14, s13
	v_mov_b32_e32 v15, s15
	s_branch .LBB87_34
.LBB87_33:                              ;   in Loop: Header=BB87_34 Depth=1
	s_or_b64 exec, exec, s[2:3]
	v_add_co_u32_e32 v3, vcc, 0x100, v3
	v_addc_co_u32_e32 v4, vcc, 0, v4, vcc
	v_cmp_le_i64_e32 vcc, s[4:5], v[3:4]
	s_or_b64 s[8:9], vcc, s[8:9]
	s_andn2_b64 exec, exec, s[8:9]
	s_cbranch_execz .LBB87_43
.LBB87_34:                              ; =>This Loop Header: Depth=1
                                        ;     Child Loop BB87_36 Depth 2
                                        ;     Child Loop BB87_40 Depth 2
	;; [unrolled: 1-line block ×3, first 2 shown]
	v_mov_b32_e32 v5, s20
	v_mov_b32_e32 v8, s7
	s_and_b64 vcc, exec, s[0:1]
	v_mov_b32_e32 v6, s21
	v_mov_b32_e32 v7, s6
	s_cbranch_vccnz .LBB87_38
; %bb.35:                               ;   in Loop: Header=BB87_34 Depth=1
	v_mov_b32_e32 v5, s20
	v_mov_b32_e32 v8, s7
	s_mov_b64 s[22:23], 0
	v_mov_b32_e32 v6, s21
	v_mov_b32_e32 v7, s6
.LBB87_36:                              ;   Parent Loop BB87_34 Depth=1
                                        ; =>  This Inner Loop Header: Depth=2
	v_add_co_u32_e32 v9, vcc, v7, v5
	v_addc_co_u32_e32 v10, vcc, v8, v6, vcc
	v_lshrrev_b32_e32 v11, 31, v10
	v_add_co_u32_e32 v9, vcc, v9, v11
	v_addc_co_u32_e32 v10, vcc, 0, v10, vcc
	v_ashrrev_i64 v[9:10], 1, v[9:10]
	v_mov_b32_e32 v16, s13
	v_lshlrev_b64 v[11:12], 3, v[9:10]
	v_add_co_u32_e32 v11, vcc, s12, v11
	v_addc_co_u32_e32 v12, vcc, v16, v12, vcc
	global_load_dwordx2 v[11:12], v[11:12], off
	s_waitcnt vmcnt(0)
	v_subrev_co_u32_e32 v11, vcc, s10, v11
	v_subbrev_co_u32_e32 v12, vcc, 0, v12, vcc
	v_cmp_lt_i64_e32 vcc, v[3:4], v[11:12]
	v_cndmask_b32_e32 v7, v7, v9, vcc
	v_cndmask_b32_e32 v8, v8, v10, vcc
	;; [unrolled: 1-line block ×3, first 2 shown]
	v_add_co_u32_e64 v9, s[2:3], -1, v7
	v_cndmask_b32_e32 v6, v10, v6, vcc
	v_addc_co_u32_e64 v10, s[2:3], -1, v8, s[2:3]
	v_cmp_ge_i64_e32 vcc, v[5:6], v[7:8]
	v_cmp_eq_u64_e64 s[2:3], v[5:6], v[9:10]
	s_or_b64 s[2:3], vcc, s[2:3]
	s_and_b64 s[2:3], exec, s[2:3]
	s_or_b64 s[22:23], s[2:3], s[22:23]
	s_andn2_b64 exec, exec, s[22:23]
	s_cbranch_execnz .LBB87_36
; %bb.37:                               ;   in Loop: Header=BB87_34 Depth=1
	s_or_b64 exec, exec, s[22:23]
.LBB87_38:                              ;   in Loop: Header=BB87_34 Depth=1
	v_lshlrev_b64 v[9:10], 3, v[7:8]
	v_add_co_u32_e32 v9, vcc, s12, v9
	v_addc_co_u32_e32 v10, vcc, v14, v10, vcc
	global_load_dwordx2 v[11:12], v[9:10], off
	v_lshlrev_b64 v[9:10], 2, v[3:4]
	v_add_co_u32_e32 v16, vcc, s14, v9
	v_addc_co_u32_e32 v17, vcc, v15, v10, vcc
	global_load_dword v18, v[16:17], off
	s_waitcnt vmcnt(1)
	v_subrev_co_u32_e32 v16, vcc, s10, v11
	v_subbrev_co_u32_e32 v17, vcc, 0, v12, vcc
	v_cmp_lt_i64_e32 vcc, v[3:4], v[16:17]
	v_cndmask_b32_e32 v6, v8, v6, vcc
	s_waitcnt vmcnt(0)
	v_subrev_u32_e32 v11, s10, v18
	v_cndmask_b32_e32 v5, v7, v5, vcc
	v_ashrrev_i32_e32 v12, 31, v11
	v_cmp_ne_u64_e32 vcc, v[5:6], v[11:12]
	s_and_saveexec_b64 s[2:3], vcc
	s_cbranch_execz .LBB87_33
; %bb.39:                               ;   in Loop: Header=BB87_34 Depth=1
	v_mov_b32_e32 v8, s17
	v_add_co_u32_e32 v7, vcc, s16, v9
	v_lshlrev_b64 v[5:6], 3, v[5:6]
	v_addc_co_u32_e32 v8, vcc, v8, v10, vcc
	v_lshlrev_b64 v[11:12], 3, v[11:12]
	global_load_dword v9, v[7:8], off
	v_mov_b32_e32 v7, s19
	v_add_co_u32_e32 v5, vcc, s18, v5
	v_addc_co_u32_e32 v6, vcc, v7, v6, vcc
	v_mov_b32_e32 v16, s25
	global_load_dwordx2 v[7:8], v[5:6], off
	v_add_co_u32_e32 v5, vcc, s24, v11
	v_addc_co_u32_e32 v6, vcc, v16, v12, vcc
	global_load_dword v10, v[5:6], off
	s_mov_b64 s[22:23], 0
	s_waitcnt vmcnt(2)
	v_fma_f32 v12, v2, v9, v13
	v_fma_f32 v11, v1, v9, v0
	s_waitcnt vmcnt(1)
	v_mul_f32_e64 v16, v8, -v12
	v_fmac_f32_e32 v16, v11, v7
.LBB87_40:                              ;   Parent Loop BB87_34 Depth=1
                                        ; =>  This Inner Loop Header: Depth=2
	s_waitcnt vmcnt(0)
	v_add_f32_e32 v9, v10, v16
	global_atomic_cmpswap v9, v[5:6], v[9:10], off glc
	s_waitcnt vmcnt(0)
	v_cmp_eq_u32_e32 vcc, v9, v10
	s_or_b64 s[22:23], vcc, s[22:23]
	v_mov_b32_e32 v10, v9
	s_andn2_b64 exec, exec, s[22:23]
	s_cbranch_execnz .LBB87_40
; %bb.41:                               ;   in Loop: Header=BB87_34 Depth=1
	s_or_b64 exec, exec, s[22:23]
	global_load_dword v9, v[5:6], off offset:4
	v_mul_f32_e32 v10, v11, v8
	v_fmac_f32_e32 v10, v12, v7
	s_mov_b64 s[22:23], 0
.LBB87_42:                              ;   Parent Loop BB87_34 Depth=1
                                        ; =>  This Inner Loop Header: Depth=2
	s_waitcnt vmcnt(0)
	v_add_f32_e32 v8, v9, v10
	global_atomic_cmpswap v7, v[5:6], v[8:9], off offset:4 glc
	s_waitcnt vmcnt(0)
	v_cmp_eq_u32_e32 vcc, v7, v9
	s_or_b64 s[22:23], vcc, s[22:23]
	v_mov_b32_e32 v9, v7
	s_andn2_b64 exec, exec, s[22:23]
	s_cbranch_execnz .LBB87_42
	s_branch .LBB87_33
.LBB87_43:
	s_endpgm
	.section	.rodata,"a",@progbits
	.p2align	6, 0x0
	.amdhsa_kernel _ZL33csrmvn_symm_large_adaptive_kernelIlif21rocsparse_complex_numIfES1_S1_EvbT_PKS2_N9rocsparse24const_host_device_scalarIT4_EES4_PKT0_PKT1_PKT2_S8_PT3_21rocsparse_index_base_b
		.amdhsa_group_segment_fixed_size 8192
		.amdhsa_private_segment_fixed_size 0
		.amdhsa_kernarg_size 88
		.amdhsa_user_sgpr_count 6
		.amdhsa_user_sgpr_private_segment_buffer 1
		.amdhsa_user_sgpr_dispatch_ptr 0
		.amdhsa_user_sgpr_queue_ptr 0
		.amdhsa_user_sgpr_kernarg_segment_ptr 1
		.amdhsa_user_sgpr_dispatch_id 0
		.amdhsa_user_sgpr_flat_scratch_init 0
		.amdhsa_user_sgpr_private_segment_size 0
		.amdhsa_uses_dynamic_stack 0
		.amdhsa_system_sgpr_private_segment_wavefront_offset 0
		.amdhsa_system_sgpr_workgroup_id_x 1
		.amdhsa_system_sgpr_workgroup_id_y 0
		.amdhsa_system_sgpr_workgroup_id_z 0
		.amdhsa_system_sgpr_workgroup_info 0
		.amdhsa_system_vgpr_workitem_id 0
		.amdhsa_next_free_vgpr 29
		.amdhsa_next_free_sgpr 61
		.amdhsa_reserve_vcc 1
		.amdhsa_reserve_flat_scratch 0
		.amdhsa_float_round_mode_32 0
		.amdhsa_float_round_mode_16_64 0
		.amdhsa_float_denorm_mode_32 3
		.amdhsa_float_denorm_mode_16_64 3
		.amdhsa_dx10_clamp 1
		.amdhsa_ieee_mode 1
		.amdhsa_fp16_overflow 0
		.amdhsa_exception_fp_ieee_invalid_op 0
		.amdhsa_exception_fp_denorm_src 0
		.amdhsa_exception_fp_ieee_div_zero 0
		.amdhsa_exception_fp_ieee_overflow 0
		.amdhsa_exception_fp_ieee_underflow 0
		.amdhsa_exception_fp_ieee_inexact 0
		.amdhsa_exception_int_div_zero 0
	.end_amdhsa_kernel
	.section	.text._ZL33csrmvn_symm_large_adaptive_kernelIlif21rocsparse_complex_numIfES1_S1_EvbT_PKS2_N9rocsparse24const_host_device_scalarIT4_EES4_PKT0_PKT1_PKT2_S8_PT3_21rocsparse_index_base_b,"axG",@progbits,_ZL33csrmvn_symm_large_adaptive_kernelIlif21rocsparse_complex_numIfES1_S1_EvbT_PKS2_N9rocsparse24const_host_device_scalarIT4_EES4_PKT0_PKT1_PKT2_S8_PT3_21rocsparse_index_base_b,comdat
.Lfunc_end87:
	.size	_ZL33csrmvn_symm_large_adaptive_kernelIlif21rocsparse_complex_numIfES1_S1_EvbT_PKS2_N9rocsparse24const_host_device_scalarIT4_EES4_PKT0_PKT1_PKT2_S8_PT3_21rocsparse_index_base_b, .Lfunc_end87-_ZL33csrmvn_symm_large_adaptive_kernelIlif21rocsparse_complex_numIfES1_S1_EvbT_PKS2_N9rocsparse24const_host_device_scalarIT4_EES4_PKT0_PKT1_PKT2_S8_PT3_21rocsparse_index_base_b
                                        ; -- End function
	.set _ZL33csrmvn_symm_large_adaptive_kernelIlif21rocsparse_complex_numIfES1_S1_EvbT_PKS2_N9rocsparse24const_host_device_scalarIT4_EES4_PKT0_PKT1_PKT2_S8_PT3_21rocsparse_index_base_b.num_vgpr, 21
	.set _ZL33csrmvn_symm_large_adaptive_kernelIlif21rocsparse_complex_numIfES1_S1_EvbT_PKS2_N9rocsparse24const_host_device_scalarIT4_EES4_PKT0_PKT1_PKT2_S8_PT3_21rocsparse_index_base_b.num_agpr, 0
	.set _ZL33csrmvn_symm_large_adaptive_kernelIlif21rocsparse_complex_numIfES1_S1_EvbT_PKS2_N9rocsparse24const_host_device_scalarIT4_EES4_PKT0_PKT1_PKT2_S8_PT3_21rocsparse_index_base_b.numbered_sgpr, 40
	.set _ZL33csrmvn_symm_large_adaptive_kernelIlif21rocsparse_complex_numIfES1_S1_EvbT_PKS2_N9rocsparse24const_host_device_scalarIT4_EES4_PKT0_PKT1_PKT2_S8_PT3_21rocsparse_index_base_b.num_named_barrier, 0
	.set _ZL33csrmvn_symm_large_adaptive_kernelIlif21rocsparse_complex_numIfES1_S1_EvbT_PKS2_N9rocsparse24const_host_device_scalarIT4_EES4_PKT0_PKT1_PKT2_S8_PT3_21rocsparse_index_base_b.private_seg_size, 0
	.set _ZL33csrmvn_symm_large_adaptive_kernelIlif21rocsparse_complex_numIfES1_S1_EvbT_PKS2_N9rocsparse24const_host_device_scalarIT4_EES4_PKT0_PKT1_PKT2_S8_PT3_21rocsparse_index_base_b.uses_vcc, 1
	.set _ZL33csrmvn_symm_large_adaptive_kernelIlif21rocsparse_complex_numIfES1_S1_EvbT_PKS2_N9rocsparse24const_host_device_scalarIT4_EES4_PKT0_PKT1_PKT2_S8_PT3_21rocsparse_index_base_b.uses_flat_scratch, 0
	.set _ZL33csrmvn_symm_large_adaptive_kernelIlif21rocsparse_complex_numIfES1_S1_EvbT_PKS2_N9rocsparse24const_host_device_scalarIT4_EES4_PKT0_PKT1_PKT2_S8_PT3_21rocsparse_index_base_b.has_dyn_sized_stack, 0
	.set _ZL33csrmvn_symm_large_adaptive_kernelIlif21rocsparse_complex_numIfES1_S1_EvbT_PKS2_N9rocsparse24const_host_device_scalarIT4_EES4_PKT0_PKT1_PKT2_S8_PT3_21rocsparse_index_base_b.has_recursion, 0
	.set _ZL33csrmvn_symm_large_adaptive_kernelIlif21rocsparse_complex_numIfES1_S1_EvbT_PKS2_N9rocsparse24const_host_device_scalarIT4_EES4_PKT0_PKT1_PKT2_S8_PT3_21rocsparse_index_base_b.has_indirect_call, 0
	.section	.AMDGPU.csdata,"",@progbits
; Kernel info:
; codeLenInByte = 2024
; TotalNumSgprs: 44
; NumVgprs: 21
; ScratchSize: 0
; MemoryBound: 0
; FloatMode: 240
; IeeeMode: 1
; LDSByteSize: 8192 bytes/workgroup (compile time only)
; SGPRBlocks: 8
; VGPRBlocks: 7
; NumSGPRsForWavesPerEU: 65
; NumVGPRsForWavesPerEU: 29
; Occupancy: 8
; WaveLimiterHint : 1
; COMPUTE_PGM_RSRC2:SCRATCH_EN: 0
; COMPUTE_PGM_RSRC2:USER_SGPR: 6
; COMPUTE_PGM_RSRC2:TRAP_HANDLER: 0
; COMPUTE_PGM_RSRC2:TGID_X_EN: 1
; COMPUTE_PGM_RSRC2:TGID_Y_EN: 0
; COMPUTE_PGM_RSRC2:TGID_Z_EN: 0
; COMPUTE_PGM_RSRC2:TIDIG_COMP_CNT: 0
	.section	.text._ZN9rocsparseL22csrmvn_adaptive_kernelIllf21rocsparse_complex_numIfES2_S2_EEvbT_PKS3_PjPKT0_NS_24const_host_device_scalarIT4_EES5_S9_PKT1_PKT2_SC_PT3_21rocsparse_index_base_b,"axG",@progbits,_ZN9rocsparseL22csrmvn_adaptive_kernelIllf21rocsparse_complex_numIfES2_S2_EEvbT_PKS3_PjPKT0_NS_24const_host_device_scalarIT4_EES5_S9_PKT1_PKT2_SC_PT3_21rocsparse_index_base_b,comdat
	.globl	_ZN9rocsparseL22csrmvn_adaptive_kernelIllf21rocsparse_complex_numIfES2_S2_EEvbT_PKS3_PjPKT0_NS_24const_host_device_scalarIT4_EES5_S9_PKT1_PKT2_SC_PT3_21rocsparse_index_base_b ; -- Begin function _ZN9rocsparseL22csrmvn_adaptive_kernelIllf21rocsparse_complex_numIfES2_S2_EEvbT_PKS3_PjPKT0_NS_24const_host_device_scalarIT4_EES5_S9_PKT1_PKT2_SC_PT3_21rocsparse_index_base_b
	.p2align	8
	.type	_ZN9rocsparseL22csrmvn_adaptive_kernelIllf21rocsparse_complex_numIfES2_S2_EEvbT_PKS3_PjPKT0_NS_24const_host_device_scalarIT4_EES5_S9_PKT1_PKT2_SC_PT3_21rocsparse_index_base_b,@function
_ZN9rocsparseL22csrmvn_adaptive_kernelIllf21rocsparse_complex_numIfES2_S2_EEvbT_PKS3_PjPKT0_NS_24const_host_device_scalarIT4_EES5_S9_PKT1_PKT2_SC_PT3_21rocsparse_index_base_b: ; @_ZN9rocsparseL22csrmvn_adaptive_kernelIllf21rocsparse_complex_numIfES2_S2_EEvbT_PKS3_PjPKT0_NS_24const_host_device_scalarIT4_EES5_S9_PKT1_PKT2_SC_PT3_21rocsparse_index_base_b
; %bb.0:
	s_load_dwordx2 s[0:1], s[4:5], 0x28
	s_load_dwordx2 s[44:45], s[4:5], 0x60
	s_add_u32 s7, s4, 40
	s_addc_u32 s8, s5, 0
	s_add_u32 s9, s4, 0x50
	s_load_dwordx2 s[2:3], s[4:5], 0x50
	s_addc_u32 s10, s5, 0
	s_waitcnt lgkmcnt(0)
	s_bitcmp1_b32 s45, 0
	s_cselect_b32 s1, s8, s1
	s_cselect_b32 s0, s7, s0
	v_mov_b32_e32 v1, s0
	v_mov_b32_e32 v2, s1
	flat_load_dwordx2 v[1:2], v[1:2]
	s_cselect_b32 s0, s10, s3
	s_cselect_b32 s1, s9, s2
	v_mov_b32_e32 v3, s1
	v_mov_b32_e32 v4, s0
	flat_load_dwordx2 v[5:6], v[3:4]
	s_waitcnt vmcnt(0) lgkmcnt(0)
	v_cmp_eq_f32_e32 vcc, 0, v1
	v_cmp_eq_f32_e64 s[0:1], 0, v2
	s_and_b64 s[8:9], vcc, s[0:1]
	s_mov_b64 s[0:1], -1
	s_and_saveexec_b64 s[2:3], s[8:9]
; %bb.1:
	v_cmp_neq_f32_e32 vcc, 1.0, v5
	v_cmp_neq_f32_e64 s[0:1], 0, v6
	s_or_b64 s[0:1], vcc, s[0:1]
	s_orn2_b64 s[0:1], s[0:1], exec
; %bb.2:
	s_or_b64 exec, exec, s[2:3]
	s_and_saveexec_b64 s[2:3], s[0:1]
	s_cbranch_execz .LBB88_116
; %bb.3:
	s_load_dwordx2 s[0:1], s[4:5], 0x10
	s_load_dwordx2 s[2:3], s[4:5], 0x20
	s_ashr_i32 s7, s6, 31
	s_lshl_b64 s[8:9], s[6:7], 3
	s_waitcnt lgkmcnt(0)
	s_add_u32 s0, s0, s8
	s_addc_u32 s1, s1, s9
	s_load_dwordx4 s[36:39], s[0:1], 0x0
	s_load_dwordx2 s[22:23], s[4:5], 0x58
	s_load_dwordx8 s[24:31], s[4:5], 0x30
	s_waitcnt lgkmcnt(0)
	s_sub_u32 s0, s38, s36
	s_subb_u32 s1, s39, s37
	s_add_u32 s2, s2, s8
	s_addc_u32 s3, s3, s9
	s_lshl_b64 s[46:47], s[36:37], 3
	s_add_u32 s42, s24, s46
	s_addc_u32 s43, s25, s47
	s_load_dwordx2 s[34:35], s[2:3], 0x0
	s_load_dwordx2 s[40:41], s[42:43], 0x0
	v_cmp_lt_i64_e64 s[8:9], s[0:1], 2
	s_mov_b64 s[2:3], -1
	s_and_b64 vcc, exec, s[8:9]
	s_cbranch_vccz .LBB88_72
; %bb.4:
	s_cmp_lg_u64 s[0:1], 1
	s_cselect_b64 s[0:1], -1, 0
	s_waitcnt lgkmcnt(0)
	s_cmp_lg_u64 s[34:35], 0
	s_cselect_b64 s[2:3], -1, 0
	s_or_b64 s[0:1], s[0:1], s[2:3]
	s_mov_b64 s[18:19], -1
	s_and_b64 vcc, exec, s[0:1]
	v_cmp_gt_u32_e64 s[0:1], 64, v0
	v_cmp_gt_u32_e64 s[2:3], 32, v0
	;; [unrolled: 1-line block ×6, first 2 shown]
	v_cmp_eq_u32_e64 s[16:17], 0, v0
	s_cbranch_vccnz .LBB88_32
; %bb.5:
	v_subrev_co_u32_e32 v16, vcc, s44, v0
	v_subb_co_u32_e64 v17, s[18:19], 0, 0, vcc
	s_movk_i32 s18, 0x80
	v_cmp_neq_f32_e32 vcc, 0, v5
	v_cmp_neq_f32_e64 s[20:21], 0, v6
	v_mov_b32_e32 v3, s38
	v_mov_b32_e32 v15, 0
	v_mul_f32_e32 v18, 0x80000000, v2
	v_mul_f32_e32 v19, 0, v1
	v_lshlrev_b32_e32 v20, 3, v0
	v_cmp_gt_u32_e64 s[18:19], s18, v0
	s_or_b64 s[48:49], vcc, s[20:21]
	v_mov_b32_e32 v4, s39
	s_movk_i32 s33, 0x100
	s_mov_b64 s[50:51], s[36:37]
	s_branch .LBB88_8
.LBB88_6:                               ;   in Loop: Header=BB88_8 Depth=1
	s_or_b64 exec, exec, s[54:55]
	s_add_u32 s52, s22, s52
	s_addc_u32 s53, s23, s53
	s_waitcnt lgkmcnt(0)
	global_store_dwordx2 v15, v[7:8], s[52:53]
.LBB88_7:                               ;   in Loop: Header=BB88_8 Depth=1
	s_or_b64 exec, exec, s[20:21]
	s_add_u32 s50, s50, 1
	s_addc_u32 s51, s51, 0
	v_cmp_ge_i64_e32 vcc, s[50:51], v[3:4]
	s_cbranch_vccnz .LBB88_31
.LBB88_8:                               ; =>This Loop Header: Depth=1
                                        ;     Child Loop BB88_10 Depth 2
	s_lshl_b64 s[52:53], s[50:51], 3
	s_add_u32 s20, s24, s52
	s_addc_u32 s21, s25, s53
	s_load_dwordx4 s[56:59], s[20:21], 0x0
	v_mov_b32_e32 v10, 0
	v_mov_b32_e32 v9, 0
	s_waitcnt lgkmcnt(0)
	s_sub_u32 s54, s58, s44
	v_mov_b32_e32 v8, s57
	v_add_co_u32_e32 v7, vcc, s56, v16
	s_subb_u32 s55, s59, 0
	v_addc_co_u32_e32 v8, vcc, v8, v17, vcc
	v_cmp_gt_i64_e32 vcc, s[54:55], v[7:8]
	s_and_saveexec_b64 s[56:57], vcc
	s_cbranch_execz .LBB88_12
; %bb.9:                                ;   in Loop: Header=BB88_8 Depth=1
	v_lshlrev_b64 v[9:10], 2, v[7:8]
	v_mov_b32_e32 v12, s29
	v_add_co_u32_e32 v11, vcc, s28, v9
	v_addc_co_u32_e32 v12, vcc, v12, v10, vcc
	v_lshlrev_b64 v[9:10], 3, v[7:8]
	v_mov_b32_e32 v14, s27
	v_add_co_u32_e32 v13, vcc, s26, v9
	v_addc_co_u32_e32 v14, vcc, v14, v10, vcc
	v_mov_b32_e32 v10, 0
	s_mov_b64 s[58:59], 0
	v_mov_b32_e32 v9, v10
.LBB88_10:                              ;   Parent Loop BB88_8 Depth=1
                                        ; =>  This Inner Loop Header: Depth=2
	global_load_dwordx2 v[21:22], v[13:14], off
	global_load_dword v23, v[11:12], off
	v_mov_b32_e32 v24, s31
	s_waitcnt vmcnt(1)
	v_subrev_co_u32_e32 v21, vcc, s44, v21
	v_subbrev_co_u32_e32 v22, vcc, 0, v22, vcc
	v_lshlrev_b64 v[21:22], 3, v[21:22]
	v_add_co_u32_e32 v21, vcc, s30, v21
	v_addc_co_u32_e32 v22, vcc, v24, v22, vcc
	global_load_dwordx2 v[21:22], v[21:22], off
	v_add_co_u32_e32 v7, vcc, s33, v7
	v_addc_co_u32_e32 v8, vcc, 0, v8, vcc
	v_add_co_u32_e32 v11, vcc, 0x400, v11
	v_addc_co_u32_e32 v12, vcc, 0, v12, vcc
	v_cmp_le_i64_e64 s[20:21], s[54:55], v[7:8]
	s_waitcnt vmcnt(1)
	v_fma_f32 v24, v1, v23, v18
	v_fma_f32 v23, v2, v23, v19
	v_add_co_u32_e32 v13, vcc, 0x800, v13
	v_addc_co_u32_e32 v14, vcc, 0, v14, vcc
	s_or_b64 s[58:59], s[20:21], s[58:59]
	s_waitcnt vmcnt(0)
	v_fmac_f32_e32 v9, v24, v21
	v_fmac_f32_e32 v10, v23, v21
	v_fma_f32 v9, -v23, v22, v9
	v_fmac_f32_e32 v10, v24, v22
	s_andn2_b64 exec, exec, s[58:59]
	s_cbranch_execnz .LBB88_10
; %bb.11:                               ;   in Loop: Header=BB88_8 Depth=1
	s_or_b64 exec, exec, s[58:59]
.LBB88_12:                              ;   in Loop: Header=BB88_8 Depth=1
	s_or_b64 exec, exec, s[56:57]
	ds_write_b64 v20, v[9:10]
	s_waitcnt vmcnt(0) lgkmcnt(0)
	s_barrier
	s_and_saveexec_b64 s[20:21], s[18:19]
	s_cbranch_execz .LBB88_14
; %bb.13:                               ;   in Loop: Header=BB88_8 Depth=1
	ds_read2st64_b64 v[7:10], v20 offset1:2
	s_waitcnt lgkmcnt(0)
	v_add_f32_e32 v7, v9, v7
	v_add_f32_e32 v8, v10, v8
	ds_write_b64 v20, v[7:8]
.LBB88_14:                              ;   in Loop: Header=BB88_8 Depth=1
	s_or_b64 exec, exec, s[20:21]
	s_waitcnt lgkmcnt(0)
	s_barrier
	s_and_saveexec_b64 s[20:21], s[0:1]
	s_cbranch_execz .LBB88_16
; %bb.15:                               ;   in Loop: Header=BB88_8 Depth=1
	ds_read2st64_b64 v[7:10], v20 offset1:1
	s_waitcnt lgkmcnt(0)
	v_add_f32_e32 v7, v9, v7
	v_add_f32_e32 v8, v10, v8
	ds_write_b64 v20, v[7:8]
.LBB88_16:                              ;   in Loop: Header=BB88_8 Depth=1
	s_or_b64 exec, exec, s[20:21]
	s_waitcnt lgkmcnt(0)
	s_barrier
	s_and_saveexec_b64 s[20:21], s[2:3]
	s_cbranch_execz .LBB88_18
; %bb.17:                               ;   in Loop: Header=BB88_8 Depth=1
	ds_read2_b64 v[7:10], v20 offset1:32
	s_waitcnt lgkmcnt(0)
	v_add_f32_e32 v7, v9, v7
	v_add_f32_e32 v8, v10, v8
	ds_write_b64 v20, v[7:8]
.LBB88_18:                              ;   in Loop: Header=BB88_8 Depth=1
	s_or_b64 exec, exec, s[20:21]
	s_waitcnt lgkmcnt(0)
	s_barrier
	s_and_saveexec_b64 s[20:21], s[8:9]
	s_cbranch_execz .LBB88_20
; %bb.19:                               ;   in Loop: Header=BB88_8 Depth=1
	ds_read2_b64 v[7:10], v20 offset1:16
	s_waitcnt lgkmcnt(0)
	v_add_f32_e32 v7, v9, v7
	v_add_f32_e32 v8, v10, v8
	ds_write_b64 v20, v[7:8]
.LBB88_20:                              ;   in Loop: Header=BB88_8 Depth=1
	;; [unrolled: 12-line block ×6, first 2 shown]
	s_or_b64 exec, exec, s[20:21]
	s_waitcnt lgkmcnt(0)
	s_barrier
	s_and_saveexec_b64 s[20:21], s[16:17]
	s_cbranch_execz .LBB88_7
; %bb.29:                               ;   in Loop: Header=BB88_8 Depth=1
	ds_read_b64 v[7:8], v15
	s_and_saveexec_b64 s[54:55], s[48:49]
	s_cbranch_execz .LBB88_6
; %bb.30:                               ;   in Loop: Header=BB88_8 Depth=1
	s_add_u32 s56, s22, s52
	s_addc_u32 s57, s23, s53
	global_load_dwordx2 v[9:10], v15, s[56:57]
	s_waitcnt vmcnt(0) lgkmcnt(0)
	v_fma_f32 v7, v5, v9, v7
	v_fmac_f32_e32 v8, v6, v9
	v_fma_f32 v7, -v6, v10, v7
	v_fmac_f32_e32 v8, v5, v10
	s_branch .LBB88_6
.LBB88_31:
	s_mov_b64 s[18:19], 0
.LBB88_32:
	s_and_b64 vcc, exec, s[18:19]
	s_cbranch_vccz .LBB88_71
; %bb.33:
	s_load_dwordx2 s[8:9], s[4:5], 0x18
	s_sub_u32 s10, s6, s34
	s_subb_u32 s11, s7, s35
	s_lshl_b64 s[0:1], s[6:7], 2
	v_mov_b32_e32 v3, 0
	s_waitcnt lgkmcnt(0)
	s_add_u32 s6, s8, s0
	s_addc_u32 s7, s9, s1
	global_load_dword v13, v3, s[6:7]
	s_cmp_lg_u64 s[34:35], 0
	s_cselect_b64 s[12:13], -1, 0
	s_cmp_eq_u64 s[34:35], 0
	s_cselect_b64 s[2:3], -1, 0
	v_cmp_eq_u32_e64 s[0:1], 0, v0
	s_and_b64 s[14:15], s[0:1], s[2:3]
	v_mov_b32_e32 v4, 0
	s_and_saveexec_b64 s[2:3], s[14:15]
	s_cbranch_execz .LBB88_37
; %bb.34:
	s_add_u32 s16, s22, s46
	s_addc_u32 s17, s23, s47
	v_mov_b32_e32 v10, 0
	global_load_dwordx2 v[7:8], v10, s[16:17]
	s_mov_b64 s[14:15], exec
	v_mbcnt_lo_u32_b32 v3, s14, 0
	v_add_f32_e32 v9, -1.0, v5
	v_mbcnt_hi_u32_b32 v11, s15, v3
	v_cmp_eq_u32_e32 vcc, 0, v11
	s_waitcnt vmcnt(0) expcnt(0) lgkmcnt(0)
	v_mul_f32_e64 v3, v8, -v6
	v_mul_f32_e32 v4, v9, v8
	s_and_saveexec_b64 s[16:17], vcc
	s_cbranch_execz .LBB88_36
; %bb.35:
	s_lshl_b64 s[18:19], s[10:11], 2
	s_add_u32 s18, s8, s18
	s_addc_u32 s19, s9, s19
	s_bcnt1_i32_b64 s14, s[14:15]
	s_and_b32 s14, s14, 1
	v_mov_b32_e32 v8, s14
	global_atomic_xor v10, v8, s[18:19]
.LBB88_36:
	s_or_b64 exec, exec, s[16:17]
	v_fmac_f32_e32 v3, v9, v7
	v_fmac_f32_e32 v4, v6, v7
.LBB88_37:
	s_or_b64 exec, exec, s[2:3]
	s_mul_i32 s2, s35, 0xc00
	s_mul_hi_u32 s3, s34, 0xc00
	s_add_i32 s14, s3, s2
	s_load_dwordx2 s[2:3], s[42:43], 0x8
	s_sub_u32 s16, s40, s44
	s_mul_i32 s15, s34, 0xc00
	s_subb_u32 s17, s41, 0
	s_add_u32 s16, s16, s15
	s_addc_u32 s17, s17, s14
	s_waitcnt lgkmcnt(0)
	s_sub_u32 s2, s2, s44
	v_mov_b32_e32 v8, s17
	v_add_co_u32_e32 v7, vcc, s16, v0
	s_subb_u32 s3, s3, 0
	v_addc_co_u32_e32 v8, vcc, 0, v8, vcc
	v_cmp_gt_i64_e32 vcc, s[2:3], v[7:8]
	s_and_saveexec_b64 s[14:15], vcc
	s_cbranch_execz .LBB88_41
; %bb.38:
	s_add_u32 s16, s16, 0xc00
	v_mov_b32_e32 v10, s3
	s_addc_u32 s17, s17, 0
	v_mov_b32_e32 v9, s2
	v_cmp_lt_i64_e32 vcc, s[16:17], v[9:10]
	v_lshlrev_b64 v[9:10], 2, v[7:8]
	s_and_b64 s[18:19], vcc, exec
	v_mov_b32_e32 v11, s29
	v_add_co_u32_e32 v9, vcc, s28, v9
	v_addc_co_u32_e32 v10, vcc, v11, v10, vcc
	v_lshlrev_b64 v[11:12], 3, v[7:8]
	v_mov_b32_e32 v16, s27
	v_add_co_u32_e32 v11, vcc, s26, v11
	s_cselect_b32 s17, s17, s3
	s_cselect_b32 s16, s16, s2
	v_mul_f32_e32 v14, 0x80000000, v2
	v_mul_f32_e32 v15, 0, v1
	v_addc_co_u32_e32 v12, vcc, v16, v12, vcc
	s_mov_b64 s[18:19], 0
	v_mov_b32_e32 v16, s31
	s_movk_i32 s20, 0x100
.LBB88_39:                              ; =>This Inner Loop Header: Depth=1
	global_load_dwordx2 v[17:18], v[11:12], off
	global_load_dword v19, v[9:10], off
	s_waitcnt vmcnt(1)
	v_subrev_co_u32_e32 v17, vcc, s44, v17
	v_subbrev_co_u32_e32 v18, vcc, 0, v18, vcc
	v_lshlrev_b64 v[17:18], 3, v[17:18]
	s_waitcnt vmcnt(0)
	v_fma_f32 v20, v1, v19, v14
	v_add_co_u32_e32 v17, vcc, s30, v17
	v_addc_co_u32_e32 v18, vcc, v16, v18, vcc
	global_load_dwordx2 v[17:18], v[17:18], off
	v_add_co_u32_e32 v7, vcc, s20, v7
	v_addc_co_u32_e32 v8, vcc, 0, v8, vcc
	v_add_co_u32_e32 v9, vcc, 0x400, v9
	v_addc_co_u32_e32 v10, vcc, 0, v10, vcc
	v_cmp_le_i64_e64 s[2:3], s[16:17], v[7:8]
	v_fma_f32 v19, v2, v19, v15
	v_add_co_u32_e32 v11, vcc, 0x800, v11
	v_addc_co_u32_e32 v12, vcc, 0, v12, vcc
	s_or_b64 s[18:19], s[2:3], s[18:19]
	s_waitcnt vmcnt(0)
	v_fmac_f32_e32 v3, v20, v17
	v_fmac_f32_e32 v4, v19, v17
	v_fma_f32 v3, -v19, v18, v3
	v_fmac_f32_e32 v4, v20, v18
	s_andn2_b64 exec, exec, s[18:19]
	s_cbranch_execnz .LBB88_39
; %bb.40:
	s_or_b64 exec, exec, s[18:19]
.LBB88_41:
	s_or_b64 exec, exec, s[14:15]
	s_movk_i32 s2, 0x80
	v_lshlrev_b32_e32 v7, 3, v0
	v_cmp_gt_u32_e32 vcc, s2, v0
	ds_write_b64 v7, v[3:4]
	s_waitcnt vmcnt(0) lgkmcnt(0)
	s_barrier
	s_and_saveexec_b64 s[2:3], vcc
	s_cbranch_execz .LBB88_43
; %bb.42:
	ds_read2st64_b64 v[8:11], v7 offset1:2
	s_waitcnt lgkmcnt(0)
	v_add_f32_e32 v3, v10, v8
	v_add_f32_e32 v4, v11, v9
	ds_write_b64 v7, v[3:4]
.LBB88_43:
	s_or_b64 exec, exec, s[2:3]
	v_cmp_gt_u32_e32 vcc, 64, v0
	s_waitcnt lgkmcnt(0)
	s_barrier
	s_and_saveexec_b64 s[2:3], vcc
	s_cbranch_execz .LBB88_45
; %bb.44:
	ds_read2st64_b64 v[8:11], v7 offset1:1
	s_waitcnt lgkmcnt(0)
	v_add_f32_e32 v3, v10, v8
	v_add_f32_e32 v4, v11, v9
	ds_write_b64 v7, v[3:4]
.LBB88_45:
	s_or_b64 exec, exec, s[2:3]
	v_cmp_gt_u32_e32 vcc, 32, v0
	s_waitcnt lgkmcnt(0)
	s_barrier
	s_and_saveexec_b64 s[2:3], vcc
	s_cbranch_execz .LBB88_47
; %bb.46:
	ds_read2_b64 v[8:11], v7 offset1:32
	s_waitcnt lgkmcnt(0)
	v_add_f32_e32 v3, v10, v8
	v_add_f32_e32 v4, v11, v9
	ds_write_b64 v7, v[3:4]
.LBB88_47:
	s_or_b64 exec, exec, s[2:3]
	v_cmp_gt_u32_e32 vcc, 16, v0
	s_waitcnt lgkmcnt(0)
	s_barrier
	s_and_saveexec_b64 s[2:3], vcc
	s_cbranch_execz .LBB88_49
; %bb.48:
	ds_read2_b64 v[8:11], v7 offset1:16
	s_waitcnt lgkmcnt(0)
	v_add_f32_e32 v3, v10, v8
	v_add_f32_e32 v4, v11, v9
	ds_write_b64 v7, v[3:4]
.LBB88_49:
	;; [unrolled: 13-line block ×5, first 2 shown]
	s_or_b64 exec, exec, s[2:3]
	s_waitcnt lgkmcnt(0)
	s_barrier
	s_and_saveexec_b64 s[2:3], s[0:1]
	s_cbranch_execz .LBB88_57
; %bb.56:
	v_mov_b32_e32 v11, 0
	ds_read2_b64 v[7:10], v11 offset1:1
	s_waitcnt lgkmcnt(0)
	v_add_f32_e32 v3, v9, v7
	v_add_f32_e32 v4, v10, v8
	ds_write_b64 v11, v[3:4]
.LBB88_57:
	s_or_b64 exec, exec, s[2:3]
	s_waitcnt lgkmcnt(0)
	s_barrier
	s_and_saveexec_b64 s[2:3], s[0:1]
	s_cbranch_execz .LBB88_70
; %bb.58:
	s_andn2_b64 vcc, exec, s[12:13]
	s_cbranch_vccnz .LBB88_64
; %bb.59:
	s_lshl_b64 s[0:1], s[10:11], 2
	s_add_u32 s0, s8, s0
	s_addc_u32 s1, s9, s1
	v_mov_b32_e32 v3, 0
	s_branch .LBB88_61
.LBB88_60:                              ;   in Loop: Header=BB88_61 Depth=1
	s_or_b64 exec, exec, s[8:9]
	s_waitcnt vmcnt(0)
	v_readfirstlane_b32 s8, v4
	v_cmp_eq_u32_e32 vcc, s8, v13
	s_cbranch_vccz .LBB88_63
.LBB88_61:                              ; =>This Inner Loop Header: Depth=1
	v_mbcnt_lo_u32_b32 v4, exec_lo, 0
	v_mbcnt_hi_u32_b32 v4, exec_hi, v4
	v_cmp_eq_u32_e32 vcc, 0, v4
                                        ; implicit-def: $vgpr4
	s_and_saveexec_b64 s[8:9], vcc
	s_cbranch_execz .LBB88_60
; %bb.62:                               ;   in Loop: Header=BB88_61 Depth=1
	global_load_dword v4, v3, s[0:1] glc
	s_branch .LBB88_60
.LBB88_63:
	v_mov_b32_e32 v3, 0
	global_load_ushort v4, v3, s[6:7]
	s_waitcnt vmcnt(0)
	v_xor_b32_e32 v4, 1, v4
	global_store_short v3, v4, s[6:7]
.LBB88_64:
	v_mov_b32_e32 v9, 0
	ds_read_b64 v[3:4], v9
	s_mov_b64 s[8:9], exec
	v_mbcnt_lo_u32_b32 v7, s8, 0
	s_add_u32 s0, s22, s46
	v_mbcnt_hi_u32_b32 v7, s9, v7
	s_addc_u32 s1, s23, s47
	v_cmp_eq_u32_e32 vcc, 0, v7
	s_and_saveexec_b64 s[6:7], vcc
	s_cbranch_execz .LBB88_67
; %bb.65:
	global_load_dword v8, v9, s[0:1]
	s_bcnt1_i32_b64 s8, s[8:9]
	v_cvt_f32_ubyte0_e32 v7, s8
	s_waitcnt lgkmcnt(0)
	v_mul_f32_e32 v3, v3, v7
	s_mov_b64 s[8:9], 0
.LBB88_66:                              ; =>This Inner Loop Header: Depth=1
	s_waitcnt vmcnt(0)
	v_add_f32_e32 v7, v8, v3
	global_atomic_cmpswap v7, v9, v[7:8], s[0:1] glc
	s_waitcnt vmcnt(0)
	v_cmp_eq_u32_e32 vcc, v7, v8
	s_or_b64 s[8:9], vcc, s[8:9]
	v_mov_b32_e32 v8, v7
	s_andn2_b64 exec, exec, s[8:9]
	s_cbranch_execnz .LBB88_66
.LBB88_67:
	s_or_b64 exec, exec, s[6:7]
	s_mov_b64 s[6:7], exec
	s_waitcnt lgkmcnt(0)
	v_mbcnt_lo_u32_b32 v3, s6, 0
	v_mbcnt_hi_u32_b32 v3, s7, v3
	v_cmp_eq_u32_e32 vcc, 0, v3
	s_and_b64 s[8:9], exec, vcc
	s_mov_b64 exec, s[8:9]
	s_cbranch_execz .LBB88_70
; %bb.68:
	v_mov_b32_e32 v3, 0
	global_load_dword v8, v3, s[0:1] offset:4
	s_bcnt1_i32_b64 s6, s[6:7]
	v_cvt_f32_ubyte0_e32 v7, s6
	v_mul_f32_e32 v4, v4, v7
	s_mov_b64 s[6:7], 0
.LBB88_69:                              ; =>This Inner Loop Header: Depth=1
	s_waitcnt vmcnt(0)
	v_add_f32_e32 v7, v8, v4
	global_atomic_cmpswap v7, v3, v[7:8], s[0:1] offset:4 glc
	s_waitcnt vmcnt(0)
	v_cmp_eq_u32_e32 vcc, v7, v8
	s_or_b64 s[6:7], vcc, s[6:7]
	v_mov_b32_e32 v8, v7
	s_andn2_b64 exec, exec, s[6:7]
	s_cbranch_execnz .LBB88_69
.LBB88_70:
	s_or_b64 exec, exec, s[2:3]
.LBB88_71:
	s_mov_b64 s[2:3], 0
.LBB88_72:
	s_andn2_b64 vcc, exec, s[2:3]
	s_cbranch_vccnz .LBB88_116
; %bb.73:
	s_load_dwordx2 s[0:1], s[4:5], 0x8
	v_subrev_co_u32_e32 v3, vcc, s44, v0
	v_subb_co_u32_e64 v4, s[2:3], 0, 0, vcc
	s_waitcnt lgkmcnt(0)
	v_mov_b32_e32 v7, s41
	v_add_co_u32_e32 v3, vcc, s40, v3
	v_addc_co_u32_e32 v4, vcc, v7, v4, vcc
	v_add_co_u32_e32 v7, vcc, 0x300, v3
	v_addc_co_u32_e32 v8, vcc, 0, v4, vcc
	v_cmp_le_i64_e32 vcc, s[0:1], v[7:8]
	s_and_saveexec_b64 s[0:1], vcc
	s_xor_b64 s[2:3], exec, s[0:1]
	s_cbranch_execz .LBB88_78
; %bb.74:
	s_lshl_b64 s[0:1], s[38:39], 3
	s_add_u32 s0, s24, s0
	s_addc_u32 s1, s25, s1
	s_load_dwordx2 s[0:1], s[0:1], 0x0
	s_waitcnt lgkmcnt(0)
	s_sub_u32 s4, s0, s44
	s_subb_u32 s5, s1, 0
	v_cmp_gt_i64_e32 vcc, s[4:5], v[3:4]
	s_and_saveexec_b64 s[6:7], vcc
	s_cbranch_execz .LBB88_77
; %bb.75:
	v_lshlrev_b64 v[7:8], 2, v[3:4]
	v_mov_b32_e32 v9, s29
	v_add_co_u32_e32 v7, vcc, s28, v7
	v_addc_co_u32_e32 v8, vcc, v9, v8, vcc
	v_lshlrev_b64 v[9:10], 3, v[3:4]
	v_mov_b32_e32 v14, s27
	v_add_co_u32_e32 v9, vcc, s26, v9
	v_lshlrev_b32_e32 v11, 3, v0
	v_mul_f32_e32 v12, 0x80000000, v2
	v_mul_f32_e32 v13, 0, v1
	v_addc_co_u32_e32 v10, vcc, v14, v10, vcc
	s_mov_b64 s[8:9], 0
	v_mov_b32_e32 v14, s31
	s_movk_i32 s10, 0x100
.LBB88_76:                              ; =>This Inner Loop Header: Depth=1
	global_load_dwordx2 v[15:16], v[9:10], off
	global_load_dword v17, v[7:8], off
	s_waitcnt vmcnt(1)
	v_subrev_co_u32_e32 v15, vcc, s44, v15
	v_subbrev_co_u32_e32 v16, vcc, 0, v16, vcc
	v_lshlrev_b64 v[15:16], 3, v[15:16]
	s_waitcnt vmcnt(0)
	v_fma_f32 v19, v1, v17, v12
	v_add_co_u32_e32 v15, vcc, s30, v15
	v_addc_co_u32_e32 v16, vcc, v14, v16, vcc
	global_load_dwordx2 v[15:16], v[15:16], off
	v_add_co_u32_e32 v3, vcc, s10, v3
	v_addc_co_u32_e32 v4, vcc, 0, v4, vcc
	v_add_co_u32_e32 v7, vcc, 0x400, v7
	v_fma_f32 v20, v2, v17, v13
	v_addc_co_u32_e32 v8, vcc, 0, v8, vcc
	v_cmp_le_i64_e64 s[0:1], s[4:5], v[3:4]
	v_add_co_u32_e32 v9, vcc, 0x800, v9
	v_addc_co_u32_e32 v10, vcc, 0, v10, vcc
	s_or_b64 s[8:9], s[0:1], s[8:9]
	s_waitcnt vmcnt(0)
	v_mul_f32_e64 v17, v16, -v20
	v_mul_f32_e32 v18, v19, v16
	v_fmac_f32_e32 v17, v19, v15
	v_fmac_f32_e32 v18, v20, v15
	ds_write_b64 v11, v[17:18]
	v_add_u32_e32 v11, 0x800, v11
	s_andn2_b64 exec, exec, s[8:9]
	s_cbranch_execnz .LBB88_76
.LBB88_77:
	s_or_b64 exec, exec, s[6:7]
                                        ; implicit-def: $vgpr1_vgpr2
                                        ; implicit-def: $vgpr3_vgpr4
.LBB88_78:
	s_or_saveexec_b64 s[0:1], s[2:3]
	v_lshlrev_b32_e32 v15, 3, v0
	s_xor_b64 exec, exec, s[0:1]
	s_cbranch_execz .LBB88_80
; %bb.79:
	v_lshlrev_b64 v[7:8], 3, v[3:4]
	v_mov_b32_e32 v9, s27
	v_add_co_u32_e32 v7, vcc, s26, v7
	v_addc_co_u32_e32 v8, vcc, v9, v8, vcc
	global_load_dwordx2 v[9:10], v[7:8], off
	global_load_dwordx2 v[11:12], v[7:8], off offset:2048
	s_movk_i32 s2, 0x1000
	v_add_co_u32_e32 v7, vcc, s2, v7
	v_addc_co_u32_e32 v8, vcc, 0, v8, vcc
	global_load_dwordx2 v[13:14], v[7:8], off
	global_load_dwordx2 v[16:17], v[7:8], off offset:2048
	v_lshlrev_b64 v[3:4], 2, v[3:4]
	v_mov_b32_e32 v7, s29
	v_add_co_u32_e32 v3, vcc, s28, v3
	v_addc_co_u32_e32 v4, vcc, v7, v4, vcc
	global_load_dword v22, v[3:4], off
	global_load_dword v23, v[3:4], off offset:1024
	global_load_dword v24, v[3:4], off offset:2048
	;; [unrolled: 1-line block ×3, first 2 shown]
	v_mov_b32_e32 v18, s31
	v_mov_b32_e32 v19, s31
	;; [unrolled: 1-line block ×4, first 2 shown]
	s_waitcnt vmcnt(7)
	v_subrev_co_u32_e32 v3, vcc, s44, v9
	v_subbrev_co_u32_e32 v4, vcc, 0, v10, vcc
	s_waitcnt vmcnt(6)
	v_subrev_co_u32_e32 v7, vcc, s44, v11
	v_subbrev_co_u32_e32 v8, vcc, 0, v12, vcc
	;; [unrolled: 3-line block ×3, first 2 shown]
	v_lshlrev_b64 v[3:4], 3, v[3:4]
	s_waitcnt vmcnt(4)
	v_subrev_co_u32_e32 v11, vcc, s44, v16
	v_subbrev_co_u32_e32 v12, vcc, 0, v17, vcc
	v_lshlrev_b64 v[7:8], 3, v[7:8]
	v_add_co_u32_e32 v3, vcc, s30, v3
	v_addc_co_u32_e32 v4, vcc, v18, v4, vcc
	v_lshlrev_b64 v[9:10], 3, v[9:10]
	v_add_co_u32_e32 v7, vcc, s30, v7
	v_addc_co_u32_e32 v8, vcc, v19, v8, vcc
	v_lshlrev_b64 v[11:12], 3, v[11:12]
	global_load_dwordx2 v[13:14], v[3:4], off
	global_load_dwordx2 v[16:17], v[7:8], off
	v_add_co_u32_e32 v3, vcc, s30, v9
	v_addc_co_u32_e32 v4, vcc, v20, v10, vcc
	v_add_co_u32_e32 v7, vcc, s30, v11
	v_addc_co_u32_e32 v8, vcc, v21, v12, vcc
	global_load_dwordx2 v[3:4], v[3:4], off
	v_mul_f32_e32 v18, 0x80000000, v2
	global_load_dwordx2 v[7:8], v[7:8], off
	v_mul_f32_e32 v19, 0, v1
	s_waitcnt vmcnt(7)
	v_fma_f32 v11, v1, v22, v18
	v_fma_f32 v12, v2, v22, v19
	s_waitcnt vmcnt(6)
	v_fma_f32 v20, v1, v23, v18
	v_fma_f32 v21, v2, v23, v19
	;; [unrolled: 3-line block ×3, first 2 shown]
	s_waitcnt vmcnt(4)
	v_fmac_f32_e32 v18, v1, v25
	v_fmac_f32_e32 v19, v2, v25
	s_waitcnt vmcnt(3)
	v_mul_f32_e64 v1, v14, -v12
	v_mul_f32_e32 v2, v11, v14
	s_waitcnt vmcnt(2)
	v_mul_f32_e64 v9, v17, -v21
	v_mul_f32_e32 v10, v20, v17
	v_fmac_f32_e32 v1, v11, v13
	v_fmac_f32_e32 v2, v12, v13
	;; [unrolled: 1-line block ×4, first 2 shown]
	ds_write2st64_b64 v15, v[1:2], v[9:10] offset1:4
	s_waitcnt vmcnt(1)
	v_mul_f32_e64 v11, v4, -v23
	v_mul_f32_e32 v12, v22, v4
	s_waitcnt vmcnt(0)
	v_mul_f32_e64 v13, v8, -v19
	v_mul_f32_e32 v14, v18, v8
	v_fmac_f32_e32 v11, v22, v3
	v_fmac_f32_e32 v12, v23, v3
	;; [unrolled: 1-line block ×4, first 2 shown]
	ds_write2st64_b64 v15, v[11:12], v[13:14] offset0:8 offset1:12
.LBB88_80:
	s_or_b64 exec, exec, s[0:1]
	v_cmp_lt_i64_e64 s[2:3], s[34:35], 2
	s_mov_b64 s[0:1], -1
	s_and_b64 vcc, exec, s[2:3]
	s_waitcnt vmcnt(0) lgkmcnt(0)
	s_barrier
	s_cbranch_vccz .LBB88_91
; %bb.81:
	v_mov_b32_e32 v1, s37
	v_add_co_u32_e32 v7, vcc, s36, v0
	v_addc_co_u32_e32 v8, vcc, 0, v1, vcc
	v_cmp_gt_i64_e32 vcc, s[38:39], v[7:8]
	s_and_saveexec_b64 s[2:3], vcc
	s_cbranch_execz .LBB88_90
; %bb.82:
	v_cmp_neq_f32_e32 vcc, 0, v5
	v_cmp_neq_f32_e64 s[0:1], 0, v6
	s_or_b64 s[4:5], vcc, s[0:1]
	s_lshl_b32 s0, s40, 3
	s_sub_i32 s10, 0, s0
	s_mov_b64 s[6:7], 0
	v_mov_b32_e32 v16, s25
	v_mov_b32_e32 v17, s23
	s_branch .LBB88_84
.LBB88_83:                              ;   in Loop: Header=BB88_84 Depth=1
	s_or_b64 exec, exec, s[0:1]
	v_add_co_u32_e32 v7, vcc, 0x100, v7
	v_addc_co_u32_e32 v8, vcc, 0, v8, vcc
	v_cmp_le_i64_e32 vcc, s[38:39], v[7:8]
	v_add_co_u32_e64 v1, s[0:1], s22, v9
	v_addc_co_u32_e64 v2, s[0:1], v17, v10, s[0:1]
	s_or_b64 s[6:7], vcc, s[6:7]
	global_store_dwordx2 v[1:2], v[11:12], off
	s_andn2_b64 exec, exec, s[6:7]
	s_cbranch_execz .LBB88_90
.LBB88_84:                              ; =>This Loop Header: Depth=1
                                        ;     Child Loop BB88_86 Depth 2
	v_lshlrev_b64 v[9:10], 3, v[7:8]
	v_mov_b32_e32 v12, 0
	v_add_co_u32_e32 v1, vcc, s24, v9
	v_addc_co_u32_e32 v2, vcc, v16, v10, vcc
	global_load_dwordx4 v[1:4], v[1:2], off
	v_mov_b32_e32 v11, 0
	s_waitcnt vmcnt(0)
	v_cmp_lt_i64_e32 vcc, v[1:2], v[3:4]
	s_and_saveexec_b64 s[0:1], vcc
	s_cbranch_execz .LBB88_88
; %bb.85:                               ;   in Loop: Header=BB88_84 Depth=1
	v_mov_b32_e32 v11, s41
	v_subrev_co_u32_e32 v3, vcc, s40, v3
	v_subb_co_u32_e32 v4, vcc, v4, v11, vcc
	v_subrev_co_u32_e32 v13, vcc, s40, v1
	v_mov_b32_e32 v12, 0
	v_subb_co_u32_e32 v14, vcc, v2, v11, vcc
	v_lshl_add_u32 v1, v1, 3, s10
	s_mov_b64 s[8:9], 0
	v_mov_b32_e32 v11, v12
.LBB88_86:                              ;   Parent Loop BB88_84 Depth=1
                                        ; =>  This Inner Loop Header: Depth=2
	ds_read_b64 v[18:19], v1
	v_add_co_u32_e32 v13, vcc, 1, v13
	v_addc_co_u32_e32 v14, vcc, 0, v14, vcc
	v_cmp_ge_i64_e32 vcc, v[13:14], v[3:4]
	v_add_u32_e32 v1, 8, v1
	s_or_b64 s[8:9], vcc, s[8:9]
	s_waitcnt lgkmcnt(0)
	v_add_f32_e32 v11, v11, v18
	v_add_f32_e32 v12, v12, v19
	s_andn2_b64 exec, exec, s[8:9]
	s_cbranch_execnz .LBB88_86
; %bb.87:                               ;   in Loop: Header=BB88_84 Depth=1
	s_or_b64 exec, exec, s[8:9]
.LBB88_88:                              ;   in Loop: Header=BB88_84 Depth=1
	s_or_b64 exec, exec, s[0:1]
	s_and_saveexec_b64 s[0:1], s[4:5]
	s_cbranch_execz .LBB88_83
; %bb.89:                               ;   in Loop: Header=BB88_84 Depth=1
	v_mov_b32_e32 v2, s23
	v_add_co_u32_e32 v1, vcc, s22, v9
	v_addc_co_u32_e32 v2, vcc, v2, v10, vcc
	global_load_dwordx2 v[1:2], v[1:2], off
	s_waitcnt vmcnt(0)
	v_fmac_f32_e32 v11, v5, v1
	v_fmac_f32_e32 v12, v6, v1
	v_fma_f32 v11, -v6, v2, v11
	v_fmac_f32_e32 v12, v5, v2
	s_branch .LBB88_83
.LBB88_90:
	s_or_b64 exec, exec, s[2:3]
	s_mov_b64 s[0:1], 0
.LBB88_91:
	s_andn2_b64 vcc, exec, s[0:1]
	s_cbranch_vccnz .LBB88_116
; %bb.92:
	s_flbit_i32_b32 s0, s34
	s_min_u32 s0, s0, 32
	s_sub_i32 s0, 31, s0
	v_lshrrev_b32_e32 v9, s0, v0
	v_mov_b32_e32 v2, s37
	v_add_co_u32_e32 v1, vcc, s36, v9
	v_addc_co_u32_e32 v2, vcc, 0, v2, vcc
	s_add_i32 s0, s34, -1
	v_mov_b32_e32 v4, 0
	v_and_b32_e32 v3, s0, v0
	v_cmp_le_i64_e64 s[0:1], s[38:39], v[1:2]
	v_cmp_gt_i64_e32 vcc, s[38:39], v[1:2]
	v_mov_b32_e32 v7, v4
	v_mov_b32_e32 v8, v4
	s_and_saveexec_b64 s[2:3], vcc
	s_cbranch_execz .LBB88_98
; %bb.93:
	v_lshlrev_b32_e32 v0, 3, v9
	global_load_dwordx4 v[7:10], v0, s[42:43]
	v_mov_b32_e32 v11, s41
	v_subrev_co_u32_e32 v12, vcc, s40, v3
	v_subb_co_u32_e32 v13, vcc, 0, v11, vcc
	v_mov_b32_e32 v0, s41
	s_waitcnt vmcnt(0)
	v_subrev_co_u32_e32 v9, vcc, s40, v9
	v_subb_co_u32_e32 v10, vcc, v10, v0, vcc
	v_add_co_u32_e32 v11, vcc, v7, v12
	v_addc_co_u32_e32 v12, vcc, v8, v13, vcc
	v_cmp_lt_i64_e32 vcc, v[11:12], v[9:10]
	v_mov_b32_e32 v8, 0
	v_mov_b32_e32 v7, 0
	s_and_saveexec_b64 s[4:5], vcc
	s_cbranch_execz .LBB88_97
; %bb.94:
	v_mov_b32_e32 v8, 0
	v_lshlrev_b32_e32 v0, 3, v11
	s_lshl_b32 s8, s34, 3
	s_mov_b64 s[6:7], 0
	v_mov_b32_e32 v13, s35
	v_mov_b32_e32 v7, v8
.LBB88_95:                              ; =>This Inner Loop Header: Depth=1
	ds_read_b64 v[16:17], v0
	v_add_co_u32_e32 v11, vcc, s34, v11
	v_addc_co_u32_e32 v12, vcc, v12, v13, vcc
	v_cmp_ge_i64_e32 vcc, v[11:12], v[9:10]
	v_add_u32_e32 v0, s8, v0
	s_or_b64 s[6:7], vcc, s[6:7]
	s_waitcnt lgkmcnt(0)
	v_add_f32_e32 v7, v7, v16
	v_add_f32_e32 v8, v8, v17
	s_andn2_b64 exec, exec, s[6:7]
	s_cbranch_execnz .LBB88_95
; %bb.96:
	s_or_b64 exec, exec, s[6:7]
.LBB88_97:
	s_or_b64 exec, exec, s[4:5]
.LBB88_98:
	s_or_b64 exec, exec, s[2:3]
	v_mov_b32_e32 v9, 0x81
	v_mov_b32_e32 v10, 0
	v_cmp_lt_u64_e32 vcc, s[34:35], v[9:10]
	s_and_b64 vcc, exec, vcc
	s_waitcnt vmcnt(0)
	s_barrier
	ds_write_b64 v15, v[7:8]
	s_waitcnt lgkmcnt(0)
	s_barrier
	s_cbranch_vccnz .LBB88_100
; %bb.99:
	ds_read_b64 v[9:10], v15 offset:1024
	s_waitcnt lgkmcnt(0)
	s_barrier
	v_add_f32_e32 v7, v7, v9
	v_add_f32_e32 v8, v8, v10
	ds_write_b64 v15, v[7:8]
.LBB88_100:
	v_mov_b32_e32 v9, 0x41
	v_mov_b32_e32 v10, 0
	v_cmp_lt_u64_e32 vcc, s[34:35], v[9:10]
	s_waitcnt lgkmcnt(0)
	s_barrier
	s_cbranch_vccnz .LBB88_102
; %bb.101:
	ds_read_b64 v[9:10], v15 offset:512
	s_waitcnt lgkmcnt(0)
	s_barrier
	v_add_f32_e32 v7, v7, v9
	v_add_f32_e32 v8, v8, v10
	ds_write_b64 v15, v[7:8]
.LBB88_102:
	v_cmp_lt_u64_e64 s[2:3], s[34:35], 33
	s_waitcnt lgkmcnt(0)
	s_and_b64 vcc, exec, s[2:3]
	s_barrier
	s_cbranch_vccnz .LBB88_104
; %bb.103:
	ds_read_b64 v[9:10], v15 offset:256
	s_waitcnt lgkmcnt(0)
	s_barrier
	v_add_f32_e32 v7, v7, v9
	v_add_f32_e32 v8, v8, v10
	ds_write_b64 v15, v[7:8]
.LBB88_104:
	v_cmp_lt_u64_e64 s[2:3], s[34:35], 17
	s_waitcnt lgkmcnt(0)
	s_and_b64 vcc, exec, s[2:3]
	;; [unrolled: 13-line block ×4, first 2 shown]
	s_barrier
	s_cbranch_vccnz .LBB88_110
; %bb.109:
	ds_read_b64 v[9:10], v15 offset:32
	s_waitcnt lgkmcnt(0)
	s_barrier
	v_add_f32_e32 v7, v7, v9
	v_add_f32_e32 v8, v8, v10
	ds_write_b64 v15, v[7:8]
.LBB88_110:
	s_cmp_eq_u64 s[34:35], 2
	s_waitcnt lgkmcnt(0)
	s_barrier
	s_cbranch_scc1 .LBB88_112
; %bb.111:
	ds_read_b64 v[9:10], v15 offset:16
	s_waitcnt lgkmcnt(0)
	s_barrier
	v_add_f32_e32 v7, v7, v9
	v_add_f32_e32 v8, v8, v10
	ds_write_b64 v15, v[7:8]
.LBB88_112:
	s_waitcnt lgkmcnt(0)
	s_barrier
	ds_read_b64 v[9:10], v15 offset:8
	v_cmp_eq_u64_e32 vcc, 0, v[3:4]
	s_xor_b64 s[0:1], s[0:1], -1
	s_and_b64 s[0:1], vcc, s[0:1]
	s_waitcnt lgkmcnt(0)
	v_add_f32_e32 v7, v7, v9
	v_add_f32_e32 v8, v8, v10
	s_barrier
	ds_write_b64 v15, v[7:8]
	s_and_b64 exec, exec, s[0:1]
	s_cbranch_execz .LBB88_116
; %bb.113:
	v_cmp_neq_f32_e32 vcc, 0, v5
	v_cmp_neq_f32_e64 s[0:1], 0, v6
	v_lshlrev_b64 v[0:1], 3, v[1:2]
	s_or_b64 s[2:3], vcc, s[0:1]
	s_and_saveexec_b64 s[0:1], s[2:3]
	s_cbranch_execz .LBB88_115
; %bb.114:
	v_mov_b32_e32 v3, s23
	v_add_co_u32_e32 v2, vcc, s22, v0
	v_addc_co_u32_e32 v3, vcc, v3, v1, vcc
	global_load_dwordx2 v[2:3], v[2:3], off
	s_waitcnt vmcnt(0)
	v_fmac_f32_e32 v7, v5, v2
	v_fmac_f32_e32 v8, v6, v2
	v_fma_f32 v7, -v6, v3, v7
	v_fmac_f32_e32 v8, v5, v3
.LBB88_115:
	s_or_b64 exec, exec, s[0:1]
	v_mov_b32_e32 v2, s23
	v_add_co_u32_e32 v0, vcc, s22, v0
	v_addc_co_u32_e32 v1, vcc, v2, v1, vcc
	global_store_dwordx2 v[0:1], v[7:8], off
.LBB88_116:
	s_endpgm
	.section	.rodata,"a",@progbits
	.p2align	6, 0x0
	.amdhsa_kernel _ZN9rocsparseL22csrmvn_adaptive_kernelIllf21rocsparse_complex_numIfES2_S2_EEvbT_PKS3_PjPKT0_NS_24const_host_device_scalarIT4_EES5_S9_PKT1_PKT2_SC_PT3_21rocsparse_index_base_b
		.amdhsa_group_segment_fixed_size 8192
		.amdhsa_private_segment_fixed_size 0
		.amdhsa_kernarg_size 104
		.amdhsa_user_sgpr_count 6
		.amdhsa_user_sgpr_private_segment_buffer 1
		.amdhsa_user_sgpr_dispatch_ptr 0
		.amdhsa_user_sgpr_queue_ptr 0
		.amdhsa_user_sgpr_kernarg_segment_ptr 1
		.amdhsa_user_sgpr_dispatch_id 0
		.amdhsa_user_sgpr_flat_scratch_init 0
		.amdhsa_user_sgpr_private_segment_size 0
		.amdhsa_uses_dynamic_stack 0
		.amdhsa_system_sgpr_private_segment_wavefront_offset 0
		.amdhsa_system_sgpr_workgroup_id_x 1
		.amdhsa_system_sgpr_workgroup_id_y 0
		.amdhsa_system_sgpr_workgroup_id_z 0
		.amdhsa_system_sgpr_workgroup_info 0
		.amdhsa_system_vgpr_workitem_id 0
		.amdhsa_next_free_vgpr 29
		.amdhsa_next_free_sgpr 61
		.amdhsa_reserve_vcc 1
		.amdhsa_reserve_flat_scratch 0
		.amdhsa_float_round_mode_32 0
		.amdhsa_float_round_mode_16_64 0
		.amdhsa_float_denorm_mode_32 3
		.amdhsa_float_denorm_mode_16_64 3
		.amdhsa_dx10_clamp 1
		.amdhsa_ieee_mode 1
		.amdhsa_fp16_overflow 0
		.amdhsa_exception_fp_ieee_invalid_op 0
		.amdhsa_exception_fp_denorm_src 0
		.amdhsa_exception_fp_ieee_div_zero 0
		.amdhsa_exception_fp_ieee_overflow 0
		.amdhsa_exception_fp_ieee_underflow 0
		.amdhsa_exception_fp_ieee_inexact 0
		.amdhsa_exception_int_div_zero 0
	.end_amdhsa_kernel
	.section	.text._ZN9rocsparseL22csrmvn_adaptive_kernelIllf21rocsparse_complex_numIfES2_S2_EEvbT_PKS3_PjPKT0_NS_24const_host_device_scalarIT4_EES5_S9_PKT1_PKT2_SC_PT3_21rocsparse_index_base_b,"axG",@progbits,_ZN9rocsparseL22csrmvn_adaptive_kernelIllf21rocsparse_complex_numIfES2_S2_EEvbT_PKS3_PjPKT0_NS_24const_host_device_scalarIT4_EES5_S9_PKT1_PKT2_SC_PT3_21rocsparse_index_base_b,comdat
.Lfunc_end88:
	.size	_ZN9rocsparseL22csrmvn_adaptive_kernelIllf21rocsparse_complex_numIfES2_S2_EEvbT_PKS3_PjPKT0_NS_24const_host_device_scalarIT4_EES5_S9_PKT1_PKT2_SC_PT3_21rocsparse_index_base_b, .Lfunc_end88-_ZN9rocsparseL22csrmvn_adaptive_kernelIllf21rocsparse_complex_numIfES2_S2_EEvbT_PKS3_PjPKT0_NS_24const_host_device_scalarIT4_EES5_S9_PKT1_PKT2_SC_PT3_21rocsparse_index_base_b
                                        ; -- End function
	.set _ZN9rocsparseL22csrmvn_adaptive_kernelIllf21rocsparse_complex_numIfES2_S2_EEvbT_PKS3_PjPKT0_NS_24const_host_device_scalarIT4_EES5_S9_PKT1_PKT2_SC_PT3_21rocsparse_index_base_b.num_vgpr, 26
	.set _ZN9rocsparseL22csrmvn_adaptive_kernelIllf21rocsparse_complex_numIfES2_S2_EEvbT_PKS3_PjPKT0_NS_24const_host_device_scalarIT4_EES5_S9_PKT1_PKT2_SC_PT3_21rocsparse_index_base_b.num_agpr, 0
	.set _ZN9rocsparseL22csrmvn_adaptive_kernelIllf21rocsparse_complex_numIfES2_S2_EEvbT_PKS3_PjPKT0_NS_24const_host_device_scalarIT4_EES5_S9_PKT1_PKT2_SC_PT3_21rocsparse_index_base_b.numbered_sgpr, 60
	.set _ZN9rocsparseL22csrmvn_adaptive_kernelIllf21rocsparse_complex_numIfES2_S2_EEvbT_PKS3_PjPKT0_NS_24const_host_device_scalarIT4_EES5_S9_PKT1_PKT2_SC_PT3_21rocsparse_index_base_b.num_named_barrier, 0
	.set _ZN9rocsparseL22csrmvn_adaptive_kernelIllf21rocsparse_complex_numIfES2_S2_EEvbT_PKS3_PjPKT0_NS_24const_host_device_scalarIT4_EES5_S9_PKT1_PKT2_SC_PT3_21rocsparse_index_base_b.private_seg_size, 0
	.set _ZN9rocsparseL22csrmvn_adaptive_kernelIllf21rocsparse_complex_numIfES2_S2_EEvbT_PKS3_PjPKT0_NS_24const_host_device_scalarIT4_EES5_S9_PKT1_PKT2_SC_PT3_21rocsparse_index_base_b.uses_vcc, 1
	.set _ZN9rocsparseL22csrmvn_adaptive_kernelIllf21rocsparse_complex_numIfES2_S2_EEvbT_PKS3_PjPKT0_NS_24const_host_device_scalarIT4_EES5_S9_PKT1_PKT2_SC_PT3_21rocsparse_index_base_b.uses_flat_scratch, 0
	.set _ZN9rocsparseL22csrmvn_adaptive_kernelIllf21rocsparse_complex_numIfES2_S2_EEvbT_PKS3_PjPKT0_NS_24const_host_device_scalarIT4_EES5_S9_PKT1_PKT2_SC_PT3_21rocsparse_index_base_b.has_dyn_sized_stack, 0
	.set _ZN9rocsparseL22csrmvn_adaptive_kernelIllf21rocsparse_complex_numIfES2_S2_EEvbT_PKS3_PjPKT0_NS_24const_host_device_scalarIT4_EES5_S9_PKT1_PKT2_SC_PT3_21rocsparse_index_base_b.has_recursion, 0
	.set _ZN9rocsparseL22csrmvn_adaptive_kernelIllf21rocsparse_complex_numIfES2_S2_EEvbT_PKS3_PjPKT0_NS_24const_host_device_scalarIT4_EES5_S9_PKT1_PKT2_SC_PT3_21rocsparse_index_base_b.has_indirect_call, 0
	.section	.AMDGPU.csdata,"",@progbits
; Kernel info:
; codeLenInByte = 4620
; TotalNumSgprs: 64
; NumVgprs: 26
; ScratchSize: 0
; MemoryBound: 0
; FloatMode: 240
; IeeeMode: 1
; LDSByteSize: 8192 bytes/workgroup (compile time only)
; SGPRBlocks: 8
; VGPRBlocks: 7
; NumSGPRsForWavesPerEU: 65
; NumVGPRsForWavesPerEU: 29
; Occupancy: 8
; WaveLimiterHint : 1
; COMPUTE_PGM_RSRC2:SCRATCH_EN: 0
; COMPUTE_PGM_RSRC2:USER_SGPR: 6
; COMPUTE_PGM_RSRC2:TRAP_HANDLER: 0
; COMPUTE_PGM_RSRC2:TGID_X_EN: 1
; COMPUTE_PGM_RSRC2:TGID_Y_EN: 0
; COMPUTE_PGM_RSRC2:TGID_Z_EN: 0
; COMPUTE_PGM_RSRC2:TIDIG_COMP_CNT: 0
	.section	.text._ZN9rocsparseL27csrmvn_symm_adaptive_kernelIllf21rocsparse_complex_numIfES2_S2_EEvbT_S3_PKS3_NS_24const_host_device_scalarIT4_EES5_PKT0_PKT1_PKT2_S8_PT3_21rocsparse_index_base_b,"axG",@progbits,_ZN9rocsparseL27csrmvn_symm_adaptive_kernelIllf21rocsparse_complex_numIfES2_S2_EEvbT_S3_PKS3_NS_24const_host_device_scalarIT4_EES5_PKT0_PKT1_PKT2_S8_PT3_21rocsparse_index_base_b,comdat
	.globl	_ZN9rocsparseL27csrmvn_symm_adaptive_kernelIllf21rocsparse_complex_numIfES2_S2_EEvbT_S3_PKS3_NS_24const_host_device_scalarIT4_EES5_PKT0_PKT1_PKT2_S8_PT3_21rocsparse_index_base_b ; -- Begin function _ZN9rocsparseL27csrmvn_symm_adaptive_kernelIllf21rocsparse_complex_numIfES2_S2_EEvbT_S3_PKS3_NS_24const_host_device_scalarIT4_EES5_PKT0_PKT1_PKT2_S8_PT3_21rocsparse_index_base_b
	.p2align	8
	.type	_ZN9rocsparseL27csrmvn_symm_adaptive_kernelIllf21rocsparse_complex_numIfES2_S2_EEvbT_S3_PKS3_NS_24const_host_device_scalarIT4_EES5_PKT0_PKT1_PKT2_S8_PT3_21rocsparse_index_base_b,@function
_ZN9rocsparseL27csrmvn_symm_adaptive_kernelIllf21rocsparse_complex_numIfES2_S2_EEvbT_S3_PKS3_NS_24const_host_device_scalarIT4_EES5_PKT0_PKT1_PKT2_S8_PT3_21rocsparse_index_base_b: ; @_ZN9rocsparseL27csrmvn_symm_adaptive_kernelIllf21rocsparse_complex_numIfES2_S2_EEvbT_S3_PKS3_NS_24const_host_device_scalarIT4_EES5_PKT0_PKT1_PKT2_S8_PT3_21rocsparse_index_base_b
; %bb.0:
	s_load_dwordx2 s[30:31], s[4:5], 0x58
	s_load_dwordx2 s[0:1], s[4:5], 0x20
	s_add_u32 s7, s4, 32
	s_addc_u32 s10, s5, 0
	s_waitcnt lgkmcnt(0)
	s_bitcmp1_b32 s31, 0
	s_cselect_b64 s[8:9], -1, 0
	s_and_b64 s[2:3], s[8:9], exec
	s_cselect_b32 s1, s10, s1
	s_cselect_b32 s0, s7, s0
	v_mov_b32_e32 v1, s0
	v_mov_b32_e32 v2, s1
	flat_load_dwordx2 v[6:7], v[1:2]
	s_waitcnt vmcnt(0) lgkmcnt(0)
	v_cmp_eq_f32_e32 vcc, 0, v6
	v_cmp_eq_f32_e64 s[0:1], 0, v7
	s_and_b64 s[10:11], vcc, s[0:1]
	s_mov_b64 s[0:1], -1
	s_and_saveexec_b64 s[2:3], s[10:11]
	s_cbranch_execz .LBB89_2
; %bb.1:
	s_load_dwordx2 s[0:1], s[4:5], 0x48
	s_add_u32 s7, s4, 0x48
	s_addc_u32 s10, s5, 0
	s_and_b64 s[8:9], s[8:9], exec
	s_waitcnt lgkmcnt(0)
	s_cselect_b32 s1, s10, s1
	s_cselect_b32 s0, s7, s0
	v_mov_b32_e32 v1, s0
	v_mov_b32_e32 v2, s1
	flat_load_dwordx2 v[1:2], v[1:2]
	s_waitcnt vmcnt(0) lgkmcnt(0)
	v_cmp_neq_f32_e32 vcc, 1.0, v1
	v_cmp_neq_f32_e64 s[0:1], 0, v2
	s_or_b64 s[0:1], vcc, s[0:1]
	s_orn2_b64 s[0:1], s[0:1], exec
.LBB89_2:
	s_or_b64 exec, exec, s[2:3]
	s_and_saveexec_b64 s[2:3], s[0:1]
	s_cbranch_execz .LBB89_179
; %bb.3:
	s_load_dwordx2 s[0:1], s[4:5], 0x18
	s_mov_b32 s2, 0
	s_mov_b32 s3, s2
	v_mov_b32_e32 v1, s2
	s_ashr_i32 s7, s6, 31
	v_mov_b32_e32 v2, s3
	s_lshl_b64 s[2:3], s[6:7], 3
	s_waitcnt lgkmcnt(0)
	s_add_u32 s0, s0, s2
	v_lshlrev_b32_e32 v18, 3, v0
	s_addc_u32 s1, s1, s3
	ds_write2st64_b64 v18, v[1:2], v[1:2] offset1:4
	ds_write2st64_b64 v18, v[1:2], v[1:2] offset0:8 offset1:12
	s_waitcnt lgkmcnt(0)
	s_barrier
	s_load_dwordx4 s[24:27], s[0:1], 0x0
	s_load_dwordx8 s[16:23], s[4:5], 0x28
	s_load_dwordx2 s[14:15], s[4:5], 0x50
	s_mov_b64 s[0:1], -1
	s_waitcnt lgkmcnt(0)
	s_sub_u32 s28, s26, s24
	s_subb_u32 s29, s27, s25
	v_cmp_gt_i64_e64 s[2:3], s[28:29], 2
	s_and_b64 vcc, exec, s[2:3]
	s_cbranch_vccnz .LBB89_47
; %bb.4:
	v_mov_b32_e32 v1, s24
	v_mov_b32_e32 v2, s25
	v_cmp_le_i64_e32 vcc, s[26:27], v[1:2]
	v_subrev_co_u32_e64 v5, s[0:1], s30, v0
	v_mov_b32_e32 v15, 0
	v_subb_co_u32_e64 v14, s[0:1], 0, 0, s[0:1]
	s_cbranch_vccnz .LBB89_34
; %bb.5:
	s_movk_i32 s31, 0x100
	v_mov_b32_e32 v1, s26
	v_cmp_gt_u32_e64 s[0:1], s31, v0
	v_cmp_gt_u32_e64 s[2:3], 64, v0
	;; [unrolled: 1-line block ×4, first 2 shown]
	v_cmp_eq_u32_e64 s[10:11], 0, v0
	v_mov_b32_e32 v2, s27
	s_mov_b64 s[34:35], s[24:25]
	s_branch .LBB89_7
.LBB89_6:                               ;   in Loop: Header=BB89_7 Depth=1
	s_or_b64 exec, exec, s[12:13]
	s_add_u32 s34, s34, 1
	s_addc_u32 s35, s35, 0
	v_cmp_ge_i64_e32 vcc, s[34:35], v[1:2]
	s_cbranch_vccnz .LBB89_34
.LBB89_7:                               ; =>This Loop Header: Depth=1
                                        ;     Child Loop BB89_9 Depth 2
                                        ;     Child Loop BB89_23 Depth 2
	;; [unrolled: 1-line block ×5, first 2 shown]
	s_lshl_b64 s[36:37], s[34:35], 3
	s_add_u32 s12, s16, s36
	s_addc_u32 s13, s17, s37
	s_load_dwordx4 s[40:43], s[12:13], 0x0
	v_mov_b32_e32 v9, 0
	v_mov_b32_e32 v8, 0
	s_waitcnt lgkmcnt(0)
	s_sub_u32 s38, s42, s30
	v_mov_b32_e32 v4, s41
	v_add_co_u32_e32 v3, vcc, s40, v5
	s_subb_u32 s39, s43, 0
	v_addc_co_u32_e32 v4, vcc, v4, v14, vcc
	v_cmp_gt_i64_e32 vcc, s[38:39], v[3:4]
	s_and_saveexec_b64 s[40:41], vcc
	s_cbranch_execz .LBB89_11
; %bb.8:                                ;   in Loop: Header=BB89_7 Depth=1
	v_lshlrev_b64 v[8:9], 3, v[3:4]
	v_mov_b32_e32 v11, s19
	v_add_co_u32_e32 v10, vcc, s18, v8
	v_addc_co_u32_e32 v11, vcc, v11, v9, vcc
	v_lshlrev_b64 v[8:9], 2, v[3:4]
	v_mov_b32_e32 v13, s21
	v_add_co_u32_e32 v12, vcc, s20, v8
	v_addc_co_u32_e32 v13, vcc, v13, v9, vcc
	v_mov_b32_e32 v9, 0
	s_mov_b64 s[42:43], 0
	v_mov_b32_e32 v8, v9
.LBB89_9:                               ;   Parent Loop BB89_7 Depth=1
                                        ; =>  This Inner Loop Header: Depth=2
	global_load_dwordx2 v[16:17], v[10:11], off
	global_load_dword v19, v[12:13], off
	v_mov_b32_e32 v20, s23
	s_waitcnt vmcnt(1)
	v_subrev_co_u32_e32 v16, vcc, s30, v16
	v_subbrev_co_u32_e32 v17, vcc, 0, v17, vcc
	v_lshlrev_b64 v[16:17], 3, v[16:17]
	v_add_co_u32_e32 v16, vcc, s22, v16
	v_addc_co_u32_e32 v17, vcc, v20, v17, vcc
	global_load_dwordx2 v[16:17], v[16:17], off
	v_add_co_u32_e32 v3, vcc, s31, v3
	v_addc_co_u32_e32 v4, vcc, 0, v4, vcc
	v_add_co_u32_e32 v10, vcc, 0x800, v10
	v_addc_co_u32_e32 v11, vcc, 0, v11, vcc
	v_cmp_le_i64_e64 s[12:13], s[38:39], v[3:4]
	v_add_co_u32_e32 v12, vcc, 0x400, v12
	v_addc_co_u32_e32 v13, vcc, 0, v13, vcc
	s_or_b64 s[42:43], s[12:13], s[42:43]
	s_waitcnt vmcnt(0)
	v_fmac_f32_e32 v8, v19, v16
	v_fmac_f32_e32 v9, 0, v16
	;; [unrolled: 1-line block ×4, first 2 shown]
	s_andn2_b64 exec, exec, s[42:43]
	s_cbranch_execnz .LBB89_9
; %bb.10:                               ;   in Loop: Header=BB89_7 Depth=1
	s_or_b64 exec, exec, s[42:43]
.LBB89_11:                              ;   in Loop: Header=BB89_7 Depth=1
	s_or_b64 exec, exec, s[40:41]
	ds_write_b64 v18, v[8:9]
	s_waitcnt lgkmcnt(0)
	s_barrier
	s_and_saveexec_b64 s[12:13], s[0:1]
	s_cbranch_execz .LBB89_13
; %bb.12:                               ;   in Loop: Header=BB89_7 Depth=1
	ds_read2st64_b64 v[8:11], v18 offset1:4
	ds_read2st64_b64 v[19:22], v18 offset0:8 offset1:12
	s_waitcnt lgkmcnt(0)
	v_add_f32_e32 v3, v19, v10
	v_add_f32_e32 v4, v20, v11
	;; [unrolled: 1-line block ×6, first 2 shown]
	ds_write_b64 v18, v[3:4]
.LBB89_13:                              ;   in Loop: Header=BB89_7 Depth=1
	s_or_b64 exec, exec, s[12:13]
	s_waitcnt lgkmcnt(0)
	s_barrier
	s_and_saveexec_b64 s[12:13], s[2:3]
	s_cbranch_execz .LBB89_15
; %bb.14:                               ;   in Loop: Header=BB89_7 Depth=1
	ds_read2st64_b64 v[8:11], v18 offset1:1
	ds_read2st64_b64 v[19:22], v18 offset0:2 offset1:3
	s_waitcnt lgkmcnt(0)
	v_add_f32_e32 v3, v19, v10
	v_add_f32_e32 v4, v20, v11
	;; [unrolled: 1-line block ×6, first 2 shown]
	ds_write_b64 v18, v[3:4]
.LBB89_15:                              ;   in Loop: Header=BB89_7 Depth=1
	s_or_b64 exec, exec, s[12:13]
	s_waitcnt lgkmcnt(0)
	s_barrier
	s_and_saveexec_b64 s[12:13], s[6:7]
	s_cbranch_execz .LBB89_17
; %bb.16:                               ;   in Loop: Header=BB89_7 Depth=1
	ds_read2_b64 v[8:11], v18 offset1:16
	ds_read2_b64 v[19:22], v18 offset0:32 offset1:48
	s_waitcnt lgkmcnt(0)
	v_add_f32_e32 v3, v19, v10
	v_add_f32_e32 v4, v20, v11
	;; [unrolled: 1-line block ×6, first 2 shown]
	ds_write_b64 v18, v[3:4]
.LBB89_17:                              ;   in Loop: Header=BB89_7 Depth=1
	s_or_b64 exec, exec, s[12:13]
	s_waitcnt lgkmcnt(0)
	s_barrier
	s_and_saveexec_b64 s[12:13], s[8:9]
	s_cbranch_execz .LBB89_19
; %bb.18:                               ;   in Loop: Header=BB89_7 Depth=1
	ds_read2_b64 v[8:11], v18 offset1:4
	ds_read2_b64 v[19:22], v18 offset0:8 offset1:12
	s_waitcnt lgkmcnt(0)
	v_add_f32_e32 v3, v19, v10
	v_add_f32_e32 v4, v20, v11
	;; [unrolled: 1-line block ×6, first 2 shown]
	ds_write_b64 v18, v[3:4]
.LBB89_19:                              ;   in Loop: Header=BB89_7 Depth=1
	s_or_b64 exec, exec, s[12:13]
	s_waitcnt lgkmcnt(0)
	s_barrier
	s_and_saveexec_b64 s[12:13], s[10:11]
	s_cbranch_execz .LBB89_21
; %bb.20:                               ;   in Loop: Header=BB89_7 Depth=1
	ds_read_b128 v[8:11], v15 offset:16
	ds_read_b64 v[3:4], v15 offset:8
	ds_read_b64 v[12:13], v18
	s_waitcnt lgkmcnt(1)
	v_add_f32_e32 v3, v8, v3
	v_add_f32_e32 v4, v9, v4
	;; [unrolled: 1-line block ×4, first 2 shown]
	s_waitcnt lgkmcnt(0)
	v_add_f32_e32 v3, v3, v12
	v_add_f32_e32 v4, v4, v13
	ds_write_b64 v18, v[3:4]
.LBB89_21:                              ;   in Loop: Header=BB89_7 Depth=1
	s_or_b64 exec, exec, s[12:13]
	s_waitcnt lgkmcnt(0)
	s_barrier
	s_and_saveexec_b64 s[12:13], s[10:11]
	s_cbranch_execz .LBB89_6
; %bb.22:                               ;   in Loop: Header=BB89_7 Depth=1
	ds_read_b64 v[3:4], v15
	s_mov_b64 s[38:39], exec
	v_bfrev_b32_e32 v10, 1
	s_waitcnt lgkmcnt(0)
	v_mul_f32_e64 v8, v4, -v7
	v_fmac_f32_e32 v8, v6, v3
.LBB89_23:                              ;   Parent Loop BB89_7 Depth=1
                                        ; =>  This Inner Loop Header: Depth=2
	s_ff1_i32_b64 s33, s[38:39]
	s_lshl_b64 s[40:41], 1, s33
	v_readlane_b32 s42, v8, s33
	s_andn2_b64 s[38:39], s[38:39], s[40:41]
	s_cmp_lg_u64 s[38:39], 0
	v_add_f32_e32 v10, s42, v10
	s_cbranch_scc1 .LBB89_23
; %bb.24:                               ;   in Loop: Header=BB89_7 Depth=1
	v_mbcnt_lo_u32_b32 v8, exec_lo, 0
	s_add_u32 s36, s14, s36
	v_mbcnt_hi_u32_b32 v8, exec_hi, v8
	s_addc_u32 s37, s15, s37
	v_cmp_eq_u32_e32 vcc, 0, v8
	s_and_saveexec_b64 s[38:39], vcc
	s_xor_b64 s[38:39], exec, s[38:39]
	s_cbranch_execz .LBB89_28
; %bb.25:                               ;   in Loop: Header=BB89_7 Depth=1
	global_load_dword v9, v15, s[36:37]
	s_mov_b64 s[40:41], 0
.LBB89_26:                              ;   Parent Loop BB89_7 Depth=1
                                        ; =>  This Inner Loop Header: Depth=2
	s_waitcnt vmcnt(0)
	v_add_f32_e32 v8, v9, v10
	global_atomic_cmpswap v8, v15, v[8:9], s[36:37] glc
	s_waitcnt vmcnt(0)
	v_cmp_eq_u32_e32 vcc, v8, v9
	s_or_b64 s[40:41], vcc, s[40:41]
	v_mov_b32_e32 v9, v8
	s_andn2_b64 exec, exec, s[40:41]
	s_cbranch_execnz .LBB89_26
; %bb.27:                               ;   in Loop: Header=BB89_7 Depth=1
	s_or_b64 exec, exec, s[40:41]
.LBB89_28:                              ;   in Loop: Header=BB89_7 Depth=1
	s_or_b64 exec, exec, s[38:39]
	v_mul_f32_e32 v4, v6, v4
	s_mov_b64 s[38:39], exec
	v_fmac_f32_e32 v4, v7, v3
	v_bfrev_b32_e32 v8, 1
.LBB89_29:                              ;   Parent Loop BB89_7 Depth=1
                                        ; =>  This Inner Loop Header: Depth=2
	s_ff1_i32_b64 s33, s[38:39]
	s_lshl_b64 s[40:41], 1, s33
	v_readlane_b32 s42, v4, s33
	s_andn2_b64 s[38:39], s[38:39], s[40:41]
	s_cmp_lg_u64 s[38:39], 0
	v_add_f32_e32 v8, s42, v8
	s_cbranch_scc1 .LBB89_29
; %bb.30:                               ;   in Loop: Header=BB89_7 Depth=1
	v_mbcnt_lo_u32_b32 v3, exec_lo, 0
	v_mbcnt_hi_u32_b32 v3, exec_hi, v3
	v_cmp_eq_u32_e32 vcc, 0, v3
	s_and_saveexec_b64 s[38:39], vcc
	s_xor_b64 s[38:39], exec, s[38:39]
	s_cbranch_execz .LBB89_6
; %bb.31:                               ;   in Loop: Header=BB89_7 Depth=1
	global_load_dword v4, v15, s[36:37] offset:4
	s_mov_b64 s[38:39], 0
.LBB89_32:                              ;   Parent Loop BB89_7 Depth=1
                                        ; =>  This Inner Loop Header: Depth=2
	s_waitcnt vmcnt(0)
	v_add_f32_e32 v3, v4, v8
	global_atomic_cmpswap v3, v15, v[3:4], s[36:37] offset:4 glc
	s_waitcnt vmcnt(0)
	v_cmp_eq_u32_e32 vcc, v3, v4
	s_or_b64 s[38:39], vcc, s[38:39]
	v_mov_b32_e32 v4, v3
	s_andn2_b64 exec, exec, s[38:39]
	s_cbranch_execnz .LBB89_32
; %bb.33:                               ;   in Loop: Header=BB89_7 Depth=1
	s_or_b64 exec, exec, s[38:39]
	s_branch .LBB89_6
.LBB89_34:
	s_lshl_b64 s[0:1], s[24:25], 3
	s_add_u32 s0, s16, s0
	s_addc_u32 s1, s17, s1
	s_lshl_b64 s[2:3], s[26:27], 3
	s_add_u32 s2, s16, s2
	s_addc_u32 s3, s17, s3
	s_load_dwordx2 s[8:9], s[0:1], 0x0
	s_load_dwordx2 s[6:7], s[2:3], 0x0
	s_waitcnt lgkmcnt(0)
	v_mov_b32_e32 v2, s9
	s_sub_u32 s6, s6, s30
	v_add_co_u32_e32 v1, vcc, s8, v5
	s_subb_u32 s7, s7, 0
	v_addc_co_u32_e32 v2, vcc, v2, v14, vcc
	v_cmp_gt_i64_e32 vcc, s[6:7], v[1:2]
	s_and_saveexec_b64 s[8:9], vcc
	s_cbranch_execz .LBB89_46
; %bb.35:
	s_add_u32 s10, s26, -1
	s_addc_u32 s11, s27, -1
	v_mov_b32_e32 v3, s10
	s_add_u32 s0, s26, -2
	v_mov_b32_e32 v4, s11
	s_addc_u32 s1, s27, -1
	v_cmp_lt_i64_e32 vcc, s[24:25], v[3:4]
	s_cmp_lg_u64 s[24:25], s[0:1]
	s_cselect_b64 s[0:1], -1, 0
	s_and_b64 s[0:1], vcc, s[0:1]
	v_cndmask_b32_e64 v3, 0, 1, s[0:1]
	v_mul_f32_e32 v5, 0x80000000, v7
	v_mul_f32_e32 v12, 0, v6
	s_mov_b64 s[12:13], 0
	v_cmp_ne_u32_e64 s[0:1], 1, v3
	v_mov_b32_e32 v13, s17
	v_mov_b32_e32 v14, s19
	s_branch .LBB89_37
.LBB89_36:                              ;   in Loop: Header=BB89_37 Depth=1
	s_or_b64 exec, exec, s[2:3]
	v_add_co_u32_e32 v1, vcc, 0x100, v1
	v_addc_co_u32_e32 v2, vcc, 0, v2, vcc
	v_cmp_le_i64_e32 vcc, s[6:7], v[1:2]
	s_or_b64 s[12:13], vcc, s[12:13]
	s_andn2_b64 exec, exec, s[12:13]
	s_cbranch_execz .LBB89_46
.LBB89_37:                              ; =>This Loop Header: Depth=1
                                        ;     Child Loop BB89_39 Depth 2
                                        ;     Child Loop BB89_43 Depth 2
	;; [unrolled: 1-line block ×3, first 2 shown]
	v_mov_b32_e32 v3, s24
	v_mov_b32_e32 v8, s10
	s_and_b64 vcc, exec, s[0:1]
	v_mov_b32_e32 v4, s25
	v_mov_b32_e32 v9, s11
	s_cbranch_vccnz .LBB89_41
; %bb.38:                               ;   in Loop: Header=BB89_37 Depth=1
	v_mov_b32_e32 v3, s24
	v_mov_b32_e32 v8, s10
	s_mov_b64 s[34:35], 0
	v_mov_b32_e32 v4, s25
	v_mov_b32_e32 v9, s11
.LBB89_39:                              ;   Parent Loop BB89_37 Depth=1
                                        ; =>  This Inner Loop Header: Depth=2
	v_add_co_u32_e32 v10, vcc, v8, v3
	v_addc_co_u32_e32 v11, vcc, v9, v4, vcc
	v_lshrrev_b32_e32 v15, 31, v11
	v_add_co_u32_e32 v10, vcc, v10, v15
	v_addc_co_u32_e32 v11, vcc, 0, v11, vcc
	v_ashrrev_i64 v[10:11], 1, v[10:11]
	v_mov_b32_e32 v17, s17
	v_lshlrev_b64 v[15:16], 3, v[10:11]
	v_add_co_u32_e32 v15, vcc, s16, v15
	v_addc_co_u32_e32 v16, vcc, v17, v16, vcc
	global_load_dwordx2 v[15:16], v[15:16], off
	s_waitcnt vmcnt(0)
	v_subrev_co_u32_e32 v15, vcc, s30, v15
	v_subbrev_co_u32_e32 v16, vcc, 0, v16, vcc
	v_cmp_lt_i64_e32 vcc, v[1:2], v[15:16]
	v_cndmask_b32_e32 v8, v8, v10, vcc
	v_cndmask_b32_e32 v9, v9, v11, vcc
	;; [unrolled: 1-line block ×3, first 2 shown]
	v_add_co_u32_e64 v10, s[2:3], -1, v8
	v_cndmask_b32_e32 v4, v11, v4, vcc
	v_addc_co_u32_e64 v11, s[2:3], -1, v9, s[2:3]
	v_cmp_ge_i64_e32 vcc, v[3:4], v[8:9]
	v_cmp_eq_u64_e64 s[2:3], v[3:4], v[10:11]
	s_or_b64 s[2:3], vcc, s[2:3]
	s_and_b64 s[2:3], exec, s[2:3]
	s_or_b64 s[34:35], s[2:3], s[34:35]
	s_andn2_b64 exec, exec, s[34:35]
	s_cbranch_execnz .LBB89_39
; %bb.40:                               ;   in Loop: Header=BB89_37 Depth=1
	s_or_b64 exec, exec, s[34:35]
.LBB89_41:                              ;   in Loop: Header=BB89_37 Depth=1
	v_lshlrev_b64 v[10:11], 3, v[8:9]
	v_lshlrev_b64 v[15:16], 3, v[1:2]
	v_add_co_u32_e32 v10, vcc, s16, v10
	v_addc_co_u32_e32 v11, vcc, v13, v11, vcc
	global_load_dwordx2 v[10:11], v[10:11], off
	v_add_co_u32_e32 v15, vcc, s18, v15
	v_addc_co_u32_e32 v16, vcc, v14, v16, vcc
	global_load_dwordx2 v[15:16], v[15:16], off
	s_waitcnt vmcnt(1)
	v_subrev_co_u32_e32 v10, vcc, s30, v10
	v_subbrev_co_u32_e32 v11, vcc, 0, v11, vcc
	v_cmp_lt_i64_e32 vcc, v[1:2], v[10:11]
	v_cndmask_b32_e32 v4, v9, v4, vcc
	v_cndmask_b32_e32 v3, v8, v3, vcc
	s_waitcnt vmcnt(0)
	v_subrev_co_u32_e32 v8, vcc, s30, v15
	v_subbrev_co_u32_e32 v9, vcc, 0, v16, vcc
	v_cmp_ne_u64_e32 vcc, v[8:9], v[3:4]
	s_and_saveexec_b64 s[2:3], vcc
	s_cbranch_execz .LBB89_36
; %bb.42:                               ;   in Loop: Header=BB89_37 Depth=1
	v_lshlrev_b64 v[10:11], 3, v[8:9]
	v_lshlrev_b64 v[8:9], 2, v[1:2]
	v_mov_b32_e32 v16, s21
	v_add_co_u32_e32 v8, vcc, s20, v8
	v_lshlrev_b64 v[3:4], 3, v[3:4]
	v_addc_co_u32_e32 v9, vcc, v16, v9, vcc
	global_load_dword v16, v[8:9], off
	v_mov_b32_e32 v8, s23
	v_add_co_u32_e32 v3, vcc, s22, v3
	v_addc_co_u32_e32 v4, vcc, v8, v4, vcc
	v_mov_b32_e32 v15, s15
	global_load_dwordx2 v[8:9], v[3:4], off
	v_add_co_u32_e32 v3, vcc, s14, v10
	v_addc_co_u32_e32 v4, vcc, v15, v11, vcc
	global_load_dword v11, v[3:4], off
	s_mov_b64 s[34:35], 0
	s_waitcnt vmcnt(2)
	v_fma_f32 v15, v6, v16, v5
	v_fma_f32 v16, v7, v16, v12
	s_waitcnt vmcnt(1)
	v_mul_f32_e64 v17, v9, -v16
	v_fmac_f32_e32 v17, v15, v8
.LBB89_43:                              ;   Parent Loop BB89_37 Depth=1
                                        ; =>  This Inner Loop Header: Depth=2
	s_waitcnt vmcnt(0)
	v_add_f32_e32 v10, v11, v17
	global_atomic_cmpswap v10, v[3:4], v[10:11], off glc
	s_waitcnt vmcnt(0)
	v_cmp_eq_u32_e32 vcc, v10, v11
	s_or_b64 s[34:35], vcc, s[34:35]
	v_mov_b32_e32 v11, v10
	s_andn2_b64 exec, exec, s[34:35]
	s_cbranch_execnz .LBB89_43
; %bb.44:                               ;   in Loop: Header=BB89_37 Depth=1
	s_or_b64 exec, exec, s[34:35]
	global_load_dword v10, v[3:4], off offset:4
	v_mul_f32_e32 v11, v15, v9
	v_fmac_f32_e32 v11, v16, v8
	s_mov_b64 s[34:35], 0
.LBB89_45:                              ;   Parent Loop BB89_37 Depth=1
                                        ; =>  This Inner Loop Header: Depth=2
	s_waitcnt vmcnt(0)
	v_add_f32_e32 v9, v10, v11
	global_atomic_cmpswap v8, v[3:4], v[9:10], off offset:4 glc
	s_waitcnt vmcnt(0)
	v_cmp_eq_u32_e32 vcc, v8, v10
	s_or_b64 s[34:35], vcc, s[34:35]
	v_mov_b32_e32 v10, v8
	s_andn2_b64 exec, exec, s[34:35]
	s_cbranch_execnz .LBB89_45
	s_branch .LBB89_36
.LBB89_46:
	s_or_b64 exec, exec, s[8:9]
	s_mov_b64 s[0:1], 0
.LBB89_47:
	s_and_b64 vcc, exec, s[0:1]
	s_cbranch_vccz .LBB89_179
; %bb.48:
	s_load_dword s0, s[4:5], 0x6c
	v_mov_b32_e32 v1, s28
	s_mov_b32 s13, 0
	v_mov_b32_e32 v2, s29
	s_mov_b64 s[36:37], 0
	s_waitcnt lgkmcnt(0)
	s_and_b32 s12, s0, 0xffff
	v_cmp_lt_u64_e32 vcc, s[12:13], v[1:2]
	s_cbranch_vccnz .LBB89_50
; %bb.49:
	v_cvt_f32_u32_e32 v1, s28
	s_sub_i32 s0, 0, s28
	v_rcp_iflag_f32_e32 v1, v1
	v_mul_f32_e32 v1, 0x4f7ffffe, v1
	v_cvt_u32_f32_e32 v1, v1
	v_readfirstlane_b32 s1, v1
	s_mul_i32 s0, s0, s1
	s_mul_hi_u32 s0, s1, s0
	s_add_i32 s1, s1, s0
	s_mul_hi_u32 s0, s12, s1
	s_mul_i32 s2, s0, s28
	s_sub_i32 s2, s12, s2
	s_add_i32 s1, s0, 1
	s_sub_i32 s3, s2, s28
	s_cmp_ge_u32 s2, s28
	s_cselect_b32 s0, s1, s0
	s_cselect_b32 s2, s3, s2
	s_add_i32 s1, s0, 1
	s_cmp_ge_u32 s2, s28
	s_cselect_b32 s36, s1, s0
.LBB89_50:
	s_lshl_b64 s[0:1], s[24:25], 3
	s_add_u32 s34, s16, s0
	s_addc_u32 s35, s17, s1
	s_load_dwordx2 s[6:7], s[34:35], 0x0
	s_load_dwordx4 s[8:11], s[4:5], 0x8
	v_subrev_co_u32_e32 v1, vcc, s30, v0
	v_subb_co_u32_e64 v2, s[0:1], 0, 0, vcc
	s_waitcnt lgkmcnt(0)
	v_mov_b32_e32 v3, s7
	v_add_co_u32_e32 v4, vcc, s6, v1
	v_addc_co_u32_e32 v5, vcc, v3, v2, vcc
	v_add_co_u32_e32 v2, vcc, 0x300, v4
	v_addc_co_u32_e32 v3, vcc, 0, v5, vcc
	v_cmp_le_i64_e64 s[0:1], s[8:9], v[2:3]
	v_mov_b32_e32 v1, 0
	s_and_saveexec_b64 s[2:3], s[0:1]
	s_xor_b64 s[2:3], exec, s[2:3]
	s_cbranch_execnz .LBB89_53
; %bb.51:
	s_andn2_saveexec_b64 s[2:3], s[2:3]
	s_cbranch_execnz .LBB89_57
.LBB89_52:
	s_or_b64 exec, exec, s[2:3]
	v_cmp_gt_i64_e32 vcc, s[10:11], v[0:1]
	s_and_saveexec_b64 s[2:3], vcc
	s_cbranch_execnz .LBB89_58
	s_branch .LBB89_60
.LBB89_53:
	s_lshl_b64 s[4:5], s[26:27], 3
	s_add_u32 s4, s16, s4
	s_addc_u32 s5, s17, s5
	s_load_dwordx2 s[4:5], s[4:5], 0x0
	s_waitcnt lgkmcnt(0)
	s_sub_u32 s4, s4, s6
	s_subb_u32 s5, s5, s7
	v_cmp_gt_i64_e32 vcc, s[4:5], v[0:1]
	s_and_saveexec_b64 s[8:9], vcc
	s_cbranch_execz .LBB89_56
; %bb.54:
	v_lshlrev_b64 v[8:9], 2, v[4:5]
	v_mov_b32_e32 v10, s21
	v_add_co_u32_e32 v8, vcc, s20, v8
	v_addc_co_u32_e32 v9, vcc, v10, v9, vcc
	v_mov_b32_e32 v11, v1
	v_mul_f32_e32 v12, 0x80000000, v7
	v_mul_f32_e32 v13, 0, v6
	s_mov_b64 s[38:39], 0
	v_mov_b32_e32 v14, v18
	v_mov_b32_e32 v10, v0
.LBB89_55:                              ; =>This Inner Loop Header: Depth=1
	global_load_dword v16, v[8:9], off
	v_add_co_u32_e32 v8, vcc, 0x400, v8
	v_addc_co_u32_e32 v9, vcc, 0, v9, vcc
	v_add_co_u32_e32 v10, vcc, 0x100, v10
	v_addc_co_u32_e32 v11, vcc, 0, v11, vcc
	v_cmp_le_i64_e32 vcc, s[4:5], v[10:11]
	s_or_b64 s[38:39], vcc, s[38:39]
	s_waitcnt vmcnt(0)
	v_fma_f32 v15, v6, v16, v12
	v_fma_f32 v16, v7, v16, v13
	ds_write_b64 v14, v[15:16]
	v_add_u32_e32 v14, 0x800, v14
	s_andn2_b64 exec, exec, s[38:39]
	s_cbranch_execnz .LBB89_55
.LBB89_56:
	s_or_b64 exec, exec, s[8:9]
                                        ; implicit-def: $vgpr6_vgpr7
	s_andn2_saveexec_b64 s[2:3], s[2:3]
	s_cbranch_execz .LBB89_52
.LBB89_57:
	v_lshlrev_b64 v[8:9], 2, v[4:5]
	v_mov_b32_e32 v10, s21
	v_add_co_u32_e32 v8, vcc, s20, v8
	v_addc_co_u32_e32 v9, vcc, v10, v9, vcc
	global_load_dword v11, v[8:9], off
	global_load_dword v13, v[8:9], off offset:1024
	global_load_dword v15, v[8:9], off offset:2048
	;; [unrolled: 1-line block ×3, first 2 shown]
	v_mul_f32_e32 v8, 0x80000000, v7
	v_mul_f32_e32 v9, 0, v6
	s_waitcnt vmcnt(3)
	v_fma_f32 v10, v6, v11, v8
	v_fma_f32 v11, v7, v11, v9
	s_waitcnt vmcnt(2)
	v_fma_f32 v12, v6, v13, v8
	v_fma_f32 v13, v7, v13, v9
	;; [unrolled: 3-line block ×3, first 2 shown]
	s_waitcnt vmcnt(0)
	v_fmac_f32_e32 v8, v6, v16
	v_fmac_f32_e32 v9, v7, v16
	ds_write2st64_b64 v18, v[10:11], v[12:13] offset1:4
	ds_write2st64_b64 v18, v[14:15], v[8:9] offset0:8 offset1:12
	s_or_b64 exec, exec, s[2:3]
	v_cmp_gt_i64_e32 vcc, s[10:11], v[0:1]
	s_and_saveexec_b64 s[2:3], vcc
	s_cbranch_execz .LBB89_60
.LBB89_58:
	v_mov_b32_e32 v6, 0x2000
	v_lshl_add_u32 v8, v0, 3, v6
	v_mov_b32_e32 v7, v1
	s_mov_b64 s[4:5], 0
	v_mov_b32_e32 v9, 0
	v_mov_b32_e32 v6, v0
.LBB89_59:                              ; =>This Inner Loop Header: Depth=1
	v_add_co_u32_e32 v6, vcc, 0x100, v6
	v_addc_co_u32_e32 v7, vcc, 0, v7, vcc
	v_cmp_le_i64_e32 vcc, s[10:11], v[6:7]
	ds_write2_b32 v8, v9, v9 offset1:1
	s_or_b64 s[4:5], vcc, s[4:5]
	v_add_u32_e32 v8, 0x800, v8
	s_andn2_b64 exec, exec, s[4:5]
	s_cbranch_execnz .LBB89_59
.LBB89_60:
	s_or_b64 exec, exec, s[2:3]
	v_mov_b32_e32 v6, s10
	v_mov_b32_e32 v7, s11
	s_sub_u32 s4, s26, s10
	v_cmp_ge_i64_e32 vcc, s[26:27], v[6:7]
	s_subb_u32 s5, s27, s11
	s_and_b64 s[2:3], vcc, exec
	s_cselect_b32 s9, s5, 0
	s_cselect_b32 s8, s4, 0
	s_waitcnt lgkmcnt(0)
	s_barrier
	s_and_saveexec_b64 s[2:3], s[0:1]
	s_xor_b64 s[20:21], exec, s[2:3]
	s_cbranch_execz .LBB89_81
; %bb.61:
	s_lshl_b64 s[0:1], s[26:27], 3
	s_add_u32 s0, s16, s0
	s_addc_u32 s1, s17, s1
	s_load_dwordx2 s[0:1], s[0:1], 0x0
	s_waitcnt lgkmcnt(0)
	s_sub_u32 s38, s0, s6
	s_subb_u32 s39, s1, s7
	v_cmp_gt_i64_e32 vcc, s[38:39], v[0:1]
	s_and_saveexec_b64 s[40:41], vcc
	s_cbranch_execz .LBB89_80
; %bb.62:
	s_add_u32 s42, s26, -1
	s_addc_u32 s43, s27, -1
	s_add_u32 s2, s26, -2
	s_addc_u32 s3, s27, -1
	s_cmp_lg_u64 s[24:25], s[2:3]
	s_cselect_b64 s[2:3], -1, 0
	s_sub_u32 s44, s0, s30
	v_cndmask_b32_e64 v2, 0, 1, s[2:3]
	s_subb_u32 s45, s1, 0
	s_mov_b64 s[46:47], 0
	v_cmp_ne_u32_e64 s[0:1], 1, v2
	v_mov_b32_e32 v14, s17
	v_mov_b32_e32 v15, s19
	;; [unrolled: 1-line block ×4, first 2 shown]
	s_mov_b64 s[48:49], 0
	s_branch .LBB89_65
.LBB89_63:                              ;   in Loop: Header=BB89_65 Depth=1
	s_or_b64 exec, exec, s[2:3]
.LBB89_64:                              ;   in Loop: Header=BB89_65 Depth=1
	s_or_b64 exec, exec, s[4:5]
	v_lshlrev_b64 v[2:3], 3, v[2:3]
	v_lshlrev_b32_e32 v9, 3, v19
	v_add_co_u32_e32 v2, vcc, s22, v2
	v_addc_co_u32_e32 v3, vcc, v16, v3, vcc
	global_load_dwordx2 v[2:3], v[2:3], off
	s_add_u32 s48, s48, 0x100
	ds_read_b32 v10, v9 offset:4
	s_addc_u32 s49, s49, 0
	v_mov_b32_e32 v8, s49
	v_add_co_u32_e32 v7, vcc, s48, v0
	v_addc_co_u32_e32 v8, vcc, 0, v8, vcc
	v_cmp_le_i64_e32 vcc, s[38:39], v[7:8]
	s_or_b64 s[46:47], vcc, s[46:47]
	s_waitcnt vmcnt(0) lgkmcnt(0)
	v_mul_f32_e64 v7, v3, -v10
	v_mul_f32_e32 v8, v3, v6
	v_fmac_f32_e32 v7, v6, v2
	v_fmac_f32_e32 v8, v10, v2
	ds_write_b64 v9, v[7:8]
	s_andn2_b64 exec, exec, s[46:47]
	s_cbranch_execz .LBB89_80
.LBB89_65:                              ; =>This Loop Header: Depth=1
                                        ;     Child Loop BB89_67 Depth 2
                                        ;     Child Loop BB89_74 Depth 2
                                        ;     Child Loop BB89_76 Depth 2
	v_mov_b32_e32 v2, s49
	v_add_co_u32_e32 v6, vcc, s48, v4
	v_addc_co_u32_e32 v7, vcc, v2, v5, vcc
	v_mov_b32_e32 v8, s24
	v_mov_b32_e32 v10, s42
	s_and_b64 vcc, exec, s[0:1]
	v_mov_b32_e32 v9, s25
	v_mov_b32_e32 v11, s43
	s_cbranch_vccnz .LBB89_69
; %bb.66:                               ;   in Loop: Header=BB89_65 Depth=1
	v_mov_b32_e32 v8, s24
	v_mov_b32_e32 v10, s42
	s_mov_b64 s[4:5], 0
	v_mov_b32_e32 v9, s25
	v_mov_b32_e32 v11, s43
.LBB89_67:                              ;   Parent Loop BB89_65 Depth=1
                                        ; =>  This Inner Loop Header: Depth=2
	v_add_co_u32_e32 v2, vcc, v10, v8
	v_addc_co_u32_e32 v3, vcc, v11, v9, vcc
	v_lshrrev_b32_e32 v12, 31, v3
	v_add_co_u32_e32 v2, vcc, v2, v12
	v_addc_co_u32_e32 v3, vcc, 0, v3, vcc
	v_ashrrev_i64 v[2:3], 1, v[2:3]
	v_mov_b32_e32 v19, s17
	v_lshlrev_b64 v[12:13], 3, v[2:3]
	v_add_co_u32_e32 v12, vcc, s16, v12
	v_addc_co_u32_e32 v13, vcc, v19, v13, vcc
	global_load_dwordx2 v[12:13], v[12:13], off
	s_waitcnt vmcnt(0)
	v_subrev_co_u32_e32 v12, vcc, s30, v12
	v_subbrev_co_u32_e32 v13, vcc, 0, v13, vcc
	v_cmp_lt_i64_e32 vcc, v[6:7], v[12:13]
	v_cndmask_b32_e32 v10, v10, v2, vcc
	v_cndmask_b32_e32 v11, v11, v3, vcc
	;; [unrolled: 1-line block ×3, first 2 shown]
	v_add_co_u32_e64 v2, s[2:3], -1, v10
	v_cndmask_b32_e32 v9, v3, v9, vcc
	v_addc_co_u32_e64 v3, s[2:3], -1, v11, s[2:3]
	v_cmp_ge_i64_e32 vcc, v[8:9], v[10:11]
	v_cmp_eq_u64_e64 s[2:3], v[8:9], v[2:3]
	s_or_b64 s[2:3], vcc, s[2:3]
	s_and_b64 s[2:3], exec, s[2:3]
	s_or_b64 s[4:5], s[2:3], s[4:5]
	s_andn2_b64 exec, exec, s[4:5]
	s_cbranch_execnz .LBB89_67
; %bb.68:                               ;   in Loop: Header=BB89_65 Depth=1
	s_or_b64 exec, exec, s[4:5]
.LBB89_69:                              ;   in Loop: Header=BB89_65 Depth=1
	v_lshlrev_b64 v[2:3], 3, v[10:11]
	v_lshlrev_b64 v[12:13], 3, v[6:7]
	v_add_co_u32_e32 v2, vcc, s16, v2
	v_addc_co_u32_e32 v3, vcc, v14, v3, vcc
	global_load_dwordx2 v[2:3], v[2:3], off
	v_add_co_u32_e32 v12, vcc, s18, v12
	v_addc_co_u32_e32 v13, vcc, v15, v13, vcc
	global_load_dwordx2 v[12:13], v[12:13], off
	v_cmp_le_i64_e32 vcc, s[44:45], v[6:7]
	s_waitcnt vmcnt(1)
	v_subrev_co_u32_e64 v19, s[2:3], s30, v2
	v_subbrev_co_u32_e64 v20, s[2:3], 0, v3, s[2:3]
	s_waitcnt vmcnt(0)
	v_subrev_co_u32_e64 v2, s[2:3], s30, v12
	v_subbrev_co_u32_e64 v3, s[2:3], 0, v13, s[2:3]
	v_cmp_lt_i64_e64 s[2:3], v[6:7], v[19:20]
	v_add_co_u32_e64 v19, s[4:5], s48, v0
	v_cndmask_b32_e64 v9, v11, v9, s[2:3]
	v_cndmask_b32_e64 v8, v10, v8, s[2:3]
	v_cmp_eq_u64_e64 s[2:3], v[2:3], v[8:9]
	v_lshlrev_b32_e32 v12, 3, v19
	s_or_b64 s[2:3], s[2:3], vcc
                                        ; implicit-def: $vgpr6
	s_and_saveexec_b64 s[4:5], s[2:3]
	s_xor_b64 s[2:3], exec, s[4:5]
; %bb.70:                               ;   in Loop: Header=BB89_65 Depth=1
	ds_read_b32 v6, v12
                                        ; implicit-def: $vgpr12
                                        ; implicit-def: $vgpr8_vgpr9
; %bb.71:                               ;   in Loop: Header=BB89_65 Depth=1
	s_andn2_saveexec_b64 s[4:5], s[2:3]
	s_cbranch_execz .LBB89_64
; %bb.72:                               ;   in Loop: Header=BB89_65 Depth=1
	v_cmp_gt_i64_e32 vcc, s[8:9], v[2:3]
	v_cmp_le_i64_e64 s[2:3], s[26:27], v[2:3]
	v_lshlrev_b64 v[7:8], 3, v[8:9]
	s_or_b64 s[2:3], vcc, s[2:3]
                                        ; implicit-def: $vgpr6
	s_and_saveexec_b64 s[50:51], s[2:3]
	s_xor_b64 s[2:3], exec, s[50:51]
	s_cbranch_execz .LBB89_78
; %bb.73:                               ;   in Loop: Header=BB89_65 Depth=1
	v_lshlrev_b64 v[20:21], 3, v[2:3]
	v_mov_b32_e32 v10, s23
	s_waitcnt lgkmcnt(0)
	v_add_co_u32_e32 v6, vcc, s22, v7
	v_addc_co_u32_e32 v7, vcc, v10, v8, vcc
	v_mov_b32_e32 v9, s15
	global_load_dwordx2 v[10:11], v[6:7], off
	v_add_co_u32_e32 v8, vcc, s14, v20
	v_addc_co_u32_e32 v9, vcc, v9, v21, vcc
	global_load_dword v13, v[8:9], off
	ds_read_b64 v[6:7], v12
	s_mov_b64 s[50:51], 0
	s_waitcnt vmcnt(1) lgkmcnt(0)
	v_mul_f32_e64 v20, v11, -v7
	v_fmac_f32_e32 v20, v6, v10
.LBB89_74:                              ;   Parent Loop BB89_65 Depth=1
                                        ; =>  This Inner Loop Header: Depth=2
	s_waitcnt vmcnt(0)
	v_add_f32_e32 v12, v13, v20
	global_atomic_cmpswap v12, v[8:9], v[12:13], off glc
	s_waitcnt vmcnt(0)
	v_cmp_eq_u32_e32 vcc, v12, v13
	s_or_b64 s[50:51], vcc, s[50:51]
	v_mov_b32_e32 v13, v12
	s_andn2_b64 exec, exec, s[50:51]
	s_cbranch_execnz .LBB89_74
; %bb.75:                               ;   in Loop: Header=BB89_65 Depth=1
	s_or_b64 exec, exec, s[50:51]
	global_load_dword v12, v[8:9], off offset:4
	v_mul_f32_e32 v13, v11, v6
	v_fmac_f32_e32 v13, v7, v10
	s_mov_b64 s[50:51], 0
.LBB89_76:                              ;   Parent Loop BB89_65 Depth=1
                                        ; =>  This Inner Loop Header: Depth=2
	s_waitcnt vmcnt(0)
	v_add_f32_e32 v11, v12, v13
	global_atomic_cmpswap v7, v[8:9], v[11:12], off offset:4 glc
	s_waitcnt vmcnt(0)
	v_cmp_eq_u32_e32 vcc, v7, v12
	s_or_b64 s[50:51], vcc, s[50:51]
	v_mov_b32_e32 v12, v7
	s_andn2_b64 exec, exec, s[50:51]
	s_cbranch_execnz .LBB89_76
; %bb.77:                               ;   in Loop: Header=BB89_65 Depth=1
	s_or_b64 exec, exec, s[50:51]
                                        ; implicit-def: $vgpr7_vgpr8
                                        ; implicit-def: $vgpr12
.LBB89_78:                              ;   in Loop: Header=BB89_65 Depth=1
	s_andn2_saveexec_b64 s[2:3], s[2:3]
	s_cbranch_execz .LBB89_63
; %bb.79:                               ;   in Loop: Header=BB89_65 Depth=1
	s_waitcnt lgkmcnt(0)
	v_add_co_u32_e32 v6, vcc, s22, v7
	v_addc_co_u32_e32 v7, vcc, v16, v8, vcc
	global_load_dwordx2 v[8:9], v[6:7], off
	ds_read_b64 v[6:7], v12
	v_subrev_u32_e32 v10, s8, v2
	v_lshl_add_u32 v10, v10, 3, v17
	s_waitcnt vmcnt(0) lgkmcnt(0)
	v_mul_f32_e64 v11, v9, -v7
	v_mul_f32_e32 v9, v9, v6
	v_fmac_f32_e32 v11, v6, v8
	v_fmac_f32_e32 v9, v7, v8
	ds_add_f32 v10, v11
	ds_add_f32 v10, v9 offset:4
	s_branch .LBB89_63
.LBB89_80:
	s_or_b64 exec, exec, s[40:41]
                                        ; implicit-def: $vgpr2_vgpr3
                                        ; implicit-def: $vgpr4
.LBB89_81:
	s_andn2_saveexec_b64 s[4:5], s[20:21]
	s_cbranch_execz .LBB89_139
; %bb.82:
	s_add_u32 s20, s26, -1
	s_addc_u32 s21, s27, -1
	s_add_u32 s0, s26, -2
	s_addc_u32 s1, s27, -1
	s_cmp_lg_u64 s[24:25], s[0:1]
	v_mov_b32_e32 v8, s24
	v_mov_b32_e32 v10, s20
	s_cselect_b64 s[2:3], -1, 0
	s_cmp_eq_u64 s[24:25], s[0:1]
	v_mov_b32_e32 v9, s25
	v_mov_b32_e32 v11, s21
	s_cbranch_scc1 .LBB89_86
; %bb.83:
	v_mov_b32_e32 v8, s24
	v_mov_b32_e32 v10, s20
	s_mov_b64 s[38:39], 0
	v_mov_b32_e32 v9, s25
	v_mov_b32_e32 v11, s21
	;; [unrolled: 1-line block ×3, first 2 shown]
.LBB89_84:                              ; =>This Inner Loop Header: Depth=1
	v_add_co_u32_e32 v7, vcc, v10, v8
	v_addc_co_u32_e32 v13, vcc, v11, v9, vcc
	v_lshrrev_b32_e32 v12, 31, v13
	v_add_co_u32_e32 v12, vcc, v7, v12
	v_addc_co_u32_e32 v13, vcc, 0, v13, vcc
	v_ashrrev_i64 v[12:13], 1, v[12:13]
	v_lshlrev_b64 v[14:15], 3, v[12:13]
	v_add_co_u32_e32 v14, vcc, s16, v14
	v_addc_co_u32_e32 v15, vcc, v6, v15, vcc
	global_load_dwordx2 v[14:15], v[14:15], off
	s_waitcnt vmcnt(0)
	v_subrev_co_u32_e32 v14, vcc, s30, v14
	v_subbrev_co_u32_e32 v15, vcc, 0, v15, vcc
	v_cmp_lt_i64_e32 vcc, v[4:5], v[14:15]
	v_cndmask_b32_e32 v10, v10, v12, vcc
	v_cndmask_b32_e32 v11, v11, v13, vcc
	;; [unrolled: 1-line block ×3, first 2 shown]
	v_add_co_u32_e64 v12, s[0:1], -1, v10
	v_cndmask_b32_e32 v9, v13, v9, vcc
	v_addc_co_u32_e64 v13, s[0:1], -1, v11, s[0:1]
	v_cmp_ge_i64_e32 vcc, v[8:9], v[10:11]
	v_cmp_eq_u64_e64 s[0:1], v[8:9], v[12:13]
	s_or_b64 s[0:1], vcc, s[0:1]
	s_and_b64 s[0:1], exec, s[0:1]
	s_or_b64 s[38:39], s[0:1], s[38:39]
	s_andn2_b64 exec, exec, s[38:39]
	s_cbranch_execnz .LBB89_84
; %bb.85:
	s_or_b64 exec, exec, s[38:39]
.LBB89_86:
	v_lshlrev_b64 v[6:7], 3, v[10:11]
	v_mov_b32_e32 v12, s17
	v_add_co_u32_e32 v6, vcc, s16, v6
	v_addc_co_u32_e32 v7, vcc, v12, v7, vcc
	global_load_dwordx2 v[12:13], v[6:7], off
	v_lshlrev_b64 v[6:7], 3, v[4:5]
	v_mov_b32_e32 v14, s19
	v_add_co_u32_e32 v6, vcc, s18, v6
	v_addc_co_u32_e32 v7, vcc, v14, v7, vcc
	global_load_dwordx2 v[14:15], v[6:7], off
	s_lshl_b64 s[0:1], s[26:27], 3
	s_add_u32 s18, s16, s0
	s_addc_u32 s19, s17, s1
	s_waitcnt vmcnt(1)
	v_subrev_co_u32_e32 v12, vcc, s30, v12
	v_subbrev_co_u32_e32 v13, vcc, 0, v13, vcc
	v_cmp_lt_i64_e32 vcc, v[4:5], v[12:13]
	v_cndmask_b32_e32 v11, v11, v9, vcc
	v_cndmask_b32_e32 v10, v10, v8, vcc
	s_waitcnt vmcnt(0)
	v_subrev_co_u32_e32 v8, vcc, s30, v14
	v_subbrev_co_u32_e32 v9, vcc, 0, v15, vcc
	v_cmp_ne_u64_e32 vcc, v[8:9], v[10:11]
	s_and_saveexec_b64 s[38:39], vcc
	s_cbranch_execz .LBB89_96
; %bb.87:
	s_load_dwordx2 s[0:1], s[18:19], 0x0
	s_waitcnt lgkmcnt(0)
	s_sub_u32 s0, s0, s30
	s_subb_u32 s1, s1, 0
	v_cmp_gt_i64_e32 vcc, s[0:1], v[4:5]
	s_and_b64 exec, exec, vcc
	s_cbranch_execz .LBB89_96
; %bb.88:
	v_cmp_gt_i64_e32 vcc, s[8:9], v[8:9]
	v_cmp_le_i64_e64 s[0:1], s[26:27], v[8:9]
	v_lshlrev_b64 v[10:11], 3, v[10:11]
	s_or_b64 s[0:1], vcc, s[0:1]
	s_and_saveexec_b64 s[40:41], s[0:1]
	s_xor_b64 s[0:1], exec, s[40:41]
	s_cbranch_execz .LBB89_94
; %bb.89:
	v_lshlrev_b64 v[14:15], 3, v[8:9]
	v_mov_b32_e32 v12, s23
	v_add_co_u32_e32 v10, vcc, s22, v10
	v_addc_co_u32_e32 v11, vcc, v12, v11, vcc
	v_mov_b32_e32 v16, s15
	global_load_dwordx2 v[12:13], v[10:11], off
	v_add_co_u32_e32 v10, vcc, s14, v14
	v_addc_co_u32_e32 v11, vcc, v16, v15, vcc
	global_load_dword v17, v[10:11], off
	ds_read_b64 v[14:15], v18
	s_mov_b64 s[40:41], 0
	s_waitcnt vmcnt(1) lgkmcnt(0)
	v_mul_f32_e64 v19, v13, -v15
	v_fmac_f32_e32 v19, v14, v12
.LBB89_90:                              ; =>This Inner Loop Header: Depth=1
	s_waitcnt vmcnt(0)
	v_add_f32_e32 v16, v17, v19
	global_atomic_cmpswap v16, v[10:11], v[16:17], off glc
	s_waitcnt vmcnt(0)
	v_cmp_eq_u32_e32 vcc, v16, v17
	s_or_b64 s[40:41], vcc, s[40:41]
	v_mov_b32_e32 v17, v16
	s_andn2_b64 exec, exec, s[40:41]
	s_cbranch_execnz .LBB89_90
; %bb.91:
	s_or_b64 exec, exec, s[40:41]
	global_load_dword v16, v[10:11], off offset:4
	v_mul_f32_e32 v13, v13, v14
	v_fmac_f32_e32 v13, v15, v12
	s_mov_b64 s[40:41], 0
.LBB89_92:                              ; =>This Inner Loop Header: Depth=1
	s_waitcnt vmcnt(0)
	v_add_f32_e32 v15, v16, v13
	global_atomic_cmpswap v12, v[10:11], v[15:16], off offset:4 glc
	s_waitcnt vmcnt(0)
	v_cmp_eq_u32_e32 vcc, v12, v16
	s_or_b64 s[40:41], vcc, s[40:41]
	v_mov_b32_e32 v16, v12
	s_andn2_b64 exec, exec, s[40:41]
	s_cbranch_execnz .LBB89_92
; %bb.93:
	s_or_b64 exec, exec, s[40:41]
                                        ; implicit-def: $vgpr10_vgpr11
.LBB89_94:
	s_andn2_saveexec_b64 s[0:1], s[0:1]
	s_cbranch_execz .LBB89_96
; %bb.95:
	v_mov_b32_e32 v12, s23
	v_add_co_u32_e32 v10, vcc, s22, v10
	v_addc_co_u32_e32 v11, vcc, v12, v11, vcc
	global_load_dwordx2 v[10:11], v[10:11], off
	ds_read_b64 v[12:13], v18
	v_subrev_u32_e32 v14, s8, v8
	v_mov_b32_e32 v15, 0x2000
	v_lshl_add_u32 v14, v14, 3, v15
	s_waitcnt vmcnt(0) lgkmcnt(0)
	v_mul_f32_e64 v15, v11, -v13
	v_mul_f32_e32 v11, v11, v12
	v_fmac_f32_e32 v15, v12, v10
	v_fmac_f32_e32 v11, v13, v10
	ds_add_f32 v14, v15
	ds_add_f32 v14, v11 offset:4
.LBB89_96:
	s_or_b64 exec, exec, s[38:39]
	v_lshlrev_b64 v[8:9], 3, v[8:9]
	v_mov_b32_e32 v10, s23
	v_add_co_u32_e32 v8, vcc, s22, v8
	v_addc_co_u32_e32 v9, vcc, v10, v9, vcc
	global_load_dwordx2 v[12:13], v[8:9], off
	ds_read_b64 v[14:15], v18
	v_cndmask_b32_e64 v16, 0, 1, s[2:3]
	v_add_co_u32_e32 v10, vcc, 0x100, v4
	v_cmp_ne_u32_e64 s[0:1], 1, v16
	v_mov_b32_e32 v8, s24
	v_addc_co_u32_e32 v11, vcc, 0, v5, vcc
	v_mov_b32_e32 v9, s25
	s_andn2_b64 vcc, exec, s[2:3]
	s_waitcnt vmcnt(0) lgkmcnt(0)
	v_mul_f32_e64 v16, v13, -v15
	v_mul_f32_e32 v17, v13, v14
	v_fmac_f32_e32 v16, v14, v12
	v_fmac_f32_e32 v17, v15, v12
	v_mov_b32_e32 v12, s20
	v_mov_b32_e32 v13, s21
	ds_write_b64 v18, v[16:17]
	s_cbranch_vccnz .LBB89_100
; %bb.97:
	v_mov_b32_e32 v8, s24
	v_mov_b32_e32 v12, s20
	s_mov_b64 s[38:39], 0
	v_mov_b32_e32 v9, s25
	v_mov_b32_e32 v13, s21
	;; [unrolled: 1-line block ×3, first 2 shown]
.LBB89_98:                              ; =>This Inner Loop Header: Depth=1
	v_add_co_u32_e32 v15, vcc, v12, v8
	v_addc_co_u32_e32 v16, vcc, v13, v9, vcc
	v_lshrrev_b32_e32 v17, 31, v16
	v_add_co_u32_e32 v15, vcc, v15, v17
	v_addc_co_u32_e32 v16, vcc, 0, v16, vcc
	v_ashrrev_i64 v[15:16], 1, v[15:16]
	v_lshlrev_b64 v[19:20], 3, v[15:16]
	v_add_co_u32_e32 v19, vcc, s16, v19
	v_addc_co_u32_e32 v20, vcc, v14, v20, vcc
	global_load_dwordx2 v[19:20], v[19:20], off
	s_waitcnt vmcnt(0)
	v_subrev_co_u32_e32 v19, vcc, s30, v19
	v_subbrev_co_u32_e32 v20, vcc, 0, v20, vcc
	v_cmp_lt_i64_e32 vcc, v[10:11], v[19:20]
	v_cndmask_b32_e32 v12, v12, v15, vcc
	v_cndmask_b32_e32 v13, v13, v16, vcc
	;; [unrolled: 1-line block ×3, first 2 shown]
	v_add_co_u32_e64 v15, s[2:3], -1, v12
	v_cndmask_b32_e32 v9, v16, v9, vcc
	v_addc_co_u32_e64 v16, s[2:3], -1, v13, s[2:3]
	v_cmp_ge_i64_e32 vcc, v[8:9], v[12:13]
	v_cmp_eq_u64_e64 s[2:3], v[8:9], v[15:16]
	s_or_b64 s[2:3], vcc, s[2:3]
	s_and_b64 s[2:3], exec, s[2:3]
	s_or_b64 s[38:39], s[2:3], s[38:39]
	s_andn2_b64 exec, exec, s[38:39]
	s_cbranch_execnz .LBB89_98
; %bb.99:
	s_or_b64 exec, exec, s[38:39]
.LBB89_100:
	v_lshlrev_b64 v[14:15], 3, v[12:13]
	v_mov_b32_e32 v16, s17
	v_add_co_u32_e32 v14, vcc, s16, v14
	v_addc_co_u32_e32 v15, vcc, v16, v15, vcc
	global_load_dwordx2 v[16:17], v[14:15], off
	global_load_dwordx2 v[19:20], v[6:7], off offset:2048
	s_waitcnt vmcnt(1)
	v_subrev_co_u32_e32 v14, vcc, s30, v16
	v_subbrev_co_u32_e32 v15, vcc, 0, v17, vcc
	v_cmp_lt_i64_e32 vcc, v[10:11], v[14:15]
	v_cndmask_b32_e32 v13, v13, v9, vcc
	v_cndmask_b32_e32 v12, v12, v8, vcc
	s_waitcnt vmcnt(0)
	v_subrev_co_u32_e32 v8, vcc, s30, v19
	v_subbrev_co_u32_e32 v9, vcc, 0, v20, vcc
	v_cmp_ne_u64_e32 vcc, v[8:9], v[12:13]
	s_and_saveexec_b64 s[38:39], vcc
	s_cbranch_execz .LBB89_110
; %bb.101:
	s_load_dwordx2 s[2:3], s[18:19], 0x0
	s_waitcnt lgkmcnt(0)
	s_sub_u32 s2, s2, s30
	s_subb_u32 s3, s3, 0
	v_cmp_gt_i64_e32 vcc, s[2:3], v[10:11]
	s_and_b64 exec, exec, vcc
	s_cbranch_execz .LBB89_110
; %bb.102:
	v_cmp_gt_i64_e32 vcc, s[8:9], v[8:9]
	v_cmp_le_i64_e64 s[2:3], s[26:27], v[8:9]
	v_lshlrev_b64 v[10:11], 3, v[12:13]
	s_or_b64 s[2:3], vcc, s[2:3]
	s_and_saveexec_b64 s[40:41], s[2:3]
	s_xor_b64 s[2:3], exec, s[40:41]
	s_cbranch_execz .LBB89_108
; %bb.103:
	v_lshlrev_b64 v[14:15], 3, v[8:9]
	v_mov_b32_e32 v12, s23
	v_add_co_u32_e32 v10, vcc, s22, v10
	v_addc_co_u32_e32 v11, vcc, v12, v11, vcc
	v_mov_b32_e32 v16, s15
	global_load_dwordx2 v[12:13], v[10:11], off
	v_add_co_u32_e32 v10, vcc, s14, v14
	v_addc_co_u32_e32 v11, vcc, v16, v15, vcc
	global_load_dword v17, v[10:11], off
	ds_read_b64 v[14:15], v18 offset:2048
	s_mov_b64 s[40:41], 0
	s_waitcnt vmcnt(1) lgkmcnt(0)
	v_mul_f32_e64 v19, v13, -v15
	v_fmac_f32_e32 v19, v14, v12
.LBB89_104:                             ; =>This Inner Loop Header: Depth=1
	s_waitcnt vmcnt(0)
	v_add_f32_e32 v16, v17, v19
	global_atomic_cmpswap v16, v[10:11], v[16:17], off glc
	s_waitcnt vmcnt(0)
	v_cmp_eq_u32_e32 vcc, v16, v17
	s_or_b64 s[40:41], vcc, s[40:41]
	v_mov_b32_e32 v17, v16
	s_andn2_b64 exec, exec, s[40:41]
	s_cbranch_execnz .LBB89_104
; %bb.105:
	s_or_b64 exec, exec, s[40:41]
	global_load_dword v16, v[10:11], off offset:4
	v_mul_f32_e32 v13, v13, v14
	v_fmac_f32_e32 v13, v15, v12
	s_mov_b64 s[40:41], 0
.LBB89_106:                             ; =>This Inner Loop Header: Depth=1
	s_waitcnt vmcnt(0)
	v_add_f32_e32 v15, v16, v13
	global_atomic_cmpswap v12, v[10:11], v[15:16], off offset:4 glc
	s_waitcnt vmcnt(0)
	v_cmp_eq_u32_e32 vcc, v12, v16
	s_or_b64 s[40:41], vcc, s[40:41]
	v_mov_b32_e32 v16, v12
	s_andn2_b64 exec, exec, s[40:41]
	s_cbranch_execnz .LBB89_106
; %bb.107:
	s_or_b64 exec, exec, s[40:41]
                                        ; implicit-def: $vgpr10_vgpr11
.LBB89_108:
	s_andn2_saveexec_b64 s[2:3], s[2:3]
	s_cbranch_execz .LBB89_110
; %bb.109:
	v_mov_b32_e32 v12, s23
	v_add_co_u32_e32 v10, vcc, s22, v10
	v_addc_co_u32_e32 v11, vcc, v12, v11, vcc
	global_load_dwordx2 v[10:11], v[10:11], off
	ds_read_b64 v[12:13], v18 offset:2048
	v_subrev_u32_e32 v14, s8, v8
	v_mov_b32_e32 v15, 0x2000
	v_lshl_add_u32 v14, v14, 3, v15
	s_waitcnt vmcnt(0) lgkmcnt(0)
	v_mul_f32_e64 v15, v11, -v13
	v_mul_f32_e32 v11, v11, v12
	v_fmac_f32_e32 v15, v12, v10
	v_fmac_f32_e32 v11, v13, v10
	ds_add_f32 v14, v15
	ds_add_f32 v14, v11 offset:4
.LBB89_110:
	s_or_b64 exec, exec, s[38:39]
	v_lshlrev_b64 v[8:9], 3, v[8:9]
	v_mov_b32_e32 v10, s23
	v_add_co_u32_e32 v8, vcc, s22, v8
	v_addc_co_u32_e32 v9, vcc, v10, v9, vcc
	global_load_dwordx2 v[12:13], v[8:9], off
	ds_read_b64 v[14:15], v18 offset:2048
	v_add_co_u32_e32 v8, vcc, 0x200, v4
	v_addc_co_u32_e32 v9, vcc, 0, v5, vcc
	v_mov_b32_e32 v10, s24
	v_mov_b32_e32 v11, s25
	s_and_b64 vcc, exec, s[0:1]
	s_waitcnt vmcnt(0) lgkmcnt(0)
	v_mul_f32_e64 v4, v13, -v15
	v_mul_f32_e32 v5, v13, v14
	v_fmac_f32_e32 v4, v14, v12
	v_fmac_f32_e32 v5, v15, v12
	ds_write_b64 v18, v[4:5] offset:2048
	v_mov_b32_e32 v4, s20
	v_mov_b32_e32 v5, s21
	s_cbranch_vccnz .LBB89_114
; %bb.111:
	v_mov_b32_e32 v10, s24
	v_mov_b32_e32 v4, s20
	s_mov_b64 s[38:39], 0
	v_mov_b32_e32 v11, s25
	v_mov_b32_e32 v5, s21
	;; [unrolled: 1-line block ×3, first 2 shown]
.LBB89_112:                             ; =>This Inner Loop Header: Depth=1
	v_add_co_u32_e32 v13, vcc, v4, v10
	v_addc_co_u32_e32 v14, vcc, v5, v11, vcc
	v_lshrrev_b32_e32 v15, 31, v14
	v_add_co_u32_e32 v13, vcc, v13, v15
	v_addc_co_u32_e32 v14, vcc, 0, v14, vcc
	v_ashrrev_i64 v[13:14], 1, v[13:14]
	v_lshlrev_b64 v[15:16], 3, v[13:14]
	v_add_co_u32_e32 v15, vcc, s16, v15
	v_addc_co_u32_e32 v16, vcc, v12, v16, vcc
	global_load_dwordx2 v[15:16], v[15:16], off
	s_waitcnt vmcnt(0)
	v_subrev_co_u32_e32 v15, vcc, s30, v15
	v_subbrev_co_u32_e32 v16, vcc, 0, v16, vcc
	v_cmp_lt_i64_e32 vcc, v[8:9], v[15:16]
	v_cndmask_b32_e32 v4, v4, v13, vcc
	v_cndmask_b32_e32 v5, v5, v14, vcc
	v_cndmask_b32_e32 v10, v13, v10, vcc
	v_add_co_u32_e64 v13, s[2:3], -1, v4
	v_cndmask_b32_e32 v11, v14, v11, vcc
	v_addc_co_u32_e64 v14, s[2:3], -1, v5, s[2:3]
	v_cmp_ge_i64_e32 vcc, v[10:11], v[4:5]
	v_cmp_eq_u64_e64 s[2:3], v[10:11], v[13:14]
	s_or_b64 s[2:3], vcc, s[2:3]
	s_and_b64 s[2:3], exec, s[2:3]
	s_or_b64 s[38:39], s[2:3], s[38:39]
	s_andn2_b64 exec, exec, s[38:39]
	s_cbranch_execnz .LBB89_112
; %bb.113:
	s_or_b64 exec, exec, s[38:39]
.LBB89_114:
	v_lshlrev_b64 v[12:13], 3, v[4:5]
	v_mov_b32_e32 v14, s17
	v_add_co_u32_e32 v12, vcc, s16, v12
	v_addc_co_u32_e32 v13, vcc, v14, v13, vcc
	global_load_dwordx2 v[12:13], v[12:13], off
	v_add_co_u32_e32 v14, vcc, 0x1000, v6
	v_addc_co_u32_e32 v15, vcc, 0, v7, vcc
	global_load_dwordx2 v[14:15], v[14:15], off
	s_waitcnt vmcnt(1)
	v_subrev_co_u32_e32 v12, vcc, s30, v12
	v_subbrev_co_u32_e32 v13, vcc, 0, v13, vcc
	v_cmp_lt_i64_e32 vcc, v[8:9], v[12:13]
	v_cndmask_b32_e32 v11, v5, v11, vcc
	v_cndmask_b32_e32 v10, v4, v10, vcc
	s_waitcnt vmcnt(0)
	v_subrev_co_u32_e32 v4, vcc, s30, v14
	v_subbrev_co_u32_e32 v5, vcc, 0, v15, vcc
	v_cmp_ne_u64_e32 vcc, v[4:5], v[10:11]
	s_and_saveexec_b64 s[38:39], vcc
	s_cbranch_execz .LBB89_124
; %bb.115:
	s_load_dwordx2 s[2:3], s[18:19], 0x0
	s_waitcnt lgkmcnt(0)
	s_sub_u32 s2, s2, s30
	s_subb_u32 s3, s3, 0
	v_cmp_gt_i64_e32 vcc, s[2:3], v[8:9]
	s_and_b64 exec, exec, vcc
	s_cbranch_execz .LBB89_124
; %bb.116:
	v_cmp_gt_i64_e32 vcc, s[8:9], v[4:5]
	v_cmp_le_i64_e64 s[2:3], s[26:27], v[4:5]
	v_lshlrev_b64 v[8:9], 3, v[10:11]
	s_or_b64 s[2:3], vcc, s[2:3]
	s_and_saveexec_b64 s[40:41], s[2:3]
	s_xor_b64 s[2:3], exec, s[40:41]
	s_cbranch_execz .LBB89_122
; %bb.117:
	v_lshlrev_b64 v[12:13], 3, v[4:5]
	v_mov_b32_e32 v10, s23
	v_add_co_u32_e32 v8, vcc, s22, v8
	v_addc_co_u32_e32 v9, vcc, v10, v9, vcc
	v_mov_b32_e32 v14, s15
	global_load_dwordx2 v[10:11], v[8:9], off
	v_add_co_u32_e32 v8, vcc, s14, v12
	v_addc_co_u32_e32 v9, vcc, v14, v13, vcc
	global_load_dword v15, v[8:9], off
	ds_read_b64 v[12:13], v18 offset:4096
	s_mov_b64 s[40:41], 0
	s_waitcnt vmcnt(1) lgkmcnt(0)
	v_mul_f32_e64 v16, v11, -v13
	v_fmac_f32_e32 v16, v12, v10
.LBB89_118:                             ; =>This Inner Loop Header: Depth=1
	s_waitcnt vmcnt(0)
	v_add_f32_e32 v14, v15, v16
	global_atomic_cmpswap v14, v[8:9], v[14:15], off glc
	s_waitcnt vmcnt(0)
	v_cmp_eq_u32_e32 vcc, v14, v15
	s_or_b64 s[40:41], vcc, s[40:41]
	v_mov_b32_e32 v15, v14
	s_andn2_b64 exec, exec, s[40:41]
	s_cbranch_execnz .LBB89_118
; %bb.119:
	s_or_b64 exec, exec, s[40:41]
	global_load_dword v14, v[8:9], off offset:4
	v_mul_f32_e32 v11, v11, v12
	v_fmac_f32_e32 v11, v13, v10
	s_mov_b64 s[40:41], 0
.LBB89_120:                             ; =>This Inner Loop Header: Depth=1
	s_waitcnt vmcnt(0)
	v_add_f32_e32 v13, v14, v11
	global_atomic_cmpswap v10, v[8:9], v[13:14], off offset:4 glc
	s_waitcnt vmcnt(0)
	v_cmp_eq_u32_e32 vcc, v10, v14
	s_or_b64 s[40:41], vcc, s[40:41]
	v_mov_b32_e32 v14, v10
	s_andn2_b64 exec, exec, s[40:41]
	s_cbranch_execnz .LBB89_120
; %bb.121:
	s_or_b64 exec, exec, s[40:41]
                                        ; implicit-def: $vgpr8_vgpr9
.LBB89_122:
	s_andn2_saveexec_b64 s[2:3], s[2:3]
	s_cbranch_execz .LBB89_124
; %bb.123:
	v_mov_b32_e32 v10, s23
	v_add_co_u32_e32 v8, vcc, s22, v8
	v_addc_co_u32_e32 v9, vcc, v10, v9, vcc
	global_load_dwordx2 v[8:9], v[8:9], off
	ds_read_b64 v[10:11], v18 offset:4096
	v_subrev_u32_e32 v12, s8, v4
	v_mov_b32_e32 v13, 0x2000
	v_lshl_add_u32 v12, v12, 3, v13
	s_waitcnt vmcnt(0) lgkmcnt(0)
	v_mul_f32_e64 v13, v9, -v11
	v_mul_f32_e32 v9, v9, v10
	v_fmac_f32_e32 v13, v10, v8
	v_fmac_f32_e32 v9, v11, v8
	ds_add_f32 v12, v13
	ds_add_f32 v12, v9 offset:4
.LBB89_124:
	s_or_b64 exec, exec, s[38:39]
	v_lshlrev_b64 v[4:5], 3, v[4:5]
	v_mov_b32_e32 v8, s23
	v_add_co_u32_e32 v4, vcc, s22, v4
	v_addc_co_u32_e32 v5, vcc, v8, v5, vcc
	global_load_dwordx2 v[8:9], v[4:5], off
	ds_read_b64 v[10:11], v18 offset:4096
	v_mov_b32_e32 v4, s24
	s_and_b64 vcc, exec, s[0:1]
	v_mov_b32_e32 v5, s25
	s_waitcnt vmcnt(0) lgkmcnt(0)
	v_mul_f32_e64 v12, v9, -v11
	v_mul_f32_e32 v13, v9, v10
	v_fmac_f32_e32 v12, v10, v8
	v_fmac_f32_e32 v13, v11, v8
	v_mov_b32_e32 v8, s20
	v_mov_b32_e32 v9, s21
	ds_write_b64 v18, v[12:13] offset:4096
	s_cbranch_vccnz .LBB89_128
; %bb.125:
	v_mov_b32_e32 v4, s24
	v_mov_b32_e32 v8, s20
	s_mov_b64 s[2:3], 0
	v_mov_b32_e32 v5, s25
	v_mov_b32_e32 v9, s21
	;; [unrolled: 1-line block ×3, first 2 shown]
.LBB89_126:                             ; =>This Inner Loop Header: Depth=1
	v_add_co_u32_e32 v11, vcc, v8, v4
	v_addc_co_u32_e32 v12, vcc, v9, v5, vcc
	v_lshrrev_b32_e32 v13, 31, v12
	v_add_co_u32_e32 v11, vcc, v11, v13
	v_addc_co_u32_e32 v12, vcc, 0, v12, vcc
	v_ashrrev_i64 v[11:12], 1, v[11:12]
	v_lshlrev_b64 v[13:14], 3, v[11:12]
	v_add_co_u32_e32 v13, vcc, s16, v13
	v_addc_co_u32_e32 v14, vcc, v10, v14, vcc
	global_load_dwordx2 v[13:14], v[13:14], off
	s_waitcnt vmcnt(0)
	v_subrev_co_u32_e32 v13, vcc, s30, v13
	v_subbrev_co_u32_e32 v14, vcc, 0, v14, vcc
	v_cmp_lt_i64_e32 vcc, v[2:3], v[13:14]
	v_cndmask_b32_e32 v8, v8, v11, vcc
	v_cndmask_b32_e32 v9, v9, v12, vcc
	;; [unrolled: 1-line block ×3, first 2 shown]
	v_add_co_u32_e64 v11, s[0:1], -1, v8
	v_cndmask_b32_e32 v5, v12, v5, vcc
	v_addc_co_u32_e64 v12, s[0:1], -1, v9, s[0:1]
	v_cmp_ge_i64_e32 vcc, v[4:5], v[8:9]
	v_cmp_eq_u64_e64 s[0:1], v[4:5], v[11:12]
	s_or_b64 s[0:1], vcc, s[0:1]
	s_and_b64 s[0:1], exec, s[0:1]
	s_or_b64 s[2:3], s[0:1], s[2:3]
	s_andn2_b64 exec, exec, s[2:3]
	s_cbranch_execnz .LBB89_126
; %bb.127:
	s_or_b64 exec, exec, s[2:3]
.LBB89_128:
	v_lshlrev_b64 v[10:11], 3, v[8:9]
	v_mov_b32_e32 v12, s17
	v_add_co_u32_e32 v10, vcc, s16, v10
	v_addc_co_u32_e32 v11, vcc, v12, v11, vcc
	global_load_dwordx2 v[10:11], v[10:11], off
	v_add_co_u32_e32 v6, vcc, 0x1000, v6
	v_addc_co_u32_e32 v7, vcc, 0, v7, vcc
	global_load_dwordx2 v[12:13], v[6:7], off offset:2048
	s_waitcnt vmcnt(1)
	v_subrev_co_u32_e32 v6, vcc, s30, v10
	v_subbrev_co_u32_e32 v7, vcc, 0, v11, vcc
	v_cmp_lt_i64_e32 vcc, v[2:3], v[6:7]
	v_cndmask_b32_e32 v7, v9, v5, vcc
	v_cndmask_b32_e32 v6, v8, v4, vcc
	s_waitcnt vmcnt(0)
	v_subrev_co_u32_e32 v4, vcc, s30, v12
	v_subbrev_co_u32_e32 v5, vcc, 0, v13, vcc
	v_cmp_ne_u64_e32 vcc, v[4:5], v[6:7]
	s_and_saveexec_b64 s[2:3], vcc
	s_cbranch_execz .LBB89_138
; %bb.129:
	s_load_dwordx2 s[0:1], s[18:19], 0x0
	s_waitcnt lgkmcnt(0)
	s_sub_u32 s0, s0, s30
	s_subb_u32 s1, s1, 0
	v_cmp_gt_i64_e32 vcc, s[0:1], v[2:3]
	s_and_b64 exec, exec, vcc
	s_cbranch_execz .LBB89_138
; %bb.130:
	v_cmp_gt_i64_e32 vcc, s[8:9], v[4:5]
	v_cmp_le_i64_e64 s[0:1], s[26:27], v[4:5]
	v_lshlrev_b64 v[2:3], 3, v[6:7]
	s_or_b64 s[0:1], vcc, s[0:1]
	s_and_saveexec_b64 s[18:19], s[0:1]
	s_xor_b64 s[0:1], exec, s[18:19]
	s_cbranch_execz .LBB89_136
; %bb.131:
	v_lshlrev_b64 v[8:9], 3, v[4:5]
	v_mov_b32_e32 v6, s23
	v_add_co_u32_e32 v2, vcc, s22, v2
	v_addc_co_u32_e32 v3, vcc, v6, v3, vcc
	v_mov_b32_e32 v10, s15
	global_load_dwordx2 v[6:7], v[2:3], off
	v_add_co_u32_e32 v2, vcc, s14, v8
	v_addc_co_u32_e32 v3, vcc, v10, v9, vcc
	global_load_dword v11, v[2:3], off
	ds_read_b64 v[8:9], v18 offset:6144
	s_mov_b64 s[18:19], 0
	s_waitcnt vmcnt(1) lgkmcnt(0)
	v_mul_f32_e64 v12, v7, -v9
	v_fmac_f32_e32 v12, v8, v6
.LBB89_132:                             ; =>This Inner Loop Header: Depth=1
	s_waitcnt vmcnt(0)
	v_add_f32_e32 v10, v11, v12
	global_atomic_cmpswap v10, v[2:3], v[10:11], off glc
	s_waitcnt vmcnt(0)
	v_cmp_eq_u32_e32 vcc, v10, v11
	s_or_b64 s[18:19], vcc, s[18:19]
	v_mov_b32_e32 v11, v10
	s_andn2_b64 exec, exec, s[18:19]
	s_cbranch_execnz .LBB89_132
; %bb.133:
	s_or_b64 exec, exec, s[18:19]
	global_load_dword v10, v[2:3], off offset:4
	v_mul_f32_e32 v7, v7, v8
	v_fmac_f32_e32 v7, v9, v6
	s_mov_b64 s[18:19], 0
.LBB89_134:                             ; =>This Inner Loop Header: Depth=1
	s_waitcnt vmcnt(0)
	v_add_f32_e32 v9, v10, v7
	global_atomic_cmpswap v6, v[2:3], v[9:10], off offset:4 glc
	s_waitcnt vmcnt(0)
	v_cmp_eq_u32_e32 vcc, v6, v10
	s_or_b64 s[18:19], vcc, s[18:19]
	v_mov_b32_e32 v10, v6
	s_andn2_b64 exec, exec, s[18:19]
	s_cbranch_execnz .LBB89_134
; %bb.135:
	s_or_b64 exec, exec, s[18:19]
                                        ; implicit-def: $vgpr2_vgpr3
.LBB89_136:
	s_andn2_saveexec_b64 s[0:1], s[0:1]
	s_cbranch_execz .LBB89_138
; %bb.137:
	v_mov_b32_e32 v6, s23
	v_add_co_u32_e32 v2, vcc, s22, v2
	v_addc_co_u32_e32 v3, vcc, v6, v3, vcc
	global_load_dwordx2 v[2:3], v[2:3], off
	ds_read_b64 v[6:7], v18 offset:6144
	v_subrev_u32_e32 v8, s8, v4
	v_mov_b32_e32 v9, 0x2000
	v_lshl_add_u32 v8, v8, 3, v9
	s_waitcnt vmcnt(0) lgkmcnt(0)
	v_mul_f32_e64 v9, v3, -v7
	v_mul_f32_e32 v3, v3, v6
	v_fmac_f32_e32 v9, v6, v2
	v_fmac_f32_e32 v3, v7, v2
	ds_add_f32 v8, v9
	ds_add_f32 v8, v3 offset:4
.LBB89_138:
	s_or_b64 exec, exec, s[2:3]
	v_lshlrev_b64 v[2:3], 3, v[4:5]
	v_mov_b32_e32 v4, s23
	v_add_co_u32_e32 v2, vcc, s22, v2
	v_addc_co_u32_e32 v3, vcc, v4, v3, vcc
	global_load_dwordx2 v[2:3], v[2:3], off
	ds_read_b64 v[4:5], v18 offset:6144
	s_waitcnt vmcnt(0) lgkmcnt(0)
	v_mul_f32_e64 v6, v3, -v5
	v_mul_f32_e32 v7, v3, v4
	v_fmac_f32_e32 v6, v4, v2
	v_fmac_f32_e32 v7, v5, v2
	ds_write_b64 v18, v[6:7] offset:6144
.LBB89_139:
	s_or_b64 exec, exec, s[4:5]
	v_mov_b32_e32 v2, s10
	v_mov_b32_e32 v3, s11
	v_cmp_lt_i64_e32 vcc, s[26:27], v[2:3]
	s_waitcnt lgkmcnt(0)
	s_and_b64 s[0:1], vcc, exec
	s_cselect_b32 s10, s26, s10
	s_cselect_b32 s0, s27, s11
	s_sub_u32 s2, s10, s28
	s_subb_u32 s3, s0, s29
	v_cmp_gt_i64_e32 vcc, s[2:3], v[0:1]
	s_barrier
	s_and_saveexec_b64 s[0:1], vcc
	s_cbranch_execz .LBB89_146
; %bb.140:
	s_lshl_b64 s[4:5], s[8:9], 3
	s_add_u32 s11, s14, s4
	s_addc_u32 s8, s15, s5
	v_mov_b32_e32 v3, v1
	s_mov_b64 s[4:5], 0
	v_mov_b32_e32 v10, s8
	v_mov_b32_e32 v11, 0x2000
	;; [unrolled: 1-line block ×3, first 2 shown]
.LBB89_141:                             ; =>This Loop Header: Depth=1
                                        ;     Child Loop BB89_142 Depth 2
                                        ;     Child Loop BB89_144 Depth 2
	v_lshlrev_b64 v[4:5], 3, v[2:3]
	v_lshl_add_u32 v6, v2, 3, v11
	v_add_co_u32_e32 v4, vcc, s11, v4
	v_addc_co_u32_e32 v5, vcc, v10, v5, vcc
	global_load_dword v9, v[4:5], off
	ds_read2_b32 v[6:7], v6 offset1:1
	s_mov_b64 s[8:9], 0
.LBB89_142:                             ;   Parent Loop BB89_141 Depth=1
                                        ; =>  This Inner Loop Header: Depth=2
	s_waitcnt vmcnt(0) lgkmcnt(0)
	v_add_f32_e32 v8, v9, v6
	global_atomic_cmpswap v8, v[4:5], v[8:9], off glc
	s_waitcnt vmcnt(0)
	v_cmp_eq_u32_e32 vcc, v8, v9
	s_or_b64 s[8:9], vcc, s[8:9]
	v_mov_b32_e32 v9, v8
	s_andn2_b64 exec, exec, s[8:9]
	s_cbranch_execnz .LBB89_142
; %bb.143:                              ;   in Loop: Header=BB89_141 Depth=1
	s_or_b64 exec, exec, s[8:9]
	global_load_dword v9, v[4:5], off offset:4
	s_mov_b64 s[8:9], 0
.LBB89_144:                             ;   Parent Loop BB89_141 Depth=1
                                        ; =>  This Inner Loop Header: Depth=2
	s_waitcnt vmcnt(0)
	v_add_f32_e32 v8, v9, v7
	global_atomic_cmpswap v6, v[4:5], v[8:9], off offset:4 glc
	s_waitcnt vmcnt(0)
	v_cmp_eq_u32_e32 vcc, v6, v9
	s_or_b64 s[8:9], vcc, s[8:9]
	v_mov_b32_e32 v9, v6
	s_andn2_b64 exec, exec, s[8:9]
	s_cbranch_execnz .LBB89_144
; %bb.145:                              ;   in Loop: Header=BB89_141 Depth=1
	s_or_b64 exec, exec, s[8:9]
	v_add_co_u32_e32 v2, vcc, 0x100, v2
	v_addc_co_u32_e32 v3, vcc, 0, v3, vcc
	v_cmp_le_i64_e32 vcc, s[2:3], v[2:3]
	s_or_b64 s[4:5], vcc, s[4:5]
	s_andn2_b64 exec, exec, s[4:5]
	s_cbranch_execnz .LBB89_141
.LBB89_146:
	s_or_b64 exec, exec, s[0:1]
	s_add_i32 s0, s36, -1
	s_ashr_i32 s1, s0, 1
	s_or_b32 s0, s1, s0
	s_ashr_i32 s1, s0, 2
	s_or_b32 s0, s1, s0
	;; [unrolled: 2-line block ×5, first 2 shown]
	s_add_i32 s0, s0, 1
	s_ashr_i32 s3, s0, 1
	v_mov_b32_e32 v2, s25
	v_add_co_u32_e32 v6, vcc, s24, v0
	v_addc_co_u32_e32 v7, vcc, 0, v2, vcc
	s_cmp_gt_i32 s3, 1
	s_mov_b64 s[0:1], -1
	s_barrier
	s_cbranch_scc1 .LBB89_159
; %bb.147:
	v_cmp_gt_i64_e32 vcc, s[26:27], v[6:7]
	s_and_saveexec_b64 s[0:1], vcc
	s_cbranch_execz .LBB89_158
; %bb.148:
	s_sub_i32 s4, s10, s26
	s_lshl_b32 s4, s4, 3
	s_add_i32 s13, s4, 0x2000
	s_lshl_b32 s4, s6, 3
	v_mov_b32_e32 v9, v7
	s_sub_i32 s18, 0, s4
	s_mov_b64 s[4:5], 0
	v_mov_b32_e32 v14, s17
	v_mov_b32_e32 v15, s15
	;; [unrolled: 1-line block ×3, first 2 shown]
.LBB89_149:                             ; =>This Loop Header: Depth=1
                                        ;     Child Loop BB89_151 Depth 2
                                        ;     Child Loop BB89_154 Depth 2
	;; [unrolled: 1-line block ×3, first 2 shown]
	v_lshlrev_b64 v[10:11], 3, v[8:9]
	v_mov_b32_e32 v16, 0
	v_add_co_u32_e32 v2, vcc, s16, v10
	v_addc_co_u32_e32 v3, vcc, v14, v11, vcc
	global_load_dwordx4 v[2:5], v[2:3], off
	v_mov_b32_e32 v17, 0
	s_waitcnt vmcnt(0)
	v_cmp_lt_i64_e32 vcc, v[2:3], v[4:5]
	s_and_saveexec_b64 s[8:9], vcc
	s_cbranch_execz .LBB89_153
; %bb.150:                              ;   in Loop: Header=BB89_149 Depth=1
	v_mov_b32_e32 v12, s7
	v_subrev_co_u32_e32 v4, vcc, s6, v4
	v_subb_co_u32_e32 v5, vcc, v5, v12, vcc
	v_mov_b32_e32 v13, s7
	v_subrev_co_u32_e32 v12, vcc, s6, v2
	v_subb_co_u32_e32 v13, vcc, v3, v13, vcc
	v_lshl_add_u32 v2, v2, 3, s18
	v_mov_b32_e32 v16, 0
	s_mov_b64 s[10:11], 0
	v_mov_b32_e32 v17, 0
.LBB89_151:                             ;   Parent Loop BB89_149 Depth=1
                                        ; =>  This Inner Loop Header: Depth=2
	ds_read_b64 v[19:20], v2
	v_add_co_u32_e32 v12, vcc, 1, v12
	v_addc_co_u32_e32 v13, vcc, 0, v13, vcc
	v_cmp_ge_i64_e32 vcc, v[12:13], v[4:5]
	v_add_u32_e32 v2, 8, v2
	s_or_b64 s[10:11], vcc, s[10:11]
	s_waitcnt lgkmcnt(0)
	v_add_f32_e32 v17, v17, v19
	v_add_f32_e32 v16, v16, v20
	s_andn2_b64 exec, exec, s[10:11]
	s_cbranch_execnz .LBB89_151
; %bb.152:                              ;   in Loop: Header=BB89_149 Depth=1
	s_or_b64 exec, exec, s[10:11]
.LBB89_153:                             ;   in Loop: Header=BB89_149 Depth=1
	s_or_b64 exec, exec, s[8:9]
	v_add_co_u32_e32 v2, vcc, s14, v10
	v_addc_co_u32_e32 v3, vcc, v15, v11, vcc
	global_load_dword v11, v[2:3], off
	v_lshl_add_u32 v4, v8, 3, s13
	ds_read2_b32 v[4:5], v4 offset1:1
	s_mov_b64 s[8:9], 0
	s_waitcnt lgkmcnt(0)
	v_add_f32_e32 v4, v17, v4
.LBB89_154:                             ;   Parent Loop BB89_149 Depth=1
                                        ; =>  This Inner Loop Header: Depth=2
	s_waitcnt vmcnt(0)
	v_add_f32_e32 v10, v11, v4
	global_atomic_cmpswap v10, v[2:3], v[10:11], off glc
	s_waitcnt vmcnt(0)
	v_cmp_eq_u32_e32 vcc, v10, v11
	s_or_b64 s[8:9], vcc, s[8:9]
	v_mov_b32_e32 v11, v10
	s_andn2_b64 exec, exec, s[8:9]
	s_cbranch_execnz .LBB89_154
; %bb.155:                              ;   in Loop: Header=BB89_149 Depth=1
	s_or_b64 exec, exec, s[8:9]
	global_load_dword v11, v[2:3], off offset:4
	v_add_f32_e32 v4, v16, v5
	s_mov_b64 s[8:9], 0
.LBB89_156:                             ;   Parent Loop BB89_149 Depth=1
                                        ; =>  This Inner Loop Header: Depth=2
	s_waitcnt vmcnt(0)
	v_add_f32_e32 v10, v11, v4
	global_atomic_cmpswap v5, v[2:3], v[10:11], off offset:4 glc
	s_waitcnt vmcnt(0)
	v_cmp_eq_u32_e32 vcc, v5, v11
	s_or_b64 s[8:9], vcc, s[8:9]
	v_mov_b32_e32 v11, v5
	s_andn2_b64 exec, exec, s[8:9]
	s_cbranch_execnz .LBB89_156
; %bb.157:                              ;   in Loop: Header=BB89_149 Depth=1
	s_or_b64 exec, exec, s[8:9]
	v_add_co_u32_e32 v8, vcc, s12, v8
	v_addc_co_u32_e32 v9, vcc, 0, v9, vcc
	v_cmp_le_i64_e32 vcc, s[26:27], v[8:9]
	s_or_b64 s[4:5], vcc, s[4:5]
	s_andn2_b64 exec, exec, s[4:5]
	s_cbranch_execnz .LBB89_149
.LBB89_158:
	s_or_b64 exec, exec, s[0:1]
	s_mov_b64 s[0:1], 0
.LBB89_159:
	s_andn2_b64 vcc, exec, s[0:1]
	s_cbranch_vccnz .LBB89_179
; %bb.160:
	v_cvt_f32_u32_e32 v2, s3
	s_sub_i32 s8, 0, s3
	v_mov_b32_e32 v5, 0
	v_mov_b32_e32 v8, s35
	v_rcp_iflag_f32_e32 v2, v2
	v_mov_b32_e32 v12, s7
	v_mul_f32_e32 v2, 0x4f7ffffe, v2
	v_cvt_u32_f32_e32 v2, v2
	v_mul_lo_u32 v3, s8, v2
	v_mul_hi_u32 v3, v2, v3
	v_add_u32_e32 v2, v2, v3
	v_mul_hi_u32 v2, v0, v2
	v_mul_lo_u32 v3, v2, s3
	v_add_u32_e32 v4, 1, v2
	v_sub_u32_e32 v3, v0, v3
	v_cmp_le_u32_e32 vcc, s3, v3
	v_cndmask_b32_e32 v2, v2, v4, vcc
	v_subrev_u32_e32 v4, s3, v3
	v_cndmask_b32_e32 v3, v3, v4, vcc
	v_add_u32_e32 v4, 1, v2
	v_cmp_le_u32_e32 vcc, s3, v3
	v_cndmask_b32_e32 v4, v2, v4, vcc
	v_lshlrev_b64 v[2:3], 3, v[4:5]
	v_add_co_u32_e32 v2, vcc, s34, v2
	v_addc_co_u32_e32 v3, vcc, v8, v3, vcc
	global_load_dwordx4 v[8:11], v[2:3], off
	v_mov_b32_e32 v3, s7
	s_waitcnt vmcnt(0)
	v_subrev_co_u32_e32 v2, vcc, s6, v8
	v_subb_co_u32_e32 v3, vcc, v9, v3, vcc
	v_subrev_co_u32_e32 v13, vcc, s6, v10
	v_subb_co_u32_e32 v14, vcc, v11, v12, vcc
	v_sub_co_u32_e32 v11, vcc, v13, v2
	v_subb_co_u32_e32 v10, vcc, v14, v3, vcc
	v_mov_b32_e32 v9, v5
	v_cmp_ne_u64_e32 vcc, 0, v[9:10]
                                        ; implicit-def: $vgpr8_vgpr9
	s_and_saveexec_b64 s[0:1], vcc
	s_xor_b64 s[4:5], exec, s[0:1]
	s_cbranch_execz .LBB89_162
; %bb.161:
	s_add_u32 s0, s3, 0
	s_addc_u32 s1, 0, 0
	s_xor_b64 s[6:7], s[0:1], 0
	v_cvt_f32_u32_e32 v8, s6
	v_cvt_f32_u32_e32 v9, s7
	s_sub_u32 s9, 0, s6
	s_subb_u32 s10, 0, s7
	v_ashrrev_i32_e32 v12, 31, v10
	v_madmk_f32 v8, v9, 0x4f800000, v8
	v_rcp_f32_e32 v8, v8
	v_mul_f32_e32 v8, 0x5f7ffffc, v8
	v_mul_f32_e32 v9, 0x2f800000, v8
	v_trunc_f32_e32 v9, v9
	v_madmk_f32 v8, v9, 0xcf800000, v8
	v_cvt_u32_f32_e32 v9, v9
	v_cvt_u32_f32_e32 v8, v8
	v_readfirstlane_b32 s11, v9
	v_readfirstlane_b32 s0, v8
	s_mul_i32 s1, s9, s11
	s_mul_hi_u32 s13, s9, s0
	s_mul_i32 s12, s10, s0
	s_add_i32 s1, s13, s1
	s_mul_i32 s16, s9, s0
	s_add_i32 s1, s1, s12
	s_mul_i32 s13, s0, s1
	s_mul_hi_u32 s17, s0, s16
	s_mul_hi_u32 s12, s0, s1
	s_add_u32 s13, s17, s13
	s_addc_u32 s12, 0, s12
	s_mul_hi_u32 s18, s11, s16
	s_mul_i32 s16, s11, s16
	s_add_u32 s13, s13, s16
	s_mul_hi_u32 s17, s11, s1
	s_addc_u32 s12, s12, s18
	s_addc_u32 s13, s17, 0
	s_mul_i32 s1, s11, s1
	s_add_u32 s1, s12, s1
	s_addc_u32 s12, 0, s13
	s_add_u32 s13, s0, s1
	s_cselect_b64 s[0:1], -1, 0
	s_cmp_lg_u64 s[0:1], 0
	s_addc_u32 s11, s11, s12
	s_mul_i32 s0, s9, s11
	s_mul_hi_u32 s1, s9, s13
	s_add_i32 s0, s1, s0
	s_mul_i32 s10, s10, s13
	s_add_i32 s0, s0, s10
	s_mul_i32 s9, s9, s13
	s_mul_hi_u32 s10, s11, s9
	s_mul_i32 s12, s11, s9
	s_mul_i32 s17, s13, s0
	s_mul_hi_u32 s9, s13, s9
	s_mul_hi_u32 s16, s13, s0
	s_add_u32 s9, s9, s17
	s_addc_u32 s16, 0, s16
	s_add_u32 s9, s9, s12
	s_mul_hi_u32 s1, s11, s0
	s_addc_u32 s9, s16, s10
	s_addc_u32 s1, s1, 0
	s_mul_i32 s0, s11, s0
	s_add_u32 s0, s9, s0
	s_addc_u32 s9, 0, s1
	s_add_u32 s10, s13, s0
	s_cselect_b64 s[0:1], -1, 0
	s_cmp_lg_u64 s[0:1], 0
	v_add_co_u32_e32 v8, vcc, v11, v12
	s_addc_u32 s9, s11, s9
	v_xor_b32_e32 v15, v8, v12
	v_mad_u64_u32 v[8:9], s[0:1], v15, s9, 0
	v_mul_hi_u32 v11, v15, s10
	v_addc_co_u32_e32 v10, vcc, v10, v12, vcc
	v_xor_b32_e32 v16, v10, v12
	v_add_co_u32_e32 v17, vcc, v11, v8
	v_addc_co_u32_e32 v19, vcc, 0, v9, vcc
	v_mad_u64_u32 v[8:9], s[0:1], v16, s10, 0
	v_mad_u64_u32 v[10:11], s[0:1], v16, s9, 0
	v_add_co_u32_e32 v8, vcc, v17, v8
	v_addc_co_u32_e32 v8, vcc, v19, v9, vcc
	v_addc_co_u32_e32 v9, vcc, 0, v11, vcc
	v_add_co_u32_e32 v10, vcc, v8, v10
	v_addc_co_u32_e32 v11, vcc, 0, v9, vcc
	v_mul_lo_u32 v17, s7, v10
	v_mul_lo_u32 v19, s6, v11
	v_mad_u64_u32 v[8:9], s[0:1], s6, v10, 0
	v_add3_u32 v9, v9, v19, v17
	v_sub_u32_e32 v17, v16, v9
	v_mov_b32_e32 v19, s7
	v_sub_co_u32_e32 v8, vcc, v15, v8
	v_subb_co_u32_e64 v15, s[0:1], v17, v19, vcc
	v_subrev_co_u32_e64 v17, s[0:1], s6, v8
	v_subbrev_co_u32_e64 v15, s[0:1], 0, v15, s[0:1]
	v_cmp_le_u32_e64 s[0:1], s7, v15
	v_cndmask_b32_e64 v19, 0, -1, s[0:1]
	v_cmp_le_u32_e64 s[0:1], s6, v17
	v_cndmask_b32_e64 v17, 0, -1, s[0:1]
	v_cmp_eq_u32_e64 s[0:1], s7, v15
	v_cndmask_b32_e64 v15, v19, v17, s[0:1]
	v_add_co_u32_e64 v17, s[0:1], 2, v10
	v_subb_co_u32_e32 v9, vcc, v16, v9, vcc
	v_addc_co_u32_e64 v19, s[0:1], 0, v11, s[0:1]
	v_cmp_le_u32_e32 vcc, s7, v9
	v_add_co_u32_e64 v20, s[0:1], 1, v10
	v_cndmask_b32_e64 v16, 0, -1, vcc
	v_cmp_le_u32_e32 vcc, s6, v8
	v_addc_co_u32_e64 v21, s[0:1], 0, v11, s[0:1]
	v_cndmask_b32_e64 v8, 0, -1, vcc
	v_cmp_eq_u32_e32 vcc, s7, v9
	v_cmp_ne_u32_e64 s[0:1], 0, v15
	v_cndmask_b32_e32 v8, v16, v8, vcc
	v_cndmask_b32_e64 v15, v21, v19, s[0:1]
	v_cmp_ne_u32_e32 vcc, 0, v8
	v_cndmask_b32_e64 v9, v20, v17, s[0:1]
	v_cndmask_b32_e32 v8, v11, v15, vcc
	v_cndmask_b32_e32 v9, v10, v9, vcc
	v_xor_b32_e32 v10, v8, v12
	v_xor_b32_e32 v8, v9, v12
	v_sub_co_u32_e32 v8, vcc, v8, v12
	v_subb_co_u32_e32 v9, vcc, v10, v12, vcc
                                        ; implicit-def: $vgpr11
.LBB89_162:
	s_andn2_saveexec_b64 s[0:1], s[4:5]
	s_cbranch_execz .LBB89_164
; %bb.163:
	v_cvt_f32_u32_e32 v8, s3
	v_rcp_iflag_f32_e32 v8, v8
	v_mul_f32_e32 v8, 0x4f7ffffe, v8
	v_cvt_u32_f32_e32 v8, v8
	v_mul_lo_u32 v9, s8, v8
	v_mul_hi_u32 v9, v8, v9
	v_add_u32_e32 v8, v8, v9
	v_mul_hi_u32 v8, v11, v8
	v_mul_lo_u32 v9, v8, s3
	v_add_u32_e32 v10, 1, v8
	v_sub_u32_e32 v9, v11, v9
	v_subrev_u32_e32 v11, s3, v9
	v_cmp_le_u32_e32 vcc, s3, v9
	v_cndmask_b32_e32 v9, v9, v11, vcc
	v_cndmask_b32_e32 v8, v8, v10, vcc
	v_add_u32_e32 v10, 1, v8
	v_cmp_le_u32_e32 vcc, s3, v9
	v_cndmask_b32_e32 v8, v8, v10, vcc
	v_mov_b32_e32 v9, 0
.LBB89_164:
	s_or_b64 exec, exec, s[0:1]
	v_cmp_gt_i64_e32 vcc, s[28:29], v[4:5]
	v_mov_b32_e32 v5, 0
	v_mov_b32_e32 v4, 0
	s_and_saveexec_b64 s[0:1], vcc
	s_cbranch_execz .LBB89_172
; %bb.165:
	s_add_i32 s4, s3, -1
	v_and_b32_e32 v10, s4, v0
	v_cmp_lt_i64_e32 vcc, 0, v[8:9]
	s_mov_b64 s[4:5], 0
	v_mov_b32_e32 v5, 0
	v_lshlrev_b32_e32 v15, 3, v10
	v_mov_b32_e32 v4, 0
	s_and_saveexec_b64 s[6:7], vcc
	s_cbranch_execz .LBB89_169
; %bb.166:
	v_mov_b32_e32 v5, 0
	v_mov_b32_e32 v12, v9
	v_lshl_add_u32 v16, v2, 3, v15
	s_lshl_b32 s8, s3, 3
	v_mov_b32_e32 v11, v8
	v_mov_b32_e32 v4, v5
.LBB89_167:                             ; =>This Inner Loop Header: Depth=1
	ds_read_b64 v[19:20], v16
	v_add_co_u32_e32 v11, vcc, -1, v11
	v_addc_co_u32_e32 v12, vcc, -1, v12, vcc
	v_cmp_eq_u64_e32 vcc, 0, v[11:12]
	v_add_u32_e32 v16, s8, v16
	s_or_b64 s[4:5], vcc, s[4:5]
	s_waitcnt lgkmcnt(0)
	v_add_f32_e32 v4, v4, v19
	v_add_f32_e32 v5, v5, v20
	s_andn2_b64 exec, exec, s[4:5]
	s_cbranch_execnz .LBB89_167
; %bb.168:
	s_or_b64 exec, exec, s[4:5]
.LBB89_169:
	s_or_b64 exec, exec, s[6:7]
	v_mad_u64_u32 v[2:3], s[4:5], v8, s3, v[2:3]
	v_mov_b32_e32 v11, 0
	v_mad_u64_u32 v[8:9], s[4:5], v9, s3, v[3:4]
	v_sub_co_u32_e32 v12, vcc, v13, v2
	v_subb_co_u32_e32 v13, vcc, v14, v8, vcc
	v_cmp_gt_i64_e32 vcc, v[12:13], v[10:11]
	s_and_saveexec_b64 s[4:5], vcc
	s_cbranch_execz .LBB89_171
; %bb.170:
	v_lshl_add_u32 v2, v2, 3, v15
	ds_read_b64 v[2:3], v2
	s_waitcnt lgkmcnt(0)
	v_add_f32_e32 v4, v4, v2
	v_add_f32_e32 v5, v5, v3
.LBB89_171:
	s_or_b64 exec, exec, s[4:5]
.LBB89_172:
	s_or_b64 exec, exec, s[0:1]
	v_cmp_gt_i64_e32 vcc, s[28:29], v[0:1]
	s_barrier
	ds_write_b64 v18, v[4:5]
	s_waitcnt lgkmcnt(0)
	s_barrier
	s_and_b64 exec, exec, vcc
	s_cbranch_execz .LBB89_179
; %bb.173:
	v_mul_lo_u32 v1, s3, v0
	v_mov_b32_e32 v8, 0
	v_mov_b32_e32 v5, 0
	v_lshlrev_b32_e32 v1, 3, v1
.LBB89_174:                             ; =>This Inner Loop Header: Depth=1
	ds_read_b64 v[2:3], v1
	s_add_i32 s3, s3, -1
	v_add_u32_e32 v1, 8, v1
	s_cmp_eq_u32 s3, 0
	s_waitcnt lgkmcnt(0)
	v_add_f32_e32 v5, v5, v2
	v_add_f32_e32 v8, v8, v3
	s_cbranch_scc0 .LBB89_174
; %bb.175:
	v_lshlrev_b64 v[1:2], 3, v[6:7]
	v_mov_b32_e32 v3, s15
	v_add_co_u32_e32 v1, vcc, s14, v1
	v_addc_co_u32_e32 v2, vcc, v3, v2, vcc
	global_load_dword v6, v[1:2], off
	s_lshl_b32 s0, s2, 3
	s_addk_i32 s0, 0x2000
	v_lshl_add_u32 v0, v0, 3, s0
	ds_read2_b32 v[3:4], v0 offset1:1
	s_mov_b64 s[0:1], 0
	s_waitcnt lgkmcnt(0)
	v_add_f32_e32 v0, v5, v3
.LBB89_176:                             ; =>This Inner Loop Header: Depth=1
	s_waitcnt vmcnt(0)
	v_add_f32_e32 v5, v6, v0
	global_atomic_cmpswap v3, v[1:2], v[5:6], off glc
	s_waitcnt vmcnt(0)
	v_cmp_eq_u32_e32 vcc, v3, v6
	s_or_b64 s[0:1], vcc, s[0:1]
	v_mov_b32_e32 v6, v3
	s_andn2_b64 exec, exec, s[0:1]
	s_cbranch_execnz .LBB89_176
; %bb.177:
	s_or_b64 exec, exec, s[0:1]
	global_load_dword v5, v[1:2], off offset:4
	v_add_f32_e32 v0, v8, v4
	s_mov_b64 s[0:1], 0
.LBB89_178:                             ; =>This Inner Loop Header: Depth=1
	s_waitcnt vmcnt(0)
	v_add_f32_e32 v4, v5, v0
	global_atomic_cmpswap v3, v[1:2], v[4:5], off offset:4 glc
	s_waitcnt vmcnt(0)
	v_cmp_eq_u32_e32 vcc, v3, v5
	s_or_b64 s[0:1], vcc, s[0:1]
	v_mov_b32_e32 v5, v3
	s_andn2_b64 exec, exec, s[0:1]
	s_cbranch_execnz .LBB89_178
.LBB89_179:
	s_endpgm
	.section	.rodata,"a",@progbits
	.p2align	6, 0x0
	.amdhsa_kernel _ZN9rocsparseL27csrmvn_symm_adaptive_kernelIllf21rocsparse_complex_numIfES2_S2_EEvbT_S3_PKS3_NS_24const_host_device_scalarIT4_EES5_PKT0_PKT1_PKT2_S8_PT3_21rocsparse_index_base_b
		.amdhsa_group_segment_fixed_size 8192
		.amdhsa_private_segment_fixed_size 0
		.amdhsa_kernarg_size 352
		.amdhsa_user_sgpr_count 6
		.amdhsa_user_sgpr_private_segment_buffer 1
		.amdhsa_user_sgpr_dispatch_ptr 0
		.amdhsa_user_sgpr_queue_ptr 0
		.amdhsa_user_sgpr_kernarg_segment_ptr 1
		.amdhsa_user_sgpr_dispatch_id 0
		.amdhsa_user_sgpr_flat_scratch_init 0
		.amdhsa_user_sgpr_private_segment_size 0
		.amdhsa_uses_dynamic_stack 0
		.amdhsa_system_sgpr_private_segment_wavefront_offset 0
		.amdhsa_system_sgpr_workgroup_id_x 1
		.amdhsa_system_sgpr_workgroup_id_y 0
		.amdhsa_system_sgpr_workgroup_id_z 0
		.amdhsa_system_sgpr_workgroup_info 0
		.amdhsa_system_vgpr_workitem_id 0
		.amdhsa_next_free_vgpr 29
		.amdhsa_next_free_sgpr 61
		.amdhsa_reserve_vcc 1
		.amdhsa_reserve_flat_scratch 0
		.amdhsa_float_round_mode_32 0
		.amdhsa_float_round_mode_16_64 0
		.amdhsa_float_denorm_mode_32 3
		.amdhsa_float_denorm_mode_16_64 3
		.amdhsa_dx10_clamp 1
		.amdhsa_ieee_mode 1
		.amdhsa_fp16_overflow 0
		.amdhsa_exception_fp_ieee_invalid_op 0
		.amdhsa_exception_fp_denorm_src 0
		.amdhsa_exception_fp_ieee_div_zero 0
		.amdhsa_exception_fp_ieee_overflow 0
		.amdhsa_exception_fp_ieee_underflow 0
		.amdhsa_exception_fp_ieee_inexact 0
		.amdhsa_exception_int_div_zero 0
	.end_amdhsa_kernel
	.section	.text._ZN9rocsparseL27csrmvn_symm_adaptive_kernelIllf21rocsparse_complex_numIfES2_S2_EEvbT_S3_PKS3_NS_24const_host_device_scalarIT4_EES5_PKT0_PKT1_PKT2_S8_PT3_21rocsparse_index_base_b,"axG",@progbits,_ZN9rocsparseL27csrmvn_symm_adaptive_kernelIllf21rocsparse_complex_numIfES2_S2_EEvbT_S3_PKS3_NS_24const_host_device_scalarIT4_EES5_PKT0_PKT1_PKT2_S8_PT3_21rocsparse_index_base_b,comdat
.Lfunc_end89:
	.size	_ZN9rocsparseL27csrmvn_symm_adaptive_kernelIllf21rocsparse_complex_numIfES2_S2_EEvbT_S3_PKS3_NS_24const_host_device_scalarIT4_EES5_PKT0_PKT1_PKT2_S8_PT3_21rocsparse_index_base_b, .Lfunc_end89-_ZN9rocsparseL27csrmvn_symm_adaptive_kernelIllf21rocsparse_complex_numIfES2_S2_EEvbT_S3_PKS3_NS_24const_host_device_scalarIT4_EES5_PKT0_PKT1_PKT2_S8_PT3_21rocsparse_index_base_b
                                        ; -- End function
	.set _ZN9rocsparseL27csrmvn_symm_adaptive_kernelIllf21rocsparse_complex_numIfES2_S2_EEvbT_S3_PKS3_NS_24const_host_device_scalarIT4_EES5_PKT0_PKT1_PKT2_S8_PT3_21rocsparse_index_base_b.num_vgpr, 23
	.set _ZN9rocsparseL27csrmvn_symm_adaptive_kernelIllf21rocsparse_complex_numIfES2_S2_EEvbT_S3_PKS3_NS_24const_host_device_scalarIT4_EES5_PKT0_PKT1_PKT2_S8_PT3_21rocsparse_index_base_b.num_agpr, 0
	.set _ZN9rocsparseL27csrmvn_symm_adaptive_kernelIllf21rocsparse_complex_numIfES2_S2_EEvbT_S3_PKS3_NS_24const_host_device_scalarIT4_EES5_PKT0_PKT1_PKT2_S8_PT3_21rocsparse_index_base_b.numbered_sgpr, 52
	.set _ZN9rocsparseL27csrmvn_symm_adaptive_kernelIllf21rocsparse_complex_numIfES2_S2_EEvbT_S3_PKS3_NS_24const_host_device_scalarIT4_EES5_PKT0_PKT1_PKT2_S8_PT3_21rocsparse_index_base_b.num_named_barrier, 0
	.set _ZN9rocsparseL27csrmvn_symm_adaptive_kernelIllf21rocsparse_complex_numIfES2_S2_EEvbT_S3_PKS3_NS_24const_host_device_scalarIT4_EES5_PKT0_PKT1_PKT2_S8_PT3_21rocsparse_index_base_b.private_seg_size, 0
	.set _ZN9rocsparseL27csrmvn_symm_adaptive_kernelIllf21rocsparse_complex_numIfES2_S2_EEvbT_S3_PKS3_NS_24const_host_device_scalarIT4_EES5_PKT0_PKT1_PKT2_S8_PT3_21rocsparse_index_base_b.uses_vcc, 1
	.set _ZN9rocsparseL27csrmvn_symm_adaptive_kernelIllf21rocsparse_complex_numIfES2_S2_EEvbT_S3_PKS3_NS_24const_host_device_scalarIT4_EES5_PKT0_PKT1_PKT2_S8_PT3_21rocsparse_index_base_b.uses_flat_scratch, 0
	.set _ZN9rocsparseL27csrmvn_symm_adaptive_kernelIllf21rocsparse_complex_numIfES2_S2_EEvbT_S3_PKS3_NS_24const_host_device_scalarIT4_EES5_PKT0_PKT1_PKT2_S8_PT3_21rocsparse_index_base_b.has_dyn_sized_stack, 0
	.set _ZN9rocsparseL27csrmvn_symm_adaptive_kernelIllf21rocsparse_complex_numIfES2_S2_EEvbT_S3_PKS3_NS_24const_host_device_scalarIT4_EES5_PKT0_PKT1_PKT2_S8_PT3_21rocsparse_index_base_b.has_recursion, 0
	.set _ZN9rocsparseL27csrmvn_symm_adaptive_kernelIllf21rocsparse_complex_numIfES2_S2_EEvbT_S3_PKS3_NS_24const_host_device_scalarIT4_EES5_PKT0_PKT1_PKT2_S8_PT3_21rocsparse_index_base_b.has_indirect_call, 0
	.section	.AMDGPU.csdata,"",@progbits
; Kernel info:
; codeLenInByte = 8744
; TotalNumSgprs: 56
; NumVgprs: 23
; ScratchSize: 0
; MemoryBound: 0
; FloatMode: 240
; IeeeMode: 1
; LDSByteSize: 8192 bytes/workgroup (compile time only)
; SGPRBlocks: 8
; VGPRBlocks: 7
; NumSGPRsForWavesPerEU: 65
; NumVGPRsForWavesPerEU: 29
; Occupancy: 8
; WaveLimiterHint : 1
; COMPUTE_PGM_RSRC2:SCRATCH_EN: 0
; COMPUTE_PGM_RSRC2:USER_SGPR: 6
; COMPUTE_PGM_RSRC2:TRAP_HANDLER: 0
; COMPUTE_PGM_RSRC2:TGID_X_EN: 1
; COMPUTE_PGM_RSRC2:TGID_Y_EN: 0
; COMPUTE_PGM_RSRC2:TGID_Z_EN: 0
; COMPUTE_PGM_RSRC2:TIDIG_COMP_CNT: 0
	.section	.text._ZL33csrmvn_symm_large_adaptive_kernelIllf21rocsparse_complex_numIfES1_S1_EvbT_PKS2_N9rocsparse24const_host_device_scalarIT4_EES4_PKT0_PKT1_PKT2_S8_PT3_21rocsparse_index_base_b,"axG",@progbits,_ZL33csrmvn_symm_large_adaptive_kernelIllf21rocsparse_complex_numIfES1_S1_EvbT_PKS2_N9rocsparse24const_host_device_scalarIT4_EES4_PKT0_PKT1_PKT2_S8_PT3_21rocsparse_index_base_b,comdat
	.globl	_ZL33csrmvn_symm_large_adaptive_kernelIllf21rocsparse_complex_numIfES1_S1_EvbT_PKS2_N9rocsparse24const_host_device_scalarIT4_EES4_PKT0_PKT1_PKT2_S8_PT3_21rocsparse_index_base_b ; -- Begin function _ZL33csrmvn_symm_large_adaptive_kernelIllf21rocsparse_complex_numIfES1_S1_EvbT_PKS2_N9rocsparse24const_host_device_scalarIT4_EES4_PKT0_PKT1_PKT2_S8_PT3_21rocsparse_index_base_b
	.p2align	8
	.type	_ZL33csrmvn_symm_large_adaptive_kernelIllf21rocsparse_complex_numIfES1_S1_EvbT_PKS2_N9rocsparse24const_host_device_scalarIT4_EES4_PKT0_PKT1_PKT2_S8_PT3_21rocsparse_index_base_b,@function
_ZL33csrmvn_symm_large_adaptive_kernelIllf21rocsparse_complex_numIfES1_S1_EvbT_PKS2_N9rocsparse24const_host_device_scalarIT4_EES4_PKT0_PKT1_PKT2_S8_PT3_21rocsparse_index_base_b: ; @_ZL33csrmvn_symm_large_adaptive_kernelIllf21rocsparse_complex_numIfES1_S1_EvbT_PKS2_N9rocsparse24const_host_device_scalarIT4_EES4_PKT0_PKT1_PKT2_S8_PT3_21rocsparse_index_base_b
; %bb.0:
	s_load_dwordx2 s[24:25], s[4:5], 0x50
	s_load_dwordx2 s[0:1], s[4:5], 0x18
	s_add_u32 s7, s4, 24
	s_addc_u32 s10, s5, 0
	s_waitcnt lgkmcnt(0)
	s_bitcmp1_b32 s25, 0
	s_cselect_b64 s[8:9], -1, 0
	s_and_b64 s[2:3], s[8:9], exec
	s_cselect_b32 s1, s10, s1
	s_cselect_b32 s0, s7, s0
	v_mov_b32_e32 v1, s0
	v_mov_b32_e32 v2, s1
	flat_load_dwordx2 v[1:2], v[1:2]
	s_waitcnt vmcnt(0) lgkmcnt(0)
	v_cmp_eq_f32_e32 vcc, 0, v1
	v_cmp_eq_f32_e64 s[0:1], 0, v2
	s_and_b64 s[10:11], vcc, s[0:1]
	s_mov_b64 s[0:1], -1
	s_and_saveexec_b64 s[2:3], s[10:11]
	s_cbranch_execz .LBB90_2
; %bb.1:
	s_load_dwordx2 s[0:1], s[4:5], 0x40
	s_add_u32 s7, s4, 64
	s_addc_u32 s10, s5, 0
	s_and_b64 s[8:9], s[8:9], exec
	s_waitcnt lgkmcnt(0)
	s_cselect_b32 s1, s10, s1
	s_cselect_b32 s0, s7, s0
	v_mov_b32_e32 v3, s0
	v_mov_b32_e32 v4, s1
	flat_load_dwordx2 v[3:4], v[3:4]
	s_waitcnt vmcnt(0) lgkmcnt(0)
	v_cmp_neq_f32_e32 vcc, 1.0, v3
	v_cmp_neq_f32_e64 s[0:1], 0, v4
	s_or_b64 s[0:1], vcc, s[0:1]
	s_orn2_b64 s[0:1], s[0:1], exec
.LBB90_2:
	s_or_b64 exec, exec, s[2:3]
	s_and_saveexec_b64 s[2:3], s[0:1]
	s_cbranch_execz .LBB90_45
; %bb.3:
	s_load_dwordx2 s[0:1], s[4:5], 0x10
	s_mov_b32 s2, 0
	s_mov_b32 s3, s2
	v_mov_b32_e32 v4, s3
	s_ashr_i32 s7, s6, 31
	v_mov_b32_e32 v3, s2
	s_lshl_b64 s[2:3], s[6:7], 3
	s_waitcnt lgkmcnt(0)
	s_add_u32 s0, s0, s2
	v_lshlrev_b32_e32 v13, 3, v0
	s_addc_u32 s1, s1, s3
	ds_write2st64_b64 v13, v[3:4], v[3:4] offset1:4
	ds_write2st64_b64 v13, v[3:4], v[3:4] offset0:8 offset1:12
	s_waitcnt lgkmcnt(0)
	s_barrier
	s_load_dwordx4 s[20:23], s[0:1], 0x0
	s_load_dwordx8 s[12:19], s[4:5], 0x20
	s_load_dwordx2 s[26:27], s[4:5], 0x48
	v_subrev_co_u32_e64 v14, s[0:1], s24, v0
	s_waitcnt lgkmcnt(0)
	v_mov_b32_e32 v3, s22
	v_mov_b32_e32 v4, s23
	v_cmp_ge_i64_e32 vcc, s[20:21], v[3:4]
	v_mov_b32_e32 v16, 0
	v_subb_co_u32_e64 v15, s[0:1], 0, 0, s[0:1]
	s_cbranch_vccnz .LBB90_33
; %bb.4:
	s_movk_i32 s25, 0x100
	v_mov_b32_e32 v3, s22
	v_cmp_gt_u32_e64 s[0:1], s25, v0
	v_cmp_gt_u32_e64 s[2:3], 64, v0
	;; [unrolled: 1-line block ×4, first 2 shown]
	v_cmp_eq_u32_e64 s[8:9], 0, v0
	v_mov_b32_e32 v4, s23
	s_mov_b64 s[28:29], s[20:21]
	s_branch .LBB90_6
.LBB90_5:                               ;   in Loop: Header=BB90_6 Depth=1
	s_or_b64 exec, exec, s[10:11]
	s_add_u32 s28, s28, 1
	s_addc_u32 s29, s29, 0
	v_cmp_ge_i64_e32 vcc, s[28:29], v[3:4]
	s_cbranch_vccnz .LBB90_33
.LBB90_6:                               ; =>This Loop Header: Depth=1
                                        ;     Child Loop BB90_8 Depth 2
                                        ;     Child Loop BB90_22 Depth 2
                                        ;     Child Loop BB90_25 Depth 2
                                        ;     Child Loop BB90_28 Depth 2
                                        ;     Child Loop BB90_31 Depth 2
	s_lshl_b64 s[30:31], s[28:29], 3
	s_add_u32 s10, s12, s30
	s_addc_u32 s11, s13, s31
	s_load_dwordx4 s[36:39], s[10:11], 0x0
	v_mov_b32_e32 v8, 0
	v_mov_b32_e32 v7, 0
	s_waitcnt lgkmcnt(0)
	s_sub_u32 s34, s38, s24
	v_mov_b32_e32 v0, s37
	v_add_co_u32_e32 v5, vcc, s36, v14
	s_subb_u32 s35, s39, 0
	v_addc_co_u32_e32 v6, vcc, v0, v15, vcc
	v_cmp_gt_i64_e32 vcc, s[34:35], v[5:6]
	s_and_saveexec_b64 s[36:37], vcc
	s_cbranch_execz .LBB90_10
; %bb.7:                                ;   in Loop: Header=BB90_6 Depth=1
	v_lshlrev_b64 v[7:8], 3, v[5:6]
	v_mov_b32_e32 v0, s15
	v_add_co_u32_e32 v9, vcc, s14, v7
	v_addc_co_u32_e32 v10, vcc, v0, v8, vcc
	v_lshlrev_b64 v[7:8], 2, v[5:6]
	v_mov_b32_e32 v0, s17
	v_add_co_u32_e32 v11, vcc, s16, v7
	v_addc_co_u32_e32 v12, vcc, v0, v8, vcc
	v_mov_b32_e32 v8, 0
	s_mov_b64 s[38:39], 0
	v_mov_b32_e32 v7, v8
.LBB90_8:                               ;   Parent Loop BB90_6 Depth=1
                                        ; =>  This Inner Loop Header: Depth=2
	global_load_dwordx2 v[17:18], v[9:10], off
	global_load_dword v0, v[11:12], off
	v_mov_b32_e32 v19, s19
	s_waitcnt vmcnt(1)
	v_subrev_co_u32_e32 v17, vcc, s24, v17
	v_subbrev_co_u32_e32 v18, vcc, 0, v18, vcc
	v_lshlrev_b64 v[17:18], 3, v[17:18]
	v_add_co_u32_e32 v17, vcc, s18, v17
	v_addc_co_u32_e32 v18, vcc, v19, v18, vcc
	global_load_dwordx2 v[17:18], v[17:18], off
	v_add_co_u32_e32 v5, vcc, s25, v5
	v_addc_co_u32_e32 v6, vcc, 0, v6, vcc
	v_add_co_u32_e32 v9, vcc, 0x800, v9
	v_addc_co_u32_e32 v10, vcc, 0, v10, vcc
	v_cmp_le_i64_e64 s[10:11], s[34:35], v[5:6]
	v_add_co_u32_e32 v11, vcc, 0x400, v11
	v_addc_co_u32_e32 v12, vcc, 0, v12, vcc
	s_or_b64 s[38:39], s[10:11], s[38:39]
	s_waitcnt vmcnt(0)
	v_fmac_f32_e32 v7, v0, v17
	v_fmac_f32_e32 v8, 0, v17
	;; [unrolled: 1-line block ×4, first 2 shown]
	s_andn2_b64 exec, exec, s[38:39]
	s_cbranch_execnz .LBB90_8
; %bb.9:                                ;   in Loop: Header=BB90_6 Depth=1
	s_or_b64 exec, exec, s[38:39]
.LBB90_10:                              ;   in Loop: Header=BB90_6 Depth=1
	s_or_b64 exec, exec, s[36:37]
	ds_write_b64 v13, v[7:8]
	s_waitcnt lgkmcnt(0)
	s_barrier
	s_and_saveexec_b64 s[10:11], s[0:1]
	s_cbranch_execz .LBB90_12
; %bb.11:                               ;   in Loop: Header=BB90_6 Depth=1
	ds_read2st64_b64 v[5:8], v13 offset1:4
	ds_read2st64_b64 v[9:12], v13 offset0:8 offset1:12
	s_waitcnt lgkmcnt(0)
	v_add_f32_e32 v0, v9, v7
	v_add_f32_e32 v7, v10, v8
	;; [unrolled: 1-line block ×6, first 2 shown]
	ds_write_b64 v13, v[5:6]
.LBB90_12:                              ;   in Loop: Header=BB90_6 Depth=1
	s_or_b64 exec, exec, s[10:11]
	s_waitcnt lgkmcnt(0)
	s_barrier
	s_and_saveexec_b64 s[10:11], s[2:3]
	s_cbranch_execz .LBB90_14
; %bb.13:                               ;   in Loop: Header=BB90_6 Depth=1
	ds_read2st64_b64 v[5:8], v13 offset1:1
	ds_read2st64_b64 v[9:12], v13 offset0:2 offset1:3
	s_waitcnt lgkmcnt(0)
	v_add_f32_e32 v0, v9, v7
	v_add_f32_e32 v7, v10, v8
	;; [unrolled: 1-line block ×6, first 2 shown]
	ds_write_b64 v13, v[5:6]
.LBB90_14:                              ;   in Loop: Header=BB90_6 Depth=1
	s_or_b64 exec, exec, s[10:11]
	s_waitcnt lgkmcnt(0)
	s_barrier
	s_and_saveexec_b64 s[10:11], s[4:5]
	s_cbranch_execz .LBB90_16
; %bb.15:                               ;   in Loop: Header=BB90_6 Depth=1
	ds_read2_b64 v[5:8], v13 offset1:16
	ds_read2_b64 v[9:12], v13 offset0:32 offset1:48
	s_waitcnt lgkmcnt(0)
	v_add_f32_e32 v0, v9, v7
	v_add_f32_e32 v7, v10, v8
	;; [unrolled: 1-line block ×6, first 2 shown]
	ds_write_b64 v13, v[5:6]
.LBB90_16:                              ;   in Loop: Header=BB90_6 Depth=1
	s_or_b64 exec, exec, s[10:11]
	s_waitcnt lgkmcnt(0)
	s_barrier
	s_and_saveexec_b64 s[10:11], s[6:7]
	s_cbranch_execz .LBB90_18
; %bb.17:                               ;   in Loop: Header=BB90_6 Depth=1
	ds_read2_b64 v[5:8], v13 offset1:4
	ds_read2_b64 v[9:12], v13 offset0:8 offset1:12
	s_waitcnt lgkmcnt(0)
	v_add_f32_e32 v0, v9, v7
	v_add_f32_e32 v7, v10, v8
	;; [unrolled: 1-line block ×6, first 2 shown]
	ds_write_b64 v13, v[5:6]
.LBB90_18:                              ;   in Loop: Header=BB90_6 Depth=1
	s_or_b64 exec, exec, s[10:11]
	s_waitcnt lgkmcnt(0)
	s_barrier
	s_and_saveexec_b64 s[10:11], s[8:9]
	s_cbranch_execz .LBB90_20
; %bb.19:                               ;   in Loop: Header=BB90_6 Depth=1
	ds_read_b128 v[5:8], v16 offset:16
	ds_read_b64 v[9:10], v16 offset:8
	ds_read_b64 v[11:12], v13
	s_waitcnt lgkmcnt(1)
	v_add_f32_e32 v0, v5, v9
	v_add_f32_e32 v5, v6, v10
	;; [unrolled: 1-line block ×4, first 2 shown]
	s_waitcnt lgkmcnt(0)
	v_add_f32_e32 v5, v0, v11
	v_add_f32_e32 v6, v6, v12
	ds_write_b64 v13, v[5:6]
.LBB90_20:                              ;   in Loop: Header=BB90_6 Depth=1
	s_or_b64 exec, exec, s[10:11]
	s_waitcnt lgkmcnt(0)
	s_barrier
	s_and_saveexec_b64 s[10:11], s[8:9]
	s_cbranch_execz .LBB90_5
; %bb.21:                               ;   in Loop: Header=BB90_6 Depth=1
	ds_read_b64 v[5:6], v16
	s_mov_b64 s[34:35], exec
	v_bfrev_b32_e32 v0, 1
	s_waitcnt lgkmcnt(0)
	v_mul_f32_e64 v7, v6, -v2
	v_fmac_f32_e32 v7, v1, v5
.LBB90_22:                              ;   Parent Loop BB90_6 Depth=1
                                        ; =>  This Inner Loop Header: Depth=2
	s_ff1_i32_b64 s33, s[34:35]
	s_lshl_b64 s[36:37], 1, s33
	v_readlane_b32 s38, v7, s33
	s_andn2_b64 s[34:35], s[34:35], s[36:37]
	s_cmp_lg_u64 s[34:35], 0
	v_add_f32_e32 v0, s38, v0
	s_cbranch_scc1 .LBB90_22
; %bb.23:                               ;   in Loop: Header=BB90_6 Depth=1
	v_mbcnt_lo_u32_b32 v7, exec_lo, 0
	s_add_u32 s30, s26, s30
	v_mbcnt_hi_u32_b32 v7, exec_hi, v7
	s_addc_u32 s31, s27, s31
	v_cmp_eq_u32_e32 vcc, 0, v7
	s_and_saveexec_b64 s[34:35], vcc
	s_xor_b64 s[34:35], exec, s[34:35]
	s_cbranch_execz .LBB90_27
; %bb.24:                               ;   in Loop: Header=BB90_6 Depth=1
	global_load_dword v8, v16, s[30:31]
	s_mov_b64 s[36:37], 0
.LBB90_25:                              ;   Parent Loop BB90_6 Depth=1
                                        ; =>  This Inner Loop Header: Depth=2
	s_waitcnt vmcnt(0)
	v_add_f32_e32 v7, v8, v0
	global_atomic_cmpswap v7, v16, v[7:8], s[30:31] glc
	s_waitcnt vmcnt(0)
	v_cmp_eq_u32_e32 vcc, v7, v8
	s_or_b64 s[36:37], vcc, s[36:37]
	v_mov_b32_e32 v8, v7
	s_andn2_b64 exec, exec, s[36:37]
	s_cbranch_execnz .LBB90_25
; %bb.26:                               ;   in Loop: Header=BB90_6 Depth=1
	s_or_b64 exec, exec, s[36:37]
.LBB90_27:                              ;   in Loop: Header=BB90_6 Depth=1
	s_or_b64 exec, exec, s[34:35]
	v_mul_f32_e32 v6, v1, v6
	s_mov_b64 s[34:35], exec
	v_fmac_f32_e32 v6, v2, v5
	v_bfrev_b32_e32 v0, 1
.LBB90_28:                              ;   Parent Loop BB90_6 Depth=1
                                        ; =>  This Inner Loop Header: Depth=2
	s_ff1_i32_b64 s33, s[34:35]
	s_lshl_b64 s[36:37], 1, s33
	v_readlane_b32 s38, v6, s33
	s_andn2_b64 s[34:35], s[34:35], s[36:37]
	s_cmp_lg_u64 s[34:35], 0
	v_add_f32_e32 v0, s38, v0
	s_cbranch_scc1 .LBB90_28
; %bb.29:                               ;   in Loop: Header=BB90_6 Depth=1
	v_mbcnt_lo_u32_b32 v5, exec_lo, 0
	v_mbcnt_hi_u32_b32 v5, exec_hi, v5
	v_cmp_eq_u32_e32 vcc, 0, v5
	s_and_saveexec_b64 s[34:35], vcc
	s_xor_b64 s[34:35], exec, s[34:35]
	s_cbranch_execz .LBB90_5
; %bb.30:                               ;   in Loop: Header=BB90_6 Depth=1
	global_load_dword v6, v16, s[30:31] offset:4
	s_mov_b64 s[34:35], 0
.LBB90_31:                              ;   Parent Loop BB90_6 Depth=1
                                        ; =>  This Inner Loop Header: Depth=2
	s_waitcnt vmcnt(0)
	v_add_f32_e32 v5, v6, v0
	global_atomic_cmpswap v5, v16, v[5:6], s[30:31] offset:4 glc
	s_waitcnt vmcnt(0)
	v_cmp_eq_u32_e32 vcc, v5, v6
	s_or_b64 s[34:35], vcc, s[34:35]
	v_mov_b32_e32 v6, v5
	s_andn2_b64 exec, exec, s[34:35]
	s_cbranch_execnz .LBB90_31
; %bb.32:                               ;   in Loop: Header=BB90_6 Depth=1
	s_or_b64 exec, exec, s[34:35]
	s_branch .LBB90_5
.LBB90_33:
	s_lshl_b64 s[0:1], s[20:21], 3
	s_add_u32 s0, s12, s0
	s_addc_u32 s1, s13, s1
	s_lshl_b64 s[2:3], s[22:23], 3
	s_add_u32 s2, s12, s2
	s_addc_u32 s3, s13, s3
	s_load_dwordx2 s[6:7], s[0:1], 0x0
	s_load_dwordx2 s[4:5], s[2:3], 0x0
	s_waitcnt lgkmcnt(0)
	v_mov_b32_e32 v0, s7
	s_sub_u32 s4, s4, s24
	v_add_co_u32_e32 v3, vcc, s6, v14
	s_subb_u32 s5, s5, 0
	v_addc_co_u32_e32 v4, vcc, v0, v15, vcc
	v_cmp_gt_i64_e32 vcc, s[4:5], v[3:4]
	s_and_b64 exec, exec, vcc
	s_cbranch_execz .LBB90_45
; %bb.34:
	s_add_u32 s6, s22, -1
	s_addc_u32 s7, s23, -1
	v_mov_b32_e32 v5, s6
	s_add_u32 s0, s22, -2
	v_mov_b32_e32 v6, s7
	s_addc_u32 s1, s23, -1
	v_cmp_lt_i64_e32 vcc, s[20:21], v[5:6]
	s_cmp_lg_u64 s[20:21], s[0:1]
	s_cselect_b64 s[0:1], -1, 0
	s_and_b64 s[0:1], vcc, s[0:1]
	v_cndmask_b32_e64 v5, 0, 1, s[0:1]
	v_mul_f32_e32 v0, 0x80000000, v2
	v_mul_f32_e32 v11, 0, v1
	s_mov_b64 s[8:9], 0
	v_cmp_ne_u32_e64 s[0:1], 1, v5
	v_mov_b32_e32 v12, s13
	v_mov_b32_e32 v13, s15
	s_branch .LBB90_36
.LBB90_35:                              ;   in Loop: Header=BB90_36 Depth=1
	s_or_b64 exec, exec, s[2:3]
	v_add_co_u32_e32 v3, vcc, 0x100, v3
	v_addc_co_u32_e32 v4, vcc, 0, v4, vcc
	v_cmp_le_i64_e32 vcc, s[4:5], v[3:4]
	s_or_b64 s[8:9], vcc, s[8:9]
	s_andn2_b64 exec, exec, s[8:9]
	s_cbranch_execz .LBB90_45
.LBB90_36:                              ; =>This Loop Header: Depth=1
                                        ;     Child Loop BB90_38 Depth 2
                                        ;     Child Loop BB90_42 Depth 2
                                        ;     Child Loop BB90_44 Depth 2
	v_mov_b32_e32 v5, s20
	v_mov_b32_e32 v8, s7
	s_and_b64 vcc, exec, s[0:1]
	v_mov_b32_e32 v6, s21
	v_mov_b32_e32 v7, s6
	s_cbranch_vccnz .LBB90_40
; %bb.37:                               ;   in Loop: Header=BB90_36 Depth=1
	v_mov_b32_e32 v5, s20
	v_mov_b32_e32 v8, s7
	s_mov_b64 s[10:11], 0
	v_mov_b32_e32 v6, s21
	v_mov_b32_e32 v7, s6
.LBB90_38:                              ;   Parent Loop BB90_36 Depth=1
                                        ; =>  This Inner Loop Header: Depth=2
	v_add_co_u32_e32 v9, vcc, v7, v5
	v_addc_co_u32_e32 v10, vcc, v8, v6, vcc
	v_lshrrev_b32_e32 v14, 31, v10
	v_add_co_u32_e32 v9, vcc, v9, v14
	v_addc_co_u32_e32 v10, vcc, 0, v10, vcc
	v_ashrrev_i64 v[9:10], 1, v[9:10]
	v_mov_b32_e32 v16, s13
	v_lshlrev_b64 v[14:15], 3, v[9:10]
	v_add_co_u32_e32 v14, vcc, s12, v14
	v_addc_co_u32_e32 v15, vcc, v16, v15, vcc
	global_load_dwordx2 v[14:15], v[14:15], off
	s_waitcnt vmcnt(0)
	v_subrev_co_u32_e32 v14, vcc, s24, v14
	v_subbrev_co_u32_e32 v15, vcc, 0, v15, vcc
	v_cmp_lt_i64_e32 vcc, v[3:4], v[14:15]
	v_cndmask_b32_e32 v7, v7, v9, vcc
	v_cndmask_b32_e32 v8, v8, v10, vcc
	;; [unrolled: 1-line block ×3, first 2 shown]
	v_add_co_u32_e64 v9, s[2:3], -1, v7
	v_cndmask_b32_e32 v6, v10, v6, vcc
	v_addc_co_u32_e64 v10, s[2:3], -1, v8, s[2:3]
	v_cmp_ge_i64_e32 vcc, v[5:6], v[7:8]
	v_cmp_eq_u64_e64 s[2:3], v[5:6], v[9:10]
	s_or_b64 s[2:3], vcc, s[2:3]
	s_and_b64 s[2:3], exec, s[2:3]
	s_or_b64 s[10:11], s[2:3], s[10:11]
	s_andn2_b64 exec, exec, s[10:11]
	s_cbranch_execnz .LBB90_38
; %bb.39:                               ;   in Loop: Header=BB90_36 Depth=1
	s_or_b64 exec, exec, s[10:11]
.LBB90_40:                              ;   in Loop: Header=BB90_36 Depth=1
	v_lshlrev_b64 v[9:10], 3, v[7:8]
	v_lshlrev_b64 v[14:15], 3, v[3:4]
	v_add_co_u32_e32 v9, vcc, s12, v9
	v_addc_co_u32_e32 v10, vcc, v12, v10, vcc
	global_load_dwordx2 v[9:10], v[9:10], off
	v_add_co_u32_e32 v14, vcc, s14, v14
	v_addc_co_u32_e32 v15, vcc, v13, v15, vcc
	global_load_dwordx2 v[14:15], v[14:15], off
	s_waitcnt vmcnt(1)
	v_subrev_co_u32_e32 v9, vcc, s24, v9
	v_subbrev_co_u32_e32 v10, vcc, 0, v10, vcc
	v_cmp_lt_i64_e32 vcc, v[3:4], v[9:10]
	v_cndmask_b32_e32 v6, v8, v6, vcc
	v_cndmask_b32_e32 v5, v7, v5, vcc
	s_waitcnt vmcnt(0)
	v_subrev_co_u32_e32 v7, vcc, s24, v14
	v_subbrev_co_u32_e32 v8, vcc, 0, v15, vcc
	v_cmp_ne_u64_e32 vcc, v[7:8], v[5:6]
	s_and_saveexec_b64 s[2:3], vcc
	s_cbranch_execz .LBB90_35
; %bb.41:                               ;   in Loop: Header=BB90_36 Depth=1
	v_lshlrev_b64 v[9:10], 3, v[7:8]
	v_lshlrev_b64 v[7:8], 2, v[3:4]
	v_mov_b32_e32 v15, s17
	v_add_co_u32_e32 v7, vcc, s16, v7
	v_lshlrev_b64 v[5:6], 3, v[5:6]
	v_addc_co_u32_e32 v8, vcc, v15, v8, vcc
	global_load_dword v15, v[7:8], off
	v_mov_b32_e32 v7, s19
	v_add_co_u32_e32 v5, vcc, s18, v5
	v_addc_co_u32_e32 v6, vcc, v7, v6, vcc
	v_mov_b32_e32 v14, s27
	global_load_dwordx2 v[7:8], v[5:6], off
	v_add_co_u32_e32 v5, vcc, s26, v9
	v_addc_co_u32_e32 v6, vcc, v14, v10, vcc
	global_load_dword v10, v[5:6], off
	s_mov_b64 s[10:11], 0
	s_waitcnt vmcnt(2)
	v_fma_f32 v14, v1, v15, v0
	v_fma_f32 v15, v2, v15, v11
	s_waitcnt vmcnt(1)
	v_mul_f32_e64 v16, v8, -v15
	v_fmac_f32_e32 v16, v14, v7
.LBB90_42:                              ;   Parent Loop BB90_36 Depth=1
                                        ; =>  This Inner Loop Header: Depth=2
	s_waitcnt vmcnt(0)
	v_add_f32_e32 v9, v10, v16
	global_atomic_cmpswap v9, v[5:6], v[9:10], off glc
	s_waitcnt vmcnt(0)
	v_cmp_eq_u32_e32 vcc, v9, v10
	s_or_b64 s[10:11], vcc, s[10:11]
	v_mov_b32_e32 v10, v9
	s_andn2_b64 exec, exec, s[10:11]
	s_cbranch_execnz .LBB90_42
; %bb.43:                               ;   in Loop: Header=BB90_36 Depth=1
	s_or_b64 exec, exec, s[10:11]
	global_load_dword v9, v[5:6], off offset:4
	v_mul_f32_e32 v10, v14, v8
	v_fmac_f32_e32 v10, v15, v7
	s_mov_b64 s[10:11], 0
.LBB90_44:                              ;   Parent Loop BB90_36 Depth=1
                                        ; =>  This Inner Loop Header: Depth=2
	s_waitcnt vmcnt(0)
	v_add_f32_e32 v8, v9, v10
	global_atomic_cmpswap v7, v[5:6], v[8:9], off offset:4 glc
	s_waitcnt vmcnt(0)
	v_cmp_eq_u32_e32 vcc, v7, v9
	s_or_b64 s[10:11], vcc, s[10:11]
	v_mov_b32_e32 v9, v7
	s_andn2_b64 exec, exec, s[10:11]
	s_cbranch_execnz .LBB90_44
	s_branch .LBB90_35
.LBB90_45:
	s_endpgm
	.section	.rodata,"a",@progbits
	.p2align	6, 0x0
	.amdhsa_kernel _ZL33csrmvn_symm_large_adaptive_kernelIllf21rocsparse_complex_numIfES1_S1_EvbT_PKS2_N9rocsparse24const_host_device_scalarIT4_EES4_PKT0_PKT1_PKT2_S8_PT3_21rocsparse_index_base_b
		.amdhsa_group_segment_fixed_size 8192
		.amdhsa_private_segment_fixed_size 0
		.amdhsa_kernarg_size 88
		.amdhsa_user_sgpr_count 6
		.amdhsa_user_sgpr_private_segment_buffer 1
		.amdhsa_user_sgpr_dispatch_ptr 0
		.amdhsa_user_sgpr_queue_ptr 0
		.amdhsa_user_sgpr_kernarg_segment_ptr 1
		.amdhsa_user_sgpr_dispatch_id 0
		.amdhsa_user_sgpr_flat_scratch_init 0
		.amdhsa_user_sgpr_private_segment_size 0
		.amdhsa_uses_dynamic_stack 0
		.amdhsa_system_sgpr_private_segment_wavefront_offset 0
		.amdhsa_system_sgpr_workgroup_id_x 1
		.amdhsa_system_sgpr_workgroup_id_y 0
		.amdhsa_system_sgpr_workgroup_id_z 0
		.amdhsa_system_sgpr_workgroup_info 0
		.amdhsa_system_vgpr_workitem_id 0
		.amdhsa_next_free_vgpr 29
		.amdhsa_next_free_sgpr 61
		.amdhsa_reserve_vcc 1
		.amdhsa_reserve_flat_scratch 0
		.amdhsa_float_round_mode_32 0
		.amdhsa_float_round_mode_16_64 0
		.amdhsa_float_denorm_mode_32 3
		.amdhsa_float_denorm_mode_16_64 3
		.amdhsa_dx10_clamp 1
		.amdhsa_ieee_mode 1
		.amdhsa_fp16_overflow 0
		.amdhsa_exception_fp_ieee_invalid_op 0
		.amdhsa_exception_fp_denorm_src 0
		.amdhsa_exception_fp_ieee_div_zero 0
		.amdhsa_exception_fp_ieee_overflow 0
		.amdhsa_exception_fp_ieee_underflow 0
		.amdhsa_exception_fp_ieee_inexact 0
		.amdhsa_exception_int_div_zero 0
	.end_amdhsa_kernel
	.section	.text._ZL33csrmvn_symm_large_adaptive_kernelIllf21rocsparse_complex_numIfES1_S1_EvbT_PKS2_N9rocsparse24const_host_device_scalarIT4_EES4_PKT0_PKT1_PKT2_S8_PT3_21rocsparse_index_base_b,"axG",@progbits,_ZL33csrmvn_symm_large_adaptive_kernelIllf21rocsparse_complex_numIfES1_S1_EvbT_PKS2_N9rocsparse24const_host_device_scalarIT4_EES4_PKT0_PKT1_PKT2_S8_PT3_21rocsparse_index_base_b,comdat
.Lfunc_end90:
	.size	_ZL33csrmvn_symm_large_adaptive_kernelIllf21rocsparse_complex_numIfES1_S1_EvbT_PKS2_N9rocsparse24const_host_device_scalarIT4_EES4_PKT0_PKT1_PKT2_S8_PT3_21rocsparse_index_base_b, .Lfunc_end90-_ZL33csrmvn_symm_large_adaptive_kernelIllf21rocsparse_complex_numIfES1_S1_EvbT_PKS2_N9rocsparse24const_host_device_scalarIT4_EES4_PKT0_PKT1_PKT2_S8_PT3_21rocsparse_index_base_b
                                        ; -- End function
	.set _ZL33csrmvn_symm_large_adaptive_kernelIllf21rocsparse_complex_numIfES1_S1_EvbT_PKS2_N9rocsparse24const_host_device_scalarIT4_EES4_PKT0_PKT1_PKT2_S8_PT3_21rocsparse_index_base_b.num_vgpr, 20
	.set _ZL33csrmvn_symm_large_adaptive_kernelIllf21rocsparse_complex_numIfES1_S1_EvbT_PKS2_N9rocsparse24const_host_device_scalarIT4_EES4_PKT0_PKT1_PKT2_S8_PT3_21rocsparse_index_base_b.num_agpr, 0
	.set _ZL33csrmvn_symm_large_adaptive_kernelIllf21rocsparse_complex_numIfES1_S1_EvbT_PKS2_N9rocsparse24const_host_device_scalarIT4_EES4_PKT0_PKT1_PKT2_S8_PT3_21rocsparse_index_base_b.numbered_sgpr, 40
	.set _ZL33csrmvn_symm_large_adaptive_kernelIllf21rocsparse_complex_numIfES1_S1_EvbT_PKS2_N9rocsparse24const_host_device_scalarIT4_EES4_PKT0_PKT1_PKT2_S8_PT3_21rocsparse_index_base_b.num_named_barrier, 0
	.set _ZL33csrmvn_symm_large_adaptive_kernelIllf21rocsparse_complex_numIfES1_S1_EvbT_PKS2_N9rocsparse24const_host_device_scalarIT4_EES4_PKT0_PKT1_PKT2_S8_PT3_21rocsparse_index_base_b.private_seg_size, 0
	.set _ZL33csrmvn_symm_large_adaptive_kernelIllf21rocsparse_complex_numIfES1_S1_EvbT_PKS2_N9rocsparse24const_host_device_scalarIT4_EES4_PKT0_PKT1_PKT2_S8_PT3_21rocsparse_index_base_b.uses_vcc, 1
	.set _ZL33csrmvn_symm_large_adaptive_kernelIllf21rocsparse_complex_numIfES1_S1_EvbT_PKS2_N9rocsparse24const_host_device_scalarIT4_EES4_PKT0_PKT1_PKT2_S8_PT3_21rocsparse_index_base_b.uses_flat_scratch, 0
	.set _ZL33csrmvn_symm_large_adaptive_kernelIllf21rocsparse_complex_numIfES1_S1_EvbT_PKS2_N9rocsparse24const_host_device_scalarIT4_EES4_PKT0_PKT1_PKT2_S8_PT3_21rocsparse_index_base_b.has_dyn_sized_stack, 0
	.set _ZL33csrmvn_symm_large_adaptive_kernelIllf21rocsparse_complex_numIfES1_S1_EvbT_PKS2_N9rocsparse24const_host_device_scalarIT4_EES4_PKT0_PKT1_PKT2_S8_PT3_21rocsparse_index_base_b.has_recursion, 0
	.set _ZL33csrmvn_symm_large_adaptive_kernelIllf21rocsparse_complex_numIfES1_S1_EvbT_PKS2_N9rocsparse24const_host_device_scalarIT4_EES4_PKT0_PKT1_PKT2_S8_PT3_21rocsparse_index_base_b.has_indirect_call, 0
	.section	.AMDGPU.csdata,"",@progbits
; Kernel info:
; codeLenInByte = 2060
; TotalNumSgprs: 44
; NumVgprs: 20
; ScratchSize: 0
; MemoryBound: 0
; FloatMode: 240
; IeeeMode: 1
; LDSByteSize: 8192 bytes/workgroup (compile time only)
; SGPRBlocks: 8
; VGPRBlocks: 7
; NumSGPRsForWavesPerEU: 65
; NumVGPRsForWavesPerEU: 29
; Occupancy: 8
; WaveLimiterHint : 1
; COMPUTE_PGM_RSRC2:SCRATCH_EN: 0
; COMPUTE_PGM_RSRC2:USER_SGPR: 6
; COMPUTE_PGM_RSRC2:TRAP_HANDLER: 0
; COMPUTE_PGM_RSRC2:TGID_X_EN: 1
; COMPUTE_PGM_RSRC2:TGID_Y_EN: 0
; COMPUTE_PGM_RSRC2:TGID_Z_EN: 0
; COMPUTE_PGM_RSRC2:TIDIG_COMP_CNT: 0
	.section	.text._ZN9rocsparseL22csrmvn_adaptive_kernelIiifdddEEvbT_PKS1_PjPKT0_NS_24const_host_device_scalarIT4_EES3_S7_PKT1_PKT2_SA_PT3_21rocsparse_index_base_b,"axG",@progbits,_ZN9rocsparseL22csrmvn_adaptive_kernelIiifdddEEvbT_PKS1_PjPKT0_NS_24const_host_device_scalarIT4_EES3_S7_PKT1_PKT2_SA_PT3_21rocsparse_index_base_b,comdat
	.globl	_ZN9rocsparseL22csrmvn_adaptive_kernelIiifdddEEvbT_PKS1_PjPKT0_NS_24const_host_device_scalarIT4_EES3_S7_PKT1_PKT2_SA_PT3_21rocsparse_index_base_b ; -- Begin function _ZN9rocsparseL22csrmvn_adaptive_kernelIiifdddEEvbT_PKS1_PjPKT0_NS_24const_host_device_scalarIT4_EES3_S7_PKT1_PKT2_SA_PT3_21rocsparse_index_base_b
	.p2align	8
	.type	_ZN9rocsparseL22csrmvn_adaptive_kernelIiifdddEEvbT_PKS1_PjPKT0_NS_24const_host_device_scalarIT4_EES3_S7_PKT1_PKT2_SA_PT3_21rocsparse_index_base_b,@function
_ZN9rocsparseL22csrmvn_adaptive_kernelIiifdddEEvbT_PKS1_PjPKT0_NS_24const_host_device_scalarIT4_EES3_S7_PKT1_PKT2_SA_PT3_21rocsparse_index_base_b: ; @_ZN9rocsparseL22csrmvn_adaptive_kernelIiifdddEEvbT_PKS1_PjPKT0_NS_24const_host_device_scalarIT4_EES3_S7_PKT1_PKT2_SA_PT3_21rocsparse_index_base_b
; %bb.0:
	s_load_dwordx2 s[40:41], s[4:5], 0x58
	s_load_dwordx2 s[8:9], s[4:5], 0x20
	;; [unrolled: 1-line block ×3, first 2 shown]
	s_waitcnt lgkmcnt(0)
	s_bitcmp1_b32 s41, 0
	s_cselect_b64 s[10:11], -1, 0
	v_mov_b32_e32 v7, s8
	s_xor_b64 s[2:3], s[10:11], -1
	s_and_b64 vcc, exec, s[10:11]
	v_mov_b32_e32 v8, s9
	s_cbranch_vccnz .LBB91_2
; %bb.1:
	v_mov_b32_e32 v1, s8
	v_mov_b32_e32 v2, s9
	flat_load_dwordx2 v[7:8], v[1:2]
.LBB91_2:
	v_mov_b32_e32 v6, s1
	s_andn2_b64 vcc, exec, s[2:3]
	v_mov_b32_e32 v5, s0
	s_cbranch_vccnz .LBB91_4
; %bb.3:
	v_mov_b32_e32 v2, s1
	v_mov_b32_e32 v1, s0
	flat_load_dwordx2 v[5:6], v[1:2]
.LBB91_4:
	s_waitcnt vmcnt(0) lgkmcnt(0)
	v_cmp_neq_f64_e32 vcc, 0, v[7:8]
	v_cmp_neq_f64_e64 s[0:1], 1.0, v[5:6]
	s_or_b64 s[0:1], vcc, s[0:1]
	s_and_saveexec_b64 s[2:3], s[0:1]
	s_cbranch_execz .LBB91_115
; %bb.5:
	s_load_dwordx2 s[0:1], s[4:5], 0x8
	s_load_dwordx2 s[8:9], s[4:5], 0x18
	s_ashr_i32 s7, s6, 31
	s_lshl_b64 s[44:45], s[6:7], 2
	s_waitcnt lgkmcnt(0)
	s_add_u32 s0, s0, s44
	s_addc_u32 s1, s1, s45
	s_load_dwordx2 s[36:37], s[0:1], 0x0
	s_load_dwordx2 s[34:35], s[4:5], 0x50
	s_load_dwordx8 s[24:31], s[4:5], 0x28
	s_waitcnt lgkmcnt(0)
	s_sub_i32 s2, s37, s36
	s_add_u32 s0, s8, s44
	s_mov_b32 s42, s36
	s_addc_u32 s1, s9, s45
	s_ashr_i32 s43, s36, 31
	s_load_dword s33, s[0:1], 0x0
	s_lshl_b64 s[0:1], s[42:43], 2
	s_add_u32 s38, s24, s0
	s_addc_u32 s39, s25, s1
	s_load_dword s41, s[38:39], 0x0
	s_cmp_lt_i32 s2, 2
	s_mov_b64 s[0:1], -1
	s_cbranch_scc0 .LBB91_71
; %bb.6:
	s_cmp_lg_u32 s2, 1
	s_cselect_b64 s[0:1], -1, 0
	s_waitcnt lgkmcnt(0)
	s_cmp_lg_u32 s33, 0
	s_cselect_b64 s[2:3], -1, 0
	s_or_b64 s[0:1], s[0:1], s[2:3]
	s_mov_b64 s[18:19], -1
	s_and_b64 vcc, exec, s[0:1]
	v_cmp_gt_u32_e64 s[0:1], 64, v0
	v_cmp_gt_u32_e64 s[2:3], 32, v0
	;; [unrolled: 1-line block ×6, first 2 shown]
	v_cmp_eq_u32_e64 s[16:17], 0, v0
	s_cbranch_vccnz .LBB91_34
; %bb.7:
	v_cmp_neq_f64_e64 s[18:19], 0, v[5:6]
	s_movk_i32 s7, 0x80
	v_subrev_u32_e32 v4, s40, v0
	v_lshlrev_b32_e32 v13, 3, v0
	v_cmp_gt_u32_e64 s[20:21], s7, v0
	v_mov_b32_e32 v14, 0
	s_mov_b32 s46, s36
	s_branch .LBB91_10
.LBB91_8:                               ;   in Loop: Header=BB91_10 Depth=1
	s_or_b64 exec, exec, s[48:49]
	s_lshl_b64 s[48:49], s[46:47], 3
	s_add_u32 s48, s34, s48
	s_addc_u32 s49, s35, s49
	s_waitcnt lgkmcnt(0)
	global_store_dwordx2 v14, v[1:2], s[48:49]
.LBB91_9:                               ;   in Loop: Header=BB91_10 Depth=1
	s_or_b64 exec, exec, s[22:23]
	s_add_i32 s46, s46, 1
	s_cmp_ge_i32 s46, s37
	s_cbranch_scc1 .LBB91_33
.LBB91_10:                              ; =>This Loop Header: Depth=1
                                        ;     Child Loop BB91_12 Depth 2
	s_ashr_i32 s47, s46, 31
	s_lshl_b64 s[22:23], s[46:47], 2
	s_add_u32 s22, s24, s22
	s_addc_u32 s23, s25, s23
	s_load_dwordx2 s[48:49], s[22:23], 0x0
	v_mov_b32_e32 v2, 0
	v_mov_b32_e32 v3, 0
	s_waitcnt lgkmcnt(0)
	s_sub_i32 s7, s49, s40
	v_add_u32_e32 v1, s48, v4
	v_cmp_gt_i32_e32 vcc, s7, v1
	s_and_saveexec_b64 s[48:49], vcc
	s_cbranch_execz .LBB91_14
; %bb.11:                               ;   in Loop: Header=BB91_10 Depth=1
	v_ashrrev_i32_e32 v2, 31, v1
	v_lshlrev_b64 v[2:3], 2, v[1:2]
	v_mov_b32_e32 v10, s29
	v_add_co_u32_e32 v9, vcc, s28, v2
	v_addc_co_u32_e32 v10, vcc, v10, v3, vcc
	v_mov_b32_e32 v12, s27
	v_add_co_u32_e32 v11, vcc, s26, v2
	v_addc_co_u32_e32 v12, vcc, v12, v3, vcc
	v_mov_b32_e32 v2, 0
	v_mov_b32_e32 v3, 0
	s_mov_b64 s[50:51], 0
.LBB91_12:                              ;   Parent Loop BB91_10 Depth=1
                                        ; =>  This Inner Loop Header: Depth=2
	global_load_dword v15, v[11:12], off
	global_load_dword v17, v[9:10], off
	v_mov_b32_e32 v18, s31
	v_add_u32_e32 v1, 0x100, v1
	v_cmp_le_i32_e64 s[22:23], s7, v1
	s_or_b64 s[50:51], s[22:23], s[50:51]
	s_waitcnt vmcnt(1)
	v_subrev_u32_e32 v15, s40, v15
	v_ashrrev_i32_e32 v16, 31, v15
	v_lshlrev_b64 v[15:16], 3, v[15:16]
	v_add_co_u32_e32 v15, vcc, s30, v15
	v_addc_co_u32_e32 v16, vcc, v18, v16, vcc
	global_load_dwordx2 v[15:16], v[15:16], off
	s_waitcnt vmcnt(1)
	v_cvt_f64_f32_e32 v[17:18], v17
	v_add_co_u32_e32 v9, vcc, 0x400, v9
	v_addc_co_u32_e32 v10, vcc, 0, v10, vcc
	v_mul_f64 v[17:18], v[7:8], v[17:18]
	v_add_co_u32_e32 v11, vcc, 0x400, v11
	v_addc_co_u32_e32 v12, vcc, 0, v12, vcc
	s_waitcnt vmcnt(0)
	v_fma_f64 v[2:3], v[17:18], v[15:16], v[2:3]
	s_andn2_b64 exec, exec, s[50:51]
	s_cbranch_execnz .LBB91_12
; %bb.13:                               ;   in Loop: Header=BB91_10 Depth=1
	s_or_b64 exec, exec, s[50:51]
.LBB91_14:                              ;   in Loop: Header=BB91_10 Depth=1
	s_or_b64 exec, exec, s[48:49]
	ds_write_b64 v13, v[2:3]
	s_waitcnt vmcnt(0) lgkmcnt(0)
	s_barrier
	s_and_saveexec_b64 s[22:23], s[20:21]
	s_cbranch_execz .LBB91_16
; %bb.15:                               ;   in Loop: Header=BB91_10 Depth=1
	ds_read2st64_b64 v[9:12], v13 offset1:2
	s_waitcnt lgkmcnt(0)
	v_add_f64 v[1:2], v[9:10], v[11:12]
	ds_write_b64 v13, v[1:2]
.LBB91_16:                              ;   in Loop: Header=BB91_10 Depth=1
	s_or_b64 exec, exec, s[22:23]
	s_waitcnt lgkmcnt(0)
	s_barrier
	s_and_saveexec_b64 s[22:23], s[0:1]
	s_cbranch_execz .LBB91_18
; %bb.17:                               ;   in Loop: Header=BB91_10 Depth=1
	ds_read2st64_b64 v[9:12], v13 offset1:1
	s_waitcnt lgkmcnt(0)
	v_add_f64 v[1:2], v[9:10], v[11:12]
	ds_write_b64 v13, v[1:2]
.LBB91_18:                              ;   in Loop: Header=BB91_10 Depth=1
	s_or_b64 exec, exec, s[22:23]
	s_waitcnt lgkmcnt(0)
	s_barrier
	s_and_saveexec_b64 s[22:23], s[2:3]
	s_cbranch_execz .LBB91_20
; %bb.19:                               ;   in Loop: Header=BB91_10 Depth=1
	ds_read2_b64 v[9:12], v13 offset1:32
	s_waitcnt lgkmcnt(0)
	v_add_f64 v[1:2], v[9:10], v[11:12]
	ds_write_b64 v13, v[1:2]
.LBB91_20:                              ;   in Loop: Header=BB91_10 Depth=1
	s_or_b64 exec, exec, s[22:23]
	s_waitcnt lgkmcnt(0)
	s_barrier
	s_and_saveexec_b64 s[22:23], s[8:9]
	s_cbranch_execz .LBB91_22
; %bb.21:                               ;   in Loop: Header=BB91_10 Depth=1
	ds_read2_b64 v[9:12], v13 offset1:16
	s_waitcnt lgkmcnt(0)
	v_add_f64 v[1:2], v[9:10], v[11:12]
	ds_write_b64 v13, v[1:2]
.LBB91_22:                              ;   in Loop: Header=BB91_10 Depth=1
	;; [unrolled: 11-line block ×5, first 2 shown]
	s_or_b64 exec, exec, s[22:23]
	s_waitcnt lgkmcnt(0)
	s_barrier
	s_and_saveexec_b64 s[22:23], s[16:17]
	s_cbranch_execz .LBB91_30
; %bb.29:                               ;   in Loop: Header=BB91_10 Depth=1
	ds_read_b128 v[9:12], v14
	s_waitcnt lgkmcnt(0)
	v_add_f64 v[1:2], v[9:10], v[11:12]
	ds_write_b64 v14, v[1:2]
.LBB91_30:                              ;   in Loop: Header=BB91_10 Depth=1
	s_or_b64 exec, exec, s[22:23]
	s_waitcnt lgkmcnt(0)
	s_barrier
	s_and_saveexec_b64 s[22:23], s[16:17]
	s_cbranch_execz .LBB91_9
; %bb.31:                               ;   in Loop: Header=BB91_10 Depth=1
	ds_read_b64 v[1:2], v14
	s_and_saveexec_b64 s[48:49], s[18:19]
	s_cbranch_execz .LBB91_8
; %bb.32:                               ;   in Loop: Header=BB91_10 Depth=1
	s_lshl_b64 s[50:51], s[46:47], 3
	s_add_u32 s50, s34, s50
	s_addc_u32 s51, s35, s51
	global_load_dwordx2 v[9:10], v14, s[50:51]
	s_waitcnt vmcnt(0) lgkmcnt(0)
	v_fma_f64 v[1:2], v[5:6], v[9:10], v[1:2]
	s_branch .LBB91_8
.LBB91_33:
	s_mov_b64 s[18:19], 0
.LBB91_34:
	s_and_b64 vcc, exec, s[18:19]
	s_cbranch_vccz .LBB91_70
; %bb.35:
	s_load_dwordx2 s[8:9], s[4:5], 0x10
	s_sub_i32 s6, s6, s33
	v_mov_b32_e32 v3, 0
	v_or_b32_e32 v4, s33, v0
	v_mov_b32_e32 v1, 0
	s_waitcnt lgkmcnt(0)
	s_add_u32 s2, s8, s44
	s_addc_u32 s3, s9, s45
	global_load_dword v13, v3, s[2:3]
	v_mov_b32_e32 v2, 0
	v_cmp_eq_u32_e32 vcc, 0, v4
	s_and_saveexec_b64 s[0:1], vcc
	s_cbranch_execz .LBB91_39
; %bb.36:
	s_lshl_b64 s[12:13], s[42:43], 3
	s_add_u32 s12, s34, s12
	s_addc_u32 s13, s35, s13
	global_load_dwordx2 v[1:2], v3, s[12:13]
	v_add_f64 v[3:4], v[5:6], -1.0
	s_mov_b64 s[10:11], exec
	v_mbcnt_lo_u32_b32 v9, s10, 0
	v_mbcnt_hi_u32_b32 v9, s11, v9
	v_cmp_eq_u32_e32 vcc, 0, v9
	s_waitcnt vmcnt(0) expcnt(0) lgkmcnt(0)
	s_and_saveexec_b64 s[12:13], vcc
	s_cbranch_execz .LBB91_38
; %bb.37:
	s_ashr_i32 s7, s6, 31
	s_lshl_b64 s[14:15], s[6:7], 2
	s_add_u32 s14, s8, s14
	s_addc_u32 s15, s9, s15
	s_bcnt1_i32_b64 s7, s[10:11]
	s_and_b32 s7, s7, 1
	v_mov_b32_e32 v9, 0
	v_mov_b32_e32 v10, s7
	global_atomic_xor v9, v10, s[14:15]
.LBB91_38:
	s_or_b64 exec, exec, s[12:13]
	v_mul_f64 v[1:2], v[3:4], v[1:2]
.LBB91_39:
	s_or_b64 exec, exec, s[0:1]
	s_load_dword s1, s[38:39], 0x4
	s_mul_i32 s0, s33, 0xc00
	s_sub_i32 s7, s41, s40
	s_add_i32 s0, s7, s0
	v_add_u32_e32 v3, s0, v0
	s_waitcnt lgkmcnt(0)
	s_sub_i32 s1, s1, s40
	v_cmp_gt_i32_e32 vcc, s1, v3
	s_and_saveexec_b64 s[10:11], vcc
	s_cbranch_execz .LBB91_43
; %bb.40:
	v_ashrrev_i32_e32 v4, 31, v3
	v_lshlrev_b64 v[11:12], 2, v[3:4]
	v_mov_b32_e32 v4, s29
	v_add_co_u32_e32 v9, vcc, s28, v11
	v_addc_co_u32_e32 v10, vcc, v4, v12, vcc
	s_addk_i32 s0, 0xc00
	v_mov_b32_e32 v4, s27
	v_add_co_u32_e32 v11, vcc, s26, v11
	s_min_i32 s7, s0, s1
	v_addc_co_u32_e32 v12, vcc, v4, v12, vcc
	s_mov_b64 s[12:13], 0
	v_mov_b32_e32 v4, s31
.LBB91_41:                              ; =>This Inner Loop Header: Depth=1
	global_load_dword v14, v[11:12], off
	global_load_dword v16, v[9:10], off
	v_add_u32_e32 v3, 0x100, v3
	v_cmp_le_i32_e64 s[0:1], s7, v3
	s_or_b64 s[12:13], s[0:1], s[12:13]
	s_waitcnt vmcnt(1)
	v_subrev_u32_e32 v14, s40, v14
	v_ashrrev_i32_e32 v15, 31, v14
	v_lshlrev_b64 v[14:15], 3, v[14:15]
	s_waitcnt vmcnt(0)
	v_cvt_f64_f32_e32 v[16:17], v16
	v_add_co_u32_e32 v14, vcc, s30, v14
	v_addc_co_u32_e32 v15, vcc, v4, v15, vcc
	global_load_dwordx2 v[14:15], v[14:15], off
	v_mul_f64 v[16:17], v[7:8], v[16:17]
	v_add_co_u32_e32 v9, vcc, 0x400, v9
	v_addc_co_u32_e32 v10, vcc, 0, v10, vcc
	v_add_co_u32_e32 v11, vcc, 0x400, v11
	v_addc_co_u32_e32 v12, vcc, 0, v12, vcc
	s_waitcnt vmcnt(0)
	v_fma_f64 v[1:2], v[16:17], v[14:15], v[1:2]
	s_andn2_b64 exec, exec, s[12:13]
	s_cbranch_execnz .LBB91_41
; %bb.42:
	s_or_b64 exec, exec, s[12:13]
.LBB91_43:
	s_or_b64 exec, exec, s[10:11]
	s_movk_i32 s0, 0x80
	v_lshlrev_b32_e32 v3, 3, v0
	v_cmp_gt_u32_e32 vcc, s0, v0
	ds_write_b64 v3, v[1:2]
	s_waitcnt vmcnt(0) lgkmcnt(0)
	s_barrier
	s_and_saveexec_b64 s[0:1], vcc
	s_cbranch_execz .LBB91_45
; %bb.44:
	ds_read2st64_b64 v[9:12], v3 offset1:2
	s_waitcnt lgkmcnt(0)
	v_add_f64 v[1:2], v[9:10], v[11:12]
	ds_write_b64 v3, v[1:2]
.LBB91_45:
	s_or_b64 exec, exec, s[0:1]
	v_cmp_gt_u32_e32 vcc, 64, v0
	s_waitcnt lgkmcnt(0)
	s_barrier
	s_and_saveexec_b64 s[0:1], vcc
	s_cbranch_execz .LBB91_47
; %bb.46:
	ds_read2st64_b64 v[9:12], v3 offset1:1
	s_waitcnt lgkmcnt(0)
	v_add_f64 v[1:2], v[9:10], v[11:12]
	ds_write_b64 v3, v[1:2]
.LBB91_47:
	s_or_b64 exec, exec, s[0:1]
	v_cmp_gt_u32_e32 vcc, 32, v0
	s_waitcnt lgkmcnt(0)
	s_barrier
	s_and_saveexec_b64 s[0:1], vcc
	s_cbranch_execz .LBB91_49
; %bb.48:
	ds_read2_b64 v[9:12], v3 offset1:32
	s_waitcnt lgkmcnt(0)
	v_add_f64 v[1:2], v[9:10], v[11:12]
	ds_write_b64 v3, v[1:2]
.LBB91_49:
	s_or_b64 exec, exec, s[0:1]
	v_cmp_gt_u32_e32 vcc, 16, v0
	s_waitcnt lgkmcnt(0)
	s_barrier
	s_and_saveexec_b64 s[0:1], vcc
	s_cbranch_execz .LBB91_51
; %bb.50:
	ds_read2_b64 v[9:12], v3 offset1:16
	s_waitcnt lgkmcnt(0)
	v_add_f64 v[1:2], v[9:10], v[11:12]
	ds_write_b64 v3, v[1:2]
.LBB91_51:
	;; [unrolled: 12-line block ×5, first 2 shown]
	s_or_b64 exec, exec, s[0:1]
	v_cmp_eq_u32_e32 vcc, 0, v0
	s_waitcnt lgkmcnt(0)
	s_barrier
	s_and_saveexec_b64 s[0:1], vcc
	s_cbranch_execz .LBB91_59
; %bb.58:
	v_mov_b32_e32 v9, 0
	ds_read_b128 v[1:4], v9
	s_waitcnt lgkmcnt(0)
	v_add_f64 v[1:2], v[1:2], v[3:4]
	ds_write_b64 v9, v[1:2]
.LBB91_59:
	s_or_b64 exec, exec, s[0:1]
	s_waitcnt lgkmcnt(0)
	s_barrier
	s_and_saveexec_b64 s[0:1], vcc
	s_cbranch_execz .LBB91_69
; %bb.60:
	s_cmp_eq_u32 s33, 0
	s_cbranch_scc1 .LBB91_66
; %bb.61:
	s_ashr_i32 s7, s6, 31
	s_lshl_b64 s[6:7], s[6:7], 2
	s_add_u32 s6, s8, s6
	s_addc_u32 s7, s9, s7
	v_mov_b32_e32 v1, 0
	s_branch .LBB91_63
.LBB91_62:                              ;   in Loop: Header=BB91_63 Depth=1
	s_or_b64 exec, exec, s[8:9]
	s_waitcnt vmcnt(0)
	v_readfirstlane_b32 s8, v2
	v_cmp_eq_u32_e32 vcc, s8, v13
	s_cbranch_vccz .LBB91_65
.LBB91_63:                              ; =>This Inner Loop Header: Depth=1
	v_mbcnt_lo_u32_b32 v2, exec_lo, 0
	v_mbcnt_hi_u32_b32 v2, exec_hi, v2
	v_cmp_eq_u32_e32 vcc, 0, v2
                                        ; implicit-def: $vgpr2
	s_and_saveexec_b64 s[8:9], vcc
	s_cbranch_execz .LBB91_62
; %bb.64:                               ;   in Loop: Header=BB91_63 Depth=1
	global_load_dword v2, v1, s[6:7] glc
	s_branch .LBB91_62
.LBB91_65:
	v_mov_b32_e32 v1, 0
	global_load_ushort v2, v1, s[2:3]
	s_waitcnt vmcnt(0)
	v_xor_b32_e32 v2, 1, v2
	global_store_short v1, v2, s[2:3]
.LBB91_66:
	s_mov_b64 s[6:7], exec
	v_mbcnt_lo_u32_b32 v1, s6, 0
	v_mbcnt_hi_u32_b32 v1, s7, v1
	v_cmp_eq_u32_e32 vcc, 0, v1
	s_and_b64 s[2:3], exec, vcc
	s_mov_b64 exec, s[2:3]
	s_cbranch_execz .LBB91_69
; %bb.67:
	s_lshl_b64 s[2:3], s[42:43], 3
	s_add_u32 s2, s34, s2
	s_addc_u32 s3, s35, s3
	v_mov_b32_e32 v11, 0
	global_load_dwordx2 v[3:4], v11, s[2:3]
	ds_read_b64 v[1:2], v11
	s_bcnt1_i32_b64 s6, s[6:7]
	v_cvt_f64_u32_e32 v[9:10], s6
	s_mov_b64 s[6:7], 0
	s_waitcnt lgkmcnt(0)
	v_mul_f64 v[9:10], v[1:2], v[9:10]
.LBB91_68:                              ; =>This Inner Loop Header: Depth=1
	s_waitcnt vmcnt(0)
	v_add_f64 v[1:2], v[3:4], v[9:10]
	global_atomic_cmpswap_x2 v[1:2], v11, v[1:4], s[2:3] glc
	s_waitcnt vmcnt(0)
	v_cmp_eq_u64_e32 vcc, v[1:2], v[3:4]
	v_mov_b32_e32 v4, v2
	s_or_b64 s[6:7], vcc, s[6:7]
	v_mov_b32_e32 v3, v1
	s_andn2_b64 exec, exec, s[6:7]
	s_cbranch_execnz .LBB91_68
.LBB91_69:
	s_or_b64 exec, exec, s[0:1]
.LBB91_70:
	s_mov_b64 s[0:1], 0
.LBB91_71:
	s_andn2_b64 vcc, exec, s[0:1]
	s_cbranch_vccnz .LBB91_115
; %bb.72:
	s_load_dword s0, s[4:5], 0x4
	v_subrev_u32_e32 v1, s40, v0
	s_waitcnt lgkmcnt(0)
	v_add_u32_e32 v1, s41, v1
	v_add_u32_e32 v2, 0x300, v1
	v_cmp_le_i32_e32 vcc, s0, v2
	s_and_saveexec_b64 s[0:1], vcc
	s_xor_b64 s[0:1], exec, s[0:1]
	s_cbranch_execz .LBB91_77
; %bb.73:
	s_ashr_i32 s3, s37, 31
	s_mov_b32 s2, s37
	s_lshl_b64 s[2:3], s[2:3], 2
	s_add_u32 s2, s24, s2
	s_addc_u32 s3, s25, s3
	s_load_dword s2, s[2:3], 0x0
	s_waitcnt lgkmcnt(0)
	s_sub_i32 s6, s2, s40
	v_cmp_gt_i32_e32 vcc, s6, v1
	s_and_saveexec_b64 s[2:3], vcc
	s_cbranch_execz .LBB91_76
; %bb.74:
	v_lshlrev_b32_e32 v3, 3, v0
	s_mov_b64 s[4:5], 0
	v_mov_b32_e32 v4, s29
	v_mov_b32_e32 v9, s27
	;; [unrolled: 1-line block ×3, first 2 shown]
.LBB91_75:                              ; =>This Inner Loop Header: Depth=1
	v_ashrrev_i32_e32 v2, 31, v1
	v_lshlrev_b64 v[11:12], 2, v[1:2]
	v_add_u32_e32 v1, 0x100, v1
	v_add_co_u32_e32 v13, vcc, s26, v11
	v_addc_co_u32_e32 v14, vcc, v9, v12, vcc
	global_load_dword v2, v[13:14], off
	v_add_co_u32_e32 v11, vcc, s28, v11
	v_addc_co_u32_e32 v12, vcc, v4, v12, vcc
	global_load_dword v13, v[11:12], off
	s_waitcnt vmcnt(1)
	v_subrev_u32_e32 v11, s40, v2
	v_ashrrev_i32_e32 v12, 31, v11
	v_lshlrev_b64 v[11:12], 3, v[11:12]
	v_add_co_u32_e32 v11, vcc, s30, v11
	v_addc_co_u32_e32 v12, vcc, v10, v12, vcc
	global_load_dwordx2 v[11:12], v[11:12], off
	s_waitcnt vmcnt(1)
	v_cvt_f64_f32_e32 v[13:14], v13
	v_cmp_le_i32_e32 vcc, s6, v1
	s_or_b64 s[4:5], vcc, s[4:5]
	v_mul_f64 v[13:14], v[7:8], v[13:14]
	s_waitcnt vmcnt(0)
	v_mul_f64 v[11:12], v[13:14], v[11:12]
	ds_write_b64 v3, v[11:12]
	v_add_u32_e32 v3, 0x800, v3
	s_andn2_b64 exec, exec, s[4:5]
	s_cbranch_execnz .LBB91_75
.LBB91_76:
	s_or_b64 exec, exec, s[2:3]
                                        ; implicit-def: $vgpr1
                                        ; implicit-def: $vgpr7_vgpr8
.LBB91_77:
	s_or_saveexec_b64 s[0:1], s[0:1]
	v_lshlrev_b32_e32 v9, 3, v0
	s_xor_b64 exec, exec, s[0:1]
	s_cbranch_execz .LBB91_79
; %bb.78:
	v_ashrrev_i32_e32 v2, 31, v1
	v_lshlrev_b64 v[1:2], 2, v[1:2]
	v_mov_b32_e32 v4, s27
	v_add_co_u32_e32 v3, vcc, s26, v1
	v_addc_co_u32_e32 v4, vcc, v4, v2, vcc
	global_load_dword v10, v[3:4], off
	global_load_dword v11, v[3:4], off offset:1024
	global_load_dword v12, v[3:4], off offset:2048
	;; [unrolled: 1-line block ×3, first 2 shown]
	v_mov_b32_e32 v3, s29
	v_add_co_u32_e32 v1, vcc, s28, v1
	v_addc_co_u32_e32 v2, vcc, v3, v2, vcc
	global_load_dword v22, v[1:2], off
	global_load_dword v23, v[1:2], off offset:1024
	global_load_dword v24, v[1:2], off offset:2048
	;; [unrolled: 1-line block ×3, first 2 shown]
	v_mov_b32_e32 v14, s31
	v_mov_b32_e32 v15, s31
	;; [unrolled: 1-line block ×4, first 2 shown]
	s_waitcnt vmcnt(7)
	v_subrev_u32_e32 v1, s40, v10
	v_ashrrev_i32_e32 v2, 31, v1
	s_waitcnt vmcnt(6)
	v_subrev_u32_e32 v3, s40, v11
	v_lshlrev_b64 v[1:2], 3, v[1:2]
	v_ashrrev_i32_e32 v4, 31, v3
	s_waitcnt vmcnt(5)
	v_subrev_u32_e32 v10, s40, v12
	v_lshlrev_b64 v[3:4], 3, v[3:4]
	v_add_co_u32_e32 v1, vcc, s30, v1
	v_ashrrev_i32_e32 v11, 31, v10
	v_addc_co_u32_e32 v2, vcc, v14, v2, vcc
	s_waitcnt vmcnt(4)
	v_subrev_u32_e32 v12, s40, v13
	v_lshlrev_b64 v[10:11], 3, v[10:11]
	v_add_co_u32_e32 v3, vcc, s30, v3
	v_ashrrev_i32_e32 v13, 31, v12
	v_addc_co_u32_e32 v4, vcc, v15, v4, vcc
	v_lshlrev_b64 v[12:13], 3, v[12:13]
	v_add_co_u32_e32 v10, vcc, s30, v10
	v_addc_co_u32_e32 v11, vcc, v16, v11, vcc
	v_add_co_u32_e32 v12, vcc, s30, v12
	v_addc_co_u32_e32 v13, vcc, v17, v13, vcc
	global_load_dwordx2 v[14:15], v[1:2], off
	global_load_dwordx2 v[16:17], v[3:4], off
	;; [unrolled: 1-line block ×4, first 2 shown]
	s_waitcnt vmcnt(7)
	v_cvt_f64_f32_e32 v[1:2], v22
	s_waitcnt vmcnt(6)
	v_cvt_f64_f32_e32 v[3:4], v23
	;; [unrolled: 2-line block ×4, first 2 shown]
	v_mul_f64 v[1:2], v[7:8], v[1:2]
	v_mul_f64 v[3:4], v[7:8], v[3:4]
	;; [unrolled: 1-line block ×4, first 2 shown]
	s_waitcnt vmcnt(3)
	v_mul_f64 v[1:2], v[1:2], v[14:15]
	s_waitcnt vmcnt(2)
	v_mul_f64 v[3:4], v[3:4], v[16:17]
	;; [unrolled: 2-line block ×4, first 2 shown]
	ds_write2st64_b64 v9, v[1:2], v[3:4] offset1:4
	ds_write2st64_b64 v9, v[10:11], v[7:8] offset0:8 offset1:12
.LBB91_79:
	s_or_b64 exec, exec, s[0:1]
	s_cmp_lt_i32 s33, 2
	s_mov_b64 s[0:1], -1
	s_waitcnt vmcnt(0) lgkmcnt(0)
	s_barrier
	s_cbranch_scc0 .LBB91_90
; %bb.80:
	v_add_u32_e32 v1, s36, v0
	v_cmp_gt_i32_e32 vcc, s37, v1
	s_and_saveexec_b64 s[2:3], vcc
	s_cbranch_execz .LBB91_89
; %bb.81:
	v_cmp_neq_f64_e32 vcc, 0, v[5:6]
	s_lshl_b32 s0, s41, 3
	s_mov_b64 s[4:5], 0
	s_sub_i32 s10, 0, s0
	v_mov_b32_e32 v10, s25
	v_mov_b32_e32 v11, s35
	s_branch .LBB91_83
.LBB91_82:                              ;   in Loop: Header=BB91_83 Depth=1
	s_or_b64 exec, exec, s[6:7]
	v_add_co_u32_e64 v7, s[0:1], s34, v7
	v_addc_co_u32_e64 v8, s[0:1], v11, v8, s[0:1]
	v_add_u32_e32 v1, 0x100, v1
	v_cmp_le_i32_e64 s[0:1], s37, v1
	s_or_b64 s[4:5], s[0:1], s[4:5]
	global_store_dwordx2 v[7:8], v[3:4], off
	s_andn2_b64 exec, exec, s[4:5]
	s_cbranch_execz .LBB91_89
.LBB91_83:                              ; =>This Loop Header: Depth=1
                                        ;     Child Loop BB91_85 Depth 2
	v_ashrrev_i32_e32 v2, 31, v1
	v_lshlrev_b64 v[3:4], 2, v[1:2]
	v_add_co_u32_e64 v3, s[0:1], s24, v3
	v_addc_co_u32_e64 v4, s[0:1], v10, v4, s[0:1]
	global_load_dwordx2 v[7:8], v[3:4], off
	v_mov_b32_e32 v3, 0
	v_mov_b32_e32 v4, 0
	s_waitcnt vmcnt(0)
	v_cmp_lt_i32_e64 s[0:1], v7, v8
	s_and_saveexec_b64 s[6:7], s[0:1]
	s_cbranch_execz .LBB91_87
; %bb.84:                               ;   in Loop: Header=BB91_83 Depth=1
	v_mov_b32_e32 v3, 0
	v_subrev_u32_e32 v8, s41, v8
	v_subrev_u32_e32 v12, s41, v7
	v_lshl_add_u32 v7, v7, 3, s10
	v_mov_b32_e32 v4, 0
	s_mov_b64 s[8:9], 0
.LBB91_85:                              ;   Parent Loop BB91_83 Depth=1
                                        ; =>  This Inner Loop Header: Depth=2
	ds_read_b64 v[13:14], v7
	v_add_u32_e32 v12, 1, v12
	v_cmp_ge_i32_e64 s[0:1], v12, v8
	s_or_b64 s[8:9], s[0:1], s[8:9]
	v_add_u32_e32 v7, 8, v7
	s_waitcnt lgkmcnt(0)
	v_add_f64 v[3:4], v[3:4], v[13:14]
	s_andn2_b64 exec, exec, s[8:9]
	s_cbranch_execnz .LBB91_85
; %bb.86:                               ;   in Loop: Header=BB91_83 Depth=1
	s_or_b64 exec, exec, s[8:9]
.LBB91_87:                              ;   in Loop: Header=BB91_83 Depth=1
	s_or_b64 exec, exec, s[6:7]
	v_lshlrev_b64 v[7:8], 3, v[1:2]
	s_and_saveexec_b64 s[6:7], vcc
	s_cbranch_execz .LBB91_82
; %bb.88:                               ;   in Loop: Header=BB91_83 Depth=1
	v_mov_b32_e32 v2, s35
	v_add_co_u32_e64 v12, s[0:1], s34, v7
	v_addc_co_u32_e64 v13, s[0:1], v2, v8, s[0:1]
	global_load_dwordx2 v[12:13], v[12:13], off
	s_waitcnt vmcnt(0)
	v_fma_f64 v[3:4], v[5:6], v[12:13], v[3:4]
	s_branch .LBB91_82
.LBB91_89:
	s_or_b64 exec, exec, s[2:3]
	s_mov_b64 s[0:1], 0
.LBB91_90:
	s_andn2_b64 vcc, exec, s[0:1]
	s_cbranch_vccnz .LBB91_115
; %bb.91:
	s_flbit_i32_b32 s0, s33
	s_xor_b32 s0, s0, 31
	v_lshrrev_b32_e32 v4, s0, v0
	v_add_u32_e32 v1, s36, v4
	s_add_i32 s0, s33, -1
	v_mov_b32_e32 v2, 0
	v_and_b32_e32 v0, s0, v0
	v_cmp_le_i32_e32 vcc, s37, v1
	v_mov_b32_e32 v3, 0
	v_cmp_gt_i32_e64 s[0:1], s37, v1
	s_and_saveexec_b64 s[2:3], s[0:1]
	s_cbranch_execz .LBB91_97
; %bb.92:
	v_lshlrev_b32_e32 v2, 2, v4
	global_load_dwordx2 v[2:3], v2, s[38:39]
	v_subrev_u32_e32 v7, s41, v0
	s_waitcnt vmcnt(0)
	v_subrev_u32_e32 v4, s41, v3
	v_add_u32_e32 v7, v2, v7
	v_mov_b32_e32 v2, 0
	v_mov_b32_e32 v3, 0
	v_cmp_lt_i32_e64 s[0:1], v7, v4
	s_and_saveexec_b64 s[4:5], s[0:1]
	s_cbranch_execz .LBB91_96
; %bb.93:
	v_mov_b32_e32 v2, 0
	v_lshlrev_b32_e32 v8, 3, v7
	s_lshl_b32 s8, s33, 3
	v_mov_b32_e32 v3, 0
	s_mov_b64 s[6:7], 0
.LBB91_94:                              ; =>This Inner Loop Header: Depth=1
	ds_read_b64 v[10:11], v8
	v_add_u32_e32 v7, s33, v7
	v_cmp_ge_i32_e64 s[0:1], v7, v4
	s_or_b64 s[6:7], s[0:1], s[6:7]
	v_add_u32_e32 v8, s8, v8
	s_waitcnt lgkmcnt(0)
	v_add_f64 v[2:3], v[2:3], v[10:11]
	s_andn2_b64 exec, exec, s[6:7]
	s_cbranch_execnz .LBB91_94
; %bb.95:
	s_or_b64 exec, exec, s[6:7]
.LBB91_96:
	s_or_b64 exec, exec, s[4:5]
.LBB91_97:
	s_or_b64 exec, exec, s[2:3]
	s_cmpk_lt_u32 s33, 0x81
	s_waitcnt vmcnt(0)
	s_barrier
	ds_write_b64 v9, v[2:3]
	s_waitcnt lgkmcnt(0)
	s_barrier
	s_cbranch_scc1 .LBB91_99
; %bb.98:
	ds_read_b64 v[7:8], v9 offset:1024
	s_waitcnt lgkmcnt(0)
	s_barrier
	v_add_f64 v[2:3], v[2:3], v[7:8]
	ds_write_b64 v9, v[2:3]
.LBB91_99:
	s_cmpk_lt_u32 s33, 0x41
	s_waitcnt lgkmcnt(0)
	s_barrier
	s_cbranch_scc1 .LBB91_101
; %bb.100:
	ds_read_b64 v[7:8], v9 offset:512
	s_waitcnt lgkmcnt(0)
	s_barrier
	v_add_f64 v[2:3], v[2:3], v[7:8]
	ds_write_b64 v9, v[2:3]
.LBB91_101:
	s_cmp_lt_u32 s33, 33
	s_waitcnt lgkmcnt(0)
	s_barrier
	s_cbranch_scc1 .LBB91_103
; %bb.102:
	ds_read_b64 v[7:8], v9 offset:256
	s_waitcnt lgkmcnt(0)
	s_barrier
	v_add_f64 v[2:3], v[2:3], v[7:8]
	ds_write_b64 v9, v[2:3]
.LBB91_103:
	s_cmp_lt_u32 s33, 17
	;; [unrolled: 11-line block ×4, first 2 shown]
	s_waitcnt lgkmcnt(0)
	s_barrier
	s_cbranch_scc1 .LBB91_109
; %bb.108:
	ds_read_b64 v[7:8], v9 offset:32
	s_waitcnt lgkmcnt(0)
	s_barrier
	v_add_f64 v[2:3], v[2:3], v[7:8]
	ds_write_b64 v9, v[2:3]
.LBB91_109:
	s_cmp_eq_u32 s33, 2
	s_waitcnt lgkmcnt(0)
	s_barrier
	s_cbranch_scc1 .LBB91_111
; %bb.110:
	ds_read_b64 v[7:8], v9 offset:16
	s_waitcnt lgkmcnt(0)
	s_barrier
	v_add_f64 v[2:3], v[2:3], v[7:8]
	ds_write_b64 v9, v[2:3]
.LBB91_111:
	s_waitcnt lgkmcnt(0)
	s_barrier
	ds_read_b64 v[7:8], v9 offset:8
	v_cmp_eq_u32_e64 s[0:1], 0, v0
	s_xor_b64 s[2:3], vcc, -1
	s_and_b64 s[0:1], s[0:1], s[2:3]
	s_waitcnt lgkmcnt(0)
	v_add_f64 v[3:4], v[2:3], v[7:8]
	s_barrier
	ds_write_b64 v9, v[3:4]
	s_and_b64 exec, exec, s[0:1]
	s_cbranch_execz .LBB91_115
; %bb.112:
	v_cmp_neq_f64_e32 vcc, 0, v[5:6]
	v_ashrrev_i32_e32 v2, 31, v1
	v_lshlrev_b64 v[0:1], 3, v[1:2]
	s_and_saveexec_b64 s[0:1], vcc
	s_cbranch_execz .LBB91_114
; %bb.113:
	v_mov_b32_e32 v2, s35
	v_add_co_u32_e32 v7, vcc, s34, v0
	v_addc_co_u32_e32 v8, vcc, v2, v1, vcc
	global_load_dwordx2 v[7:8], v[7:8], off
	s_waitcnt vmcnt(0)
	v_fma_f64 v[3:4], v[5:6], v[7:8], v[3:4]
.LBB91_114:
	s_or_b64 exec, exec, s[0:1]
	v_mov_b32_e32 v2, s35
	v_add_co_u32_e32 v0, vcc, s34, v0
	v_addc_co_u32_e32 v1, vcc, v2, v1, vcc
	global_store_dwordx2 v[0:1], v[3:4], off
.LBB91_115:
	s_endpgm
	.section	.rodata,"a",@progbits
	.p2align	6, 0x0
	.amdhsa_kernel _ZN9rocsparseL22csrmvn_adaptive_kernelIiifdddEEvbT_PKS1_PjPKT0_NS_24const_host_device_scalarIT4_EES3_S7_PKT1_PKT2_SA_PT3_21rocsparse_index_base_b
		.amdhsa_group_segment_fixed_size 8192
		.amdhsa_private_segment_fixed_size 0
		.amdhsa_kernarg_size 96
		.amdhsa_user_sgpr_count 6
		.amdhsa_user_sgpr_private_segment_buffer 1
		.amdhsa_user_sgpr_dispatch_ptr 0
		.amdhsa_user_sgpr_queue_ptr 0
		.amdhsa_user_sgpr_kernarg_segment_ptr 1
		.amdhsa_user_sgpr_dispatch_id 0
		.amdhsa_user_sgpr_flat_scratch_init 0
		.amdhsa_user_sgpr_private_segment_size 0
		.amdhsa_uses_dynamic_stack 0
		.amdhsa_system_sgpr_private_segment_wavefront_offset 0
		.amdhsa_system_sgpr_workgroup_id_x 1
		.amdhsa_system_sgpr_workgroup_id_y 0
		.amdhsa_system_sgpr_workgroup_id_z 0
		.amdhsa_system_sgpr_workgroup_info 0
		.amdhsa_system_vgpr_workitem_id 0
		.amdhsa_next_free_vgpr 29
		.amdhsa_next_free_sgpr 61
		.amdhsa_reserve_vcc 1
		.amdhsa_reserve_flat_scratch 0
		.amdhsa_float_round_mode_32 0
		.amdhsa_float_round_mode_16_64 0
		.amdhsa_float_denorm_mode_32 3
		.amdhsa_float_denorm_mode_16_64 3
		.amdhsa_dx10_clamp 1
		.amdhsa_ieee_mode 1
		.amdhsa_fp16_overflow 0
		.amdhsa_exception_fp_ieee_invalid_op 0
		.amdhsa_exception_fp_denorm_src 0
		.amdhsa_exception_fp_ieee_div_zero 0
		.amdhsa_exception_fp_ieee_overflow 0
		.amdhsa_exception_fp_ieee_underflow 0
		.amdhsa_exception_fp_ieee_inexact 0
		.amdhsa_exception_int_div_zero 0
	.end_amdhsa_kernel
	.section	.text._ZN9rocsparseL22csrmvn_adaptive_kernelIiifdddEEvbT_PKS1_PjPKT0_NS_24const_host_device_scalarIT4_EES3_S7_PKT1_PKT2_SA_PT3_21rocsparse_index_base_b,"axG",@progbits,_ZN9rocsparseL22csrmvn_adaptive_kernelIiifdddEEvbT_PKS1_PjPKT0_NS_24const_host_device_scalarIT4_EES3_S7_PKT1_PKT2_SA_PT3_21rocsparse_index_base_b,comdat
.Lfunc_end91:
	.size	_ZN9rocsparseL22csrmvn_adaptive_kernelIiifdddEEvbT_PKS1_PjPKT0_NS_24const_host_device_scalarIT4_EES3_S7_PKT1_PKT2_SA_PT3_21rocsparse_index_base_b, .Lfunc_end91-_ZN9rocsparseL22csrmvn_adaptive_kernelIiifdddEEvbT_PKS1_PjPKT0_NS_24const_host_device_scalarIT4_EES3_S7_PKT1_PKT2_SA_PT3_21rocsparse_index_base_b
                                        ; -- End function
	.set _ZN9rocsparseL22csrmvn_adaptive_kernelIiifdddEEvbT_PKS1_PjPKT0_NS_24const_host_device_scalarIT4_EES3_S7_PKT1_PKT2_SA_PT3_21rocsparse_index_base_b.num_vgpr, 26
	.set _ZN9rocsparseL22csrmvn_adaptive_kernelIiifdddEEvbT_PKS1_PjPKT0_NS_24const_host_device_scalarIT4_EES3_S7_PKT1_PKT2_SA_PT3_21rocsparse_index_base_b.num_agpr, 0
	.set _ZN9rocsparseL22csrmvn_adaptive_kernelIiifdddEEvbT_PKS1_PjPKT0_NS_24const_host_device_scalarIT4_EES3_S7_PKT1_PKT2_SA_PT3_21rocsparse_index_base_b.numbered_sgpr, 52
	.set _ZN9rocsparseL22csrmvn_adaptive_kernelIiifdddEEvbT_PKS1_PjPKT0_NS_24const_host_device_scalarIT4_EES3_S7_PKT1_PKT2_SA_PT3_21rocsparse_index_base_b.num_named_barrier, 0
	.set _ZN9rocsparseL22csrmvn_adaptive_kernelIiifdddEEvbT_PKS1_PjPKT0_NS_24const_host_device_scalarIT4_EES3_S7_PKT1_PKT2_SA_PT3_21rocsparse_index_base_b.private_seg_size, 0
	.set _ZN9rocsparseL22csrmvn_adaptive_kernelIiifdddEEvbT_PKS1_PjPKT0_NS_24const_host_device_scalarIT4_EES3_S7_PKT1_PKT2_SA_PT3_21rocsparse_index_base_b.uses_vcc, 1
	.set _ZN9rocsparseL22csrmvn_adaptive_kernelIiifdddEEvbT_PKS1_PjPKT0_NS_24const_host_device_scalarIT4_EES3_S7_PKT1_PKT2_SA_PT3_21rocsparse_index_base_b.uses_flat_scratch, 0
	.set _ZN9rocsparseL22csrmvn_adaptive_kernelIiifdddEEvbT_PKS1_PjPKT0_NS_24const_host_device_scalarIT4_EES3_S7_PKT1_PKT2_SA_PT3_21rocsparse_index_base_b.has_dyn_sized_stack, 0
	.set _ZN9rocsparseL22csrmvn_adaptive_kernelIiifdddEEvbT_PKS1_PjPKT0_NS_24const_host_device_scalarIT4_EES3_S7_PKT1_PKT2_SA_PT3_21rocsparse_index_base_b.has_recursion, 0
	.set _ZN9rocsparseL22csrmvn_adaptive_kernelIiifdddEEvbT_PKS1_PjPKT0_NS_24const_host_device_scalarIT4_EES3_S7_PKT1_PKT2_SA_PT3_21rocsparse_index_base_b.has_indirect_call, 0
	.section	.AMDGPU.csdata,"",@progbits
; Kernel info:
; codeLenInByte = 4000
; TotalNumSgprs: 56
; NumVgprs: 26
; ScratchSize: 0
; MemoryBound: 0
; FloatMode: 240
; IeeeMode: 1
; LDSByteSize: 8192 bytes/workgroup (compile time only)
; SGPRBlocks: 8
; VGPRBlocks: 7
; NumSGPRsForWavesPerEU: 65
; NumVGPRsForWavesPerEU: 29
; Occupancy: 8
; WaveLimiterHint : 1
; COMPUTE_PGM_RSRC2:SCRATCH_EN: 0
; COMPUTE_PGM_RSRC2:USER_SGPR: 6
; COMPUTE_PGM_RSRC2:TRAP_HANDLER: 0
; COMPUTE_PGM_RSRC2:TGID_X_EN: 1
; COMPUTE_PGM_RSRC2:TGID_Y_EN: 0
; COMPUTE_PGM_RSRC2:TGID_Z_EN: 0
; COMPUTE_PGM_RSRC2:TIDIG_COMP_CNT: 0
	.section	.text._ZN9rocsparseL27csrmvn_symm_adaptive_kernelIiifdddEEvbT_S1_PKS1_NS_24const_host_device_scalarIT4_EES3_PKT0_PKT1_PKT2_S6_PT3_21rocsparse_index_base_b,"axG",@progbits,_ZN9rocsparseL27csrmvn_symm_adaptive_kernelIiifdddEEvbT_S1_PKS1_NS_24const_host_device_scalarIT4_EES3_PKT0_PKT1_PKT2_S6_PT3_21rocsparse_index_base_b,comdat
	.globl	_ZN9rocsparseL27csrmvn_symm_adaptive_kernelIiifdddEEvbT_S1_PKS1_NS_24const_host_device_scalarIT4_EES3_PKT0_PKT1_PKT2_S6_PT3_21rocsparse_index_base_b ; -- Begin function _ZN9rocsparseL27csrmvn_symm_adaptive_kernelIiifdddEEvbT_S1_PKS1_NS_24const_host_device_scalarIT4_EES3_PKT0_PKT1_PKT2_S6_PT3_21rocsparse_index_base_b
	.p2align	8
	.type	_ZN9rocsparseL27csrmvn_symm_adaptive_kernelIiifdddEEvbT_S1_PKS1_NS_24const_host_device_scalarIT4_EES3_PKT0_PKT1_PKT2_S6_PT3_21rocsparse_index_base_b,@function
_ZN9rocsparseL27csrmvn_symm_adaptive_kernelIiifdddEEvbT_S1_PKS1_NS_24const_host_device_scalarIT4_EES3_PKT0_PKT1_PKT2_S6_PT3_21rocsparse_index_base_b: ; @_ZN9rocsparseL27csrmvn_symm_adaptive_kernelIiifdddEEvbT_S1_PKS1_NS_24const_host_device_scalarIT4_EES3_PKT0_PKT1_PKT2_S6_PT3_21rocsparse_index_base_b
; %bb.0:
	s_load_dwordx2 s[24:25], s[4:5], 0x50
	s_load_dwordx2 s[8:9], s[4:5], 0x18
	s_load_dwordx2 s[0:1], s[4:5], 0x40
	s_waitcnt lgkmcnt(0)
	s_bitcmp1_b32 s25, 0
	s_cselect_b64 s[10:11], -1, 0
	v_mov_b32_e32 v7, s8
	s_xor_b64 s[2:3], s[10:11], -1
	s_and_b64 vcc, exec, s[10:11]
	v_mov_b32_e32 v8, s9
	s_cbranch_vccnz .LBB92_2
; %bb.1:
	v_mov_b32_e32 v1, s8
	v_mov_b32_e32 v2, s9
	flat_load_dwordx2 v[7:8], v[1:2]
.LBB92_2:
	v_mov_b32_e32 v2, s1
	s_andn2_b64 vcc, exec, s[2:3]
	v_mov_b32_e32 v1, s0
	s_cbranch_vccnz .LBB92_4
; %bb.3:
	v_mov_b32_e32 v2, s1
	v_mov_b32_e32 v1, s0
	flat_load_dwordx2 v[1:2], v[1:2]
.LBB92_4:
	s_waitcnt vmcnt(0) lgkmcnt(0)
	v_cmp_neq_f64_e32 vcc, 0, v[7:8]
	v_cmp_neq_f64_e64 s[0:1], 1.0, v[1:2]
	s_or_b64 s[0:1], vcc, s[0:1]
	s_and_saveexec_b64 s[2:3], s[0:1]
	s_cbranch_execz .LBB92_171
; %bb.5:
	s_load_dwordx2 s[0:1], s[4:5], 0x10
	s_mov_b32 s2, 0
	s_mov_b32 s3, s2
	v_mov_b32_e32 v1, s2
	s_ashr_i32 s7, s6, 31
	v_mov_b32_e32 v2, s3
	s_lshl_b64 s[2:3], s[6:7], 2
	s_waitcnt lgkmcnt(0)
	s_add_u32 s0, s0, s2
	v_lshlrev_b32_e32 v16, 3, v0
	s_addc_u32 s1, s1, s3
	ds_write2st64_b64 v16, v[1:2], v[1:2] offset1:4
	ds_write2st64_b64 v16, v[1:2], v[1:2] offset0:8 offset1:12
	s_waitcnt lgkmcnt(0)
	s_barrier
	s_load_dwordx2 s[22:23], s[0:1], 0x0
	s_load_dwordx8 s[12:19], s[4:5], 0x20
	s_load_dwordx2 s[20:21], s[4:5], 0x48
	s_mov_b64 s[0:1], -1
	v_subrev_u32_e32 v13, s24, v0
	s_waitcnt lgkmcnt(0)
	s_sub_i32 s25, s23, s22
	s_cmp_gt_i32 s25, 2
	s_cbranch_scc1 .LBB92_39
; %bb.6:
	s_cmp_le_i32 s23, s22
	s_cbranch_scc1 .LBB92_28
; %bb.7:
	v_cmp_gt_u32_e64 s[0:1], 64, v0
	v_cmp_gt_u32_e64 s[2:3], 16, v0
	;; [unrolled: 1-line block ×3, first 2 shown]
	v_cmp_eq_u32_e64 s[8:9], 0, v0
	v_mov_b32_e32 v11, 0
	s_mov_b32 s26, s22
	s_branch .LBB92_9
.LBB92_8:                               ;   in Loop: Header=BB92_9 Depth=1
	s_or_b64 exec, exec, s[10:11]
	s_add_i32 s26, s26, 1
	s_cmp_ge_i32 s26, s23
	s_cbranch_scc1 .LBB92_28
.LBB92_9:                               ; =>This Loop Header: Depth=1
                                        ;     Child Loop BB92_11 Depth 2
                                        ;     Child Loop BB92_23 Depth 2
	;; [unrolled: 1-line block ×3, first 2 shown]
	s_ashr_i32 s27, s26, 31
	s_lshl_b64 s[10:11], s[26:27], 2
	s_add_u32 s10, s12, s10
	s_addc_u32 s11, s13, s11
	s_load_dwordx2 s[28:29], s[10:11], 0x0
	v_mov_b32_e32 v2, 0
	v_mov_b32_e32 v3, 0
	s_waitcnt lgkmcnt(0)
	s_sub_i32 s33, s29, s24
	v_add_u32_e32 v1, s28, v13
	v_cmp_gt_i32_e32 vcc, s33, v1
	s_and_saveexec_b64 s[28:29], vcc
	s_cbranch_execz .LBB92_13
; %bb.10:                               ;   in Loop: Header=BB92_9 Depth=1
	v_ashrrev_i32_e32 v2, 31, v1
	v_lshlrev_b64 v[2:3], 2, v[1:2]
	v_mov_b32_e32 v5, s15
	v_add_co_u32_e32 v4, vcc, s14, v2
	v_addc_co_u32_e32 v5, vcc, v5, v3, vcc
	v_mov_b32_e32 v6, s17
	v_add_co_u32_e32 v9, vcc, s16, v2
	v_addc_co_u32_e32 v10, vcc, v6, v3, vcc
	v_mov_b32_e32 v2, 0
	v_mov_b32_e32 v3, 0
	s_mov_b64 s[30:31], 0
.LBB92_11:                              ;   Parent Loop BB92_9 Depth=1
                                        ; =>  This Inner Loop Header: Depth=2
	global_load_dword v6, v[4:5], off
	global_load_dword v12, v[9:10], off
	v_mov_b32_e32 v17, s19
	v_add_u32_e32 v1, 0x100, v1
	v_cmp_le_i32_e64 s[10:11], s33, v1
	s_or_b64 s[30:31], s[10:11], s[30:31]
	s_waitcnt vmcnt(1)
	v_subrev_u32_e32 v14, s24, v6
	v_ashrrev_i32_e32 v15, 31, v14
	v_lshlrev_b64 v[14:15], 3, v[14:15]
	v_add_co_u32_e32 v14, vcc, s18, v14
	v_addc_co_u32_e32 v15, vcc, v17, v15, vcc
	global_load_dwordx2 v[14:15], v[14:15], off
	s_waitcnt vmcnt(1)
	v_cvt_f64_f32_e32 v[17:18], v12
	v_add_co_u32_e32 v4, vcc, 0x400, v4
	v_addc_co_u32_e32 v5, vcc, 0, v5, vcc
	v_add_co_u32_e32 v9, vcc, 0x400, v9
	v_addc_co_u32_e32 v10, vcc, 0, v10, vcc
	s_waitcnt vmcnt(0)
	v_fma_f64 v[2:3], v[17:18], v[14:15], v[2:3]
	s_andn2_b64 exec, exec, s[30:31]
	s_cbranch_execnz .LBB92_11
; %bb.12:                               ;   in Loop: Header=BB92_9 Depth=1
	s_or_b64 exec, exec, s[30:31]
.LBB92_13:                              ;   in Loop: Header=BB92_9 Depth=1
	s_or_b64 exec, exec, s[28:29]
	ds_write_b64 v16, v[2:3]
	s_waitcnt lgkmcnt(0)
	s_barrier
	ds_read2st64_b64 v[1:4], v16 offset1:4
	ds_read2st64_b64 v[17:20], v16 offset0:8 offset1:12
	s_waitcnt lgkmcnt(0)
	v_add_f64 v[3:4], v[3:4], v[17:18]
	v_add_f64 v[3:4], v[3:4], v[19:20]
	;; [unrolled: 1-line block ×3, first 2 shown]
	ds_write_b64 v16, v[1:2]
	s_waitcnt lgkmcnt(0)
	s_barrier
	s_and_saveexec_b64 s[10:11], s[0:1]
	s_cbranch_execz .LBB92_15
; %bb.14:                               ;   in Loop: Header=BB92_9 Depth=1
	ds_read2st64_b64 v[1:4], v16 offset1:1
	ds_read2st64_b64 v[17:20], v16 offset0:2 offset1:3
	s_waitcnt lgkmcnt(0)
	v_add_f64 v[3:4], v[3:4], v[17:18]
	v_add_f64 v[3:4], v[3:4], v[19:20]
	;; [unrolled: 1-line block ×3, first 2 shown]
	ds_write_b64 v16, v[1:2]
.LBB92_15:                              ;   in Loop: Header=BB92_9 Depth=1
	s_or_b64 exec, exec, s[10:11]
	s_waitcnt lgkmcnt(0)
	s_barrier
	s_and_saveexec_b64 s[10:11], s[2:3]
	s_cbranch_execz .LBB92_17
; %bb.16:                               ;   in Loop: Header=BB92_9 Depth=1
	ds_read2_b64 v[1:4], v16 offset1:16
	ds_read2_b64 v[17:20], v16 offset0:32 offset1:48
	s_waitcnt lgkmcnt(0)
	v_add_f64 v[3:4], v[3:4], v[17:18]
	v_add_f64 v[3:4], v[3:4], v[19:20]
	;; [unrolled: 1-line block ×3, first 2 shown]
	ds_write_b64 v16, v[1:2]
.LBB92_17:                              ;   in Loop: Header=BB92_9 Depth=1
	s_or_b64 exec, exec, s[10:11]
	s_waitcnt lgkmcnt(0)
	s_barrier
	s_and_saveexec_b64 s[10:11], s[6:7]
	s_cbranch_execz .LBB92_19
; %bb.18:                               ;   in Loop: Header=BB92_9 Depth=1
	ds_read2_b64 v[1:4], v16 offset1:4
	ds_read2_b64 v[17:20], v16 offset0:8 offset1:12
	s_waitcnt lgkmcnt(0)
	v_add_f64 v[3:4], v[3:4], v[17:18]
	v_add_f64 v[3:4], v[3:4], v[19:20]
	;; [unrolled: 1-line block ×3, first 2 shown]
	ds_write_b64 v16, v[1:2]
.LBB92_19:                              ;   in Loop: Header=BB92_9 Depth=1
	s_or_b64 exec, exec, s[10:11]
	s_waitcnt lgkmcnt(0)
	s_barrier
	s_and_saveexec_b64 s[10:11], s[8:9]
	s_cbranch_execz .LBB92_21
; %bb.20:                               ;   in Loop: Header=BB92_9 Depth=1
	ds_read2_b64 v[1:4], v11 offset0:1 offset1:2
	ds_read_b64 v[5:6], v16
	s_waitcnt lgkmcnt(1)
	v_add_f64 v[1:2], v[1:2], v[3:4]
	ds_read_b64 v[3:4], v11 offset:24
	s_waitcnt lgkmcnt(0)
	v_add_f64 v[1:2], v[1:2], v[3:4]
	v_add_f64 v[1:2], v[5:6], v[1:2]
	ds_write_b64 v16, v[1:2]
.LBB92_21:                              ;   in Loop: Header=BB92_9 Depth=1
	s_or_b64 exec, exec, s[10:11]
	s_waitcnt lgkmcnt(0)
	s_barrier
	s_and_saveexec_b64 s[10:11], s[8:9]
	s_cbranch_execz .LBB92_8
; %bb.22:                               ;   in Loop: Header=BB92_9 Depth=1
	ds_read_b64 v[1:2], v11
	v_mov_b32_e32 v5, 0
	s_mov_b64 s[28:29], exec
	v_bfrev_b32_e32 v6, 1
	s_waitcnt lgkmcnt(0)
	v_mul_f64 v[1:2], v[7:8], v[1:2]
.LBB92_23:                              ;   Parent Loop BB92_9 Depth=1
                                        ; =>  This Inner Loop Header: Depth=2
	s_ff1_i32_b64 s33, s[28:29]
	v_readlane_b32 s31, v2, s33
	v_readlane_b32 s30, v1, s33
	v_add_f64 v[5:6], v[5:6], s[30:31]
	s_lshl_b64 s[30:31], 1, s33
	s_andn2_b64 s[28:29], s[28:29], s[30:31]
	s_cmp_lg_u64 s[28:29], 0
	s_cbranch_scc1 .LBB92_23
; %bb.24:                               ;   in Loop: Header=BB92_9 Depth=1
	v_mbcnt_lo_u32_b32 v1, exec_lo, 0
	v_mbcnt_hi_u32_b32 v1, exec_hi, v1
	v_cmp_eq_u32_e32 vcc, 0, v1
	s_and_saveexec_b64 s[28:29], vcc
	s_xor_b64 s[28:29], exec, s[28:29]
	s_cbranch_execz .LBB92_8
; %bb.25:                               ;   in Loop: Header=BB92_9 Depth=1
	s_lshl_b64 s[28:29], s[26:27], 3
	s_add_u32 s28, s20, s28
	s_addc_u32 s29, s21, s29
	global_load_dwordx2 v[3:4], v11, s[28:29]
	s_mov_b64 s[30:31], 0
.LBB92_26:                              ;   Parent Loop BB92_9 Depth=1
                                        ; =>  This Inner Loop Header: Depth=2
	s_waitcnt vmcnt(0)
	v_add_f64 v[1:2], v[3:4], v[5:6]
	global_atomic_cmpswap_x2 v[1:2], v11, v[1:4], s[28:29] glc
	s_waitcnt vmcnt(0)
	v_cmp_eq_u64_e32 vcc, v[1:2], v[3:4]
	v_mov_b32_e32 v4, v2
	s_or_b64 s[30:31], vcc, s[30:31]
	v_mov_b32_e32 v3, v1
	s_andn2_b64 exec, exec, s[30:31]
	s_cbranch_execnz .LBB92_26
; %bb.27:                               ;   in Loop: Header=BB92_9 Depth=1
	s_or_b64 exec, exec, s[30:31]
	s_branch .LBB92_8
.LBB92_28:
	s_ashr_i32 s1, s22, 31
	s_mov_b32 s0, s22
	s_lshl_b64 s[0:1], s[0:1], 2
	s_add_u32 s0, s12, s0
	s_addc_u32 s1, s13, s1
	s_ashr_i32 s3, s23, 31
	s_mov_b32 s2, s23
	s_lshl_b64 s[2:3], s[2:3], 2
	s_add_u32 s2, s12, s2
	s_addc_u32 s3, s13, s3
	s_load_dword s6, s[2:3], 0x0
	s_load_dword s7, s[0:1], 0x0
	s_waitcnt lgkmcnt(0)
	s_sub_i32 s26, s6, s24
	v_add_u32_e32 v5, s7, v13
	v_cmp_gt_i32_e32 vcc, s26, v5
	s_and_saveexec_b64 s[6:7], vcc
	s_cbranch_execz .LBB92_38
; %bb.29:
	s_add_i32 s27, s23, -1
	s_cmp_lt_i32 s22, s27
	s_cselect_b64 s[0:1], -1, 0
	s_add_i32 s2, s23, -2
	s_cmp_lg_u32 s22, s2
	s_cselect_b64 s[2:3], -1, 0
	s_and_b64 s[0:1], s[0:1], s[2:3]
	v_cndmask_b32_e64 v1, 0, 1, s[0:1]
	s_mov_b64 s[8:9], 0
	v_cmp_ne_u32_e64 s[0:1], 1, v1
	v_mov_b32_e32 v14, s13
	v_mov_b32_e32 v15, s15
	s_branch .LBB92_31
.LBB92_30:                              ;   in Loop: Header=BB92_31 Depth=1
	s_or_b64 exec, exec, s[2:3]
	v_add_u32_e32 v5, 0x100, v5
	v_cmp_le_i32_e32 vcc, s26, v5
	s_or_b64 s[8:9], vcc, s[8:9]
	s_andn2_b64 exec, exec, s[8:9]
	s_cbranch_execz .LBB92_38
.LBB92_31:                              ; =>This Loop Header: Depth=1
                                        ;     Child Loop BB92_33 Depth 2
                                        ;     Child Loop BB92_37 Depth 2
	s_and_b64 vcc, exec, s[0:1]
	v_mov_b32_e32 v9, s22
	v_mov_b32_e32 v1, s27
	s_cbranch_vccnz .LBB92_35
; %bb.32:                               ;   in Loop: Header=BB92_31 Depth=1
	s_mov_b64 s[10:11], 0
	v_mov_b32_e32 v9, s22
	v_mov_b32_e32 v1, s27
.LBB92_33:                              ;   Parent Loop BB92_31 Depth=1
                                        ; =>  This Inner Loop Header: Depth=2
	v_add_u32_e32 v2, v1, v9
	v_lshrrev_b32_e32 v3, 31, v2
	v_add_u32_e32 v2, v2, v3
	v_ashrrev_i32_e32 v2, 1, v2
	v_ashrrev_i32_e32 v3, 31, v2
	v_lshlrev_b64 v[3:4], 2, v[2:3]
	v_mov_b32_e32 v6, s13
	v_add_co_u32_e32 v3, vcc, s12, v3
	v_addc_co_u32_e32 v4, vcc, v6, v4, vcc
	global_load_dword v3, v[3:4], off
	s_waitcnt vmcnt(0)
	v_subrev_u32_e32 v3, s24, v3
	v_cmp_lt_i32_e32 vcc, v5, v3
	v_cndmask_b32_e32 v1, v1, v2, vcc
	v_cndmask_b32_e32 v9, v2, v9, vcc
	v_add_u32_e32 v2, -1, v1
	v_cmp_ge_i32_e32 vcc, v9, v1
	v_cmp_eq_u32_e64 s[2:3], v9, v2
	s_or_b64 s[2:3], vcc, s[2:3]
	s_and_b64 s[2:3], exec, s[2:3]
	s_or_b64 s[10:11], s[2:3], s[10:11]
	s_andn2_b64 exec, exec, s[10:11]
	s_cbranch_execnz .LBB92_33
; %bb.34:                               ;   in Loop: Header=BB92_31 Depth=1
	s_or_b64 exec, exec, s[10:11]
.LBB92_35:                              ;   in Loop: Header=BB92_31 Depth=1
	v_ashrrev_i32_e32 v2, 31, v1
	v_lshlrev_b64 v[2:3], 2, v[1:2]
	v_ashrrev_i32_e32 v6, 31, v5
	v_add_co_u32_e32 v2, vcc, s12, v2
	v_addc_co_u32_e32 v3, vcc, v14, v3, vcc
	global_load_dword v2, v[2:3], off
	v_lshlrev_b64 v[3:4], 2, v[5:6]
	v_add_co_u32_e32 v10, vcc, s14, v3
	v_addc_co_u32_e32 v11, vcc, v15, v4, vcc
	global_load_dword v6, v[10:11], off
	s_waitcnt vmcnt(1)
	v_subrev_u32_e32 v2, s24, v2
	v_cmp_lt_i32_e32 vcc, v5, v2
	v_cndmask_b32_e32 v2, v1, v9, vcc
	s_waitcnt vmcnt(0)
	v_subrev_u32_e32 v1, s24, v6
	v_cmp_ne_u32_e32 vcc, v1, v2
	s_and_saveexec_b64 s[2:3], vcc
	s_cbranch_execz .LBB92_30
; %bb.36:                               ;   in Loop: Header=BB92_31 Depth=1
	v_mov_b32_e32 v6, s17
	v_add_co_u32_e32 v3, vcc, s16, v3
	v_addc_co_u32_e32 v4, vcc, v6, v4, vcc
	global_load_dword v6, v[3:4], off
	v_ashrrev_i32_e32 v3, 31, v2
	v_lshlrev_b64 v[2:3], 3, v[2:3]
	v_mov_b32_e32 v4, s19
	v_add_co_u32_e32 v2, vcc, s18, v2
	v_addc_co_u32_e32 v3, vcc, v4, v3, vcc
	global_load_dwordx2 v[11:12], v[2:3], off
	v_ashrrev_i32_e32 v2, 31, v1
	v_lshlrev_b64 v[1:2], 3, v[1:2]
	v_mov_b32_e32 v3, s21
	v_add_co_u32_e32 v9, vcc, s20, v1
	v_addc_co_u32_e32 v10, vcc, v3, v2, vcc
	global_load_dwordx2 v[3:4], v[9:10], off
	s_mov_b64 s[10:11], 0
	s_waitcnt vmcnt(2)
	v_cvt_f64_f32_e32 v[1:2], v6
	v_mul_f64 v[1:2], v[7:8], v[1:2]
	s_waitcnt vmcnt(1)
	v_mul_f64 v[11:12], v[11:12], v[1:2]
.LBB92_37:                              ;   Parent Loop BB92_31 Depth=1
                                        ; =>  This Inner Loop Header: Depth=2
	s_waitcnt vmcnt(0)
	v_add_f64 v[1:2], v[3:4], v[11:12]
	global_atomic_cmpswap_x2 v[1:2], v[9:10], v[1:4], off glc
	s_waitcnt vmcnt(0)
	v_cmp_eq_u64_e32 vcc, v[1:2], v[3:4]
	v_mov_b32_e32 v4, v2
	s_or_b64 s[10:11], vcc, s[10:11]
	v_mov_b32_e32 v3, v1
	s_andn2_b64 exec, exec, s[10:11]
	s_cbranch_execnz .LBB92_37
	s_branch .LBB92_30
.LBB92_38:
	s_or_b64 exec, exec, s[6:7]
	s_mov_b64 s[0:1], 0
.LBB92_39:
	s_and_b64 vcc, exec, s[0:1]
	s_cbranch_vccz .LBB92_171
; %bb.40:
	v_cvt_f32_u32_e32 v1, s25
	s_ashr_i32 s1, s22, 31
	s_mov_b32 s0, s22
	s_sub_i32 s2, 0, s25
	v_rcp_iflag_f32_e32 v1, v1
	s_lshl_b64 s[0:1], s[0:1], 2
	s_add_u32 s6, s12, s0
	s_addc_u32 s7, s13, s1
	v_mul_f32_e32 v1, 0x4f7ffffe, v1
	v_cvt_u32_f32_e32 v1, v1
	s_load_dword s30, s[6:7], 0x0
	s_load_dwordx2 s[8:9], s[4:5], 0x4
	s_load_dword s26, s[4:5], 0x64
	s_waitcnt lgkmcnt(0)
	v_add_u32_e32 v5, s30, v13
	v_readfirstlane_b32 s27, v1
	s_mul_i32 s2, s2, s27
	v_add_u32_e32 v17, 0x300, v5
	s_mul_hi_u32 s28, s27, s2
	v_cmp_le_i32_e32 vcc, s8, v17
	s_and_saveexec_b64 s[0:1], vcc
	s_xor_b64 s[2:3], exec, s[0:1]
	s_cbranch_execz .LBB92_45
; %bb.41:
	s_ashr_i32 s1, s23, 31
	s_mov_b32 s0, s23
	s_lshl_b64 s[0:1], s[0:1], 2
	s_add_u32 s0, s12, s0
	s_addc_u32 s1, s13, s1
	s_load_dword s0, s[0:1], 0x0
	s_waitcnt lgkmcnt(0)
	s_sub_i32 s8, s0, s30
	v_cmp_gt_i32_e64 s[0:1], s8, v0
	s_and_saveexec_b64 s[4:5], s[0:1]
	s_cbranch_execz .LBB92_44
; %bb.42:
	s_sub_i32 s29, s30, s24
	s_mov_b64 s[10:11], 0
	v_mov_b32_e32 v1, s17
	v_mov_b32_e32 v2, v16
	;; [unrolled: 1-line block ×3, first 2 shown]
.LBB92_43:                              ; =>This Inner Loop Header: Depth=1
	v_add_u32_e32 v9, s29, v3
	v_ashrrev_i32_e32 v10, 31, v9
	v_lshlrev_b64 v[9:10], 2, v[9:10]
	v_add_u32_e32 v3, 0x100, v3
	v_add_co_u32_e64 v9, s[0:1], s16, v9
	v_addc_co_u32_e64 v10, s[0:1], v1, v10, s[0:1]
	global_load_dword v4, v[9:10], off
	v_cmp_le_i32_e64 s[0:1], s8, v3
	s_or_b64 s[10:11], s[0:1], s[10:11]
	s_waitcnt vmcnt(0)
	v_cvt_f64_f32_e32 v[9:10], v4
	v_mul_f64 v[9:10], v[7:8], v[9:10]
	ds_write_b64 v2, v[9:10]
	v_add_u32_e32 v2, 0x800, v2
	s_andn2_b64 exec, exec, s[10:11]
	s_cbranch_execnz .LBB92_43
.LBB92_44:
	s_or_b64 exec, exec, s[4:5]
                                        ; implicit-def: $vgpr7_vgpr8
.LBB92_45:
	s_or_saveexec_b64 s[2:3], s[2:3]
	s_and_b32 s31, s26, 0xffff
	s_add_i32 s27, s27, s28
	v_ashrrev_i32_e32 v6, 31, v5
	s_xor_b64 exec, exec, s[2:3]
	s_cbranch_execz .LBB92_47
; %bb.46:
	v_lshlrev_b64 v[1:2], 2, v[5:6]
	v_mov_b32_e32 v3, s17
	v_add_co_u32_e64 v1, s[0:1], s16, v1
	v_addc_co_u32_e64 v2, s[0:1], v3, v2, s[0:1]
	global_load_dword v3, v[1:2], off
	global_load_dword v4, v[1:2], off offset:1024
	global_load_dword v9, v[1:2], off offset:2048
	;; [unrolled: 1-line block ×3, first 2 shown]
	s_waitcnt vmcnt(3)
	v_cvt_f64_f32_e32 v[1:2], v3
	s_waitcnt vmcnt(2)
	v_cvt_f64_f32_e32 v[3:4], v4
	;; [unrolled: 2-line block ×4, first 2 shown]
	v_mul_f64 v[1:2], v[7:8], v[1:2]
	v_mul_f64 v[3:4], v[7:8], v[3:4]
	;; [unrolled: 1-line block ×4, first 2 shown]
	ds_write2st64_b64 v16, v[1:2], v[3:4] offset1:4
	ds_write2st64_b64 v16, v[9:10], v[7:8] offset0:8 offset1:12
.LBB92_47:
	s_or_b64 exec, exec, s[2:3]
	s_mul_hi_u32 s8, s31, s27
	v_cmp_gt_i32_e64 s[0:1], s9, v0
	s_and_saveexec_b64 s[2:3], s[0:1]
	s_cbranch_execz .LBB92_50
; %bb.48:
	v_mov_b32_e32 v1, 0x2000
	v_lshl_add_u32 v3, v0, 3, v1
	v_mov_b32_e32 v1, 0
	s_mov_b64 s[4:5], 0
	v_mov_b32_e32 v2, v1
	v_mov_b32_e32 v4, v0
.LBB92_49:                              ; =>This Inner Loop Header: Depth=1
	v_add_u32_e32 v4, 0x100, v4
	v_cmp_le_i32_e64 s[0:1], s9, v4
	ds_write_b64 v3, v[1:2]
	s_or_b64 s[4:5], s[0:1], s[4:5]
	v_add_u32_e32 v3, 0x800, v3
	s_andn2_b64 exec, exec, s[4:5]
	s_cbranch_execnz .LBB92_49
.LBB92_50:
	s_or_b64 exec, exec, s[2:3]
	s_sub_i32 s0, s23, s9
	s_cmp_ge_i32 s23, s9
	s_cselect_b32 s33, s0, 0
	s_waitcnt lgkmcnt(0)
	s_barrier
	s_and_saveexec_b64 s[0:1], vcc
	s_xor_b64 s[4:5], exec, s[0:1]
	s_cbranch_execz .LBB92_71
; %bb.51:
	s_ashr_i32 s1, s23, 31
	s_mov_b32 s0, s23
	s_lshl_b64 s[0:1], s[0:1], 2
	s_add_u32 s0, s12, s0
	s_addc_u32 s1, s13, s1
	s_load_dword s0, s[0:1], 0x0
	s_waitcnt lgkmcnt(0)
	s_sub_i32 s34, s0, s30
	v_cmp_gt_i32_e32 vcc, s34, v0
	s_and_saveexec_b64 s[10:11], vcc
	s_cbranch_execz .LBB92_70
; %bb.52:
	s_add_i32 s35, s23, -1
	s_add_i32 s1, s23, -2
	s_cmp_lg_u32 s22, s1
	s_cselect_b64 s[2:3], -1, 0
	v_cndmask_b32_e64 v1, 0, 1, s[2:3]
	s_sub_i32 s36, s0, s24
	s_mov_b32 s37, 0
	s_mov_b64 s[16:17], 0
	v_cmp_ne_u32_e64 s[0:1], 1, v1
	v_mov_b32_e32 v14, s13
	v_mov_b32_e32 v15, s15
	;; [unrolled: 1-line block ×4, first 2 shown]
	s_branch .LBB92_55
.LBB92_53:                              ;   in Loop: Header=BB92_55 Depth=1
	s_or_b64 exec, exec, s[2:3]
.LBB92_54:                              ;   in Loop: Header=BB92_55 Depth=1
	s_or_b64 exec, exec, s[26:27]
	v_ashrrev_i32_e32 v7, 31, v6
	v_lshlrev_b64 v[1:2], 3, v[6:7]
	s_addk_i32 s37, 0x100
	v_add_co_u32_e32 v1, vcc, s18, v1
	v_addc_co_u32_e32 v2, vcc, v17, v2, vcc
	global_load_dwordx2 v[1:2], v[1:2], off
	v_add_u32_e32 v3, s37, v0
	v_cmp_le_i32_e32 vcc, s34, v3
	s_or_b64 s[16:17], vcc, s[16:17]
	s_waitcnt vmcnt(0) lgkmcnt(0)
	v_mul_f64 v[1:2], v[1:2], v[8:9]
	ds_write_b64 v19, v[1:2]
	s_andn2_b64 exec, exec, s[16:17]
	s_cbranch_execz .LBB92_70
.LBB92_55:                              ; =>This Loop Header: Depth=1
                                        ;     Child Loop BB92_57 Depth 2
                                        ;     Child Loop BB92_64 Depth 2
	;; [unrolled: 1-line block ×3, first 2 shown]
	v_add_u32_e32 v1, s37, v5
	s_and_b64 vcc, exec, s[0:1]
	v_mov_b32_e32 v7, s22
	v_mov_b32_e32 v3, s35
	s_cbranch_vccnz .LBB92_59
; %bb.56:                               ;   in Loop: Header=BB92_55 Depth=1
	s_mov_b64 s[26:27], 0
	v_mov_b32_e32 v7, s22
	v_mov_b32_e32 v3, s35
.LBB92_57:                              ;   Parent Loop BB92_55 Depth=1
                                        ; =>  This Inner Loop Header: Depth=2
	v_add_u32_e32 v2, v3, v7
	v_lshrrev_b32_e32 v6, 31, v2
	v_add_u32_e32 v2, v2, v6
	v_ashrrev_i32_e32 v8, 1, v2
	v_ashrrev_i32_e32 v9, 31, v8
	v_lshlrev_b64 v[9:10], 2, v[8:9]
	v_mov_b32_e32 v4, s13
	v_add_co_u32_e32 v9, vcc, s12, v9
	v_addc_co_u32_e32 v10, vcc, v4, v10, vcc
	global_load_dword v2, v[9:10], off
	s_waitcnt vmcnt(0)
	v_subrev_u32_e32 v2, s24, v2
	v_cmp_lt_i32_e32 vcc, v1, v2
	v_cndmask_b32_e32 v3, v3, v8, vcc
	v_cndmask_b32_e32 v7, v8, v7, vcc
	v_add_u32_e32 v2, -1, v3
	v_cmp_ge_i32_e32 vcc, v7, v3
	v_cmp_eq_u32_e64 s[2:3], v7, v2
	s_or_b64 s[2:3], vcc, s[2:3]
	s_and_b64 s[2:3], exec, s[2:3]
	s_or_b64 s[26:27], s[2:3], s[26:27]
	s_andn2_b64 exec, exec, s[26:27]
	s_cbranch_execnz .LBB92_57
; %bb.58:                               ;   in Loop: Header=BB92_55 Depth=1
	s_or_b64 exec, exec, s[26:27]
.LBB92_59:                              ;   in Loop: Header=BB92_55 Depth=1
	v_ashrrev_i32_e32 v4, 31, v3
	v_lshlrev_b64 v[8:9], 2, v[3:4]
	v_ashrrev_i32_e32 v2, 31, v1
	v_add_co_u32_e32 v8, vcc, s12, v8
	v_addc_co_u32_e32 v9, vcc, v14, v9, vcc
	global_load_dword v4, v[8:9], off
	v_lshlrev_b64 v[8:9], 2, v[1:2]
	v_lshl_add_u32 v19, s37, 3, v16
	v_add_co_u32_e32 v8, vcc, s14, v8
	v_addc_co_u32_e32 v9, vcc, v15, v9, vcc
	global_load_dword v2, v[8:9], off
	v_cmp_le_i32_e32 vcc, s36, v1
                                        ; implicit-def: $vgpr8_vgpr9
	s_waitcnt vmcnt(1)
	v_subrev_u32_e32 v4, s24, v4
	v_cmp_lt_i32_e64 s[2:3], v1, v4
	v_cndmask_b32_e64 v1, v3, v7, s[2:3]
	s_waitcnt vmcnt(0)
	v_subrev_u32_e32 v6, s24, v2
	v_cmp_eq_u32_e64 s[2:3], v6, v1
	s_or_b64 s[2:3], s[2:3], vcc
	s_and_saveexec_b64 s[26:27], s[2:3]
	s_xor_b64 s[2:3], exec, s[26:27]
; %bb.60:                               ;   in Loop: Header=BB92_55 Depth=1
	ds_read_b64 v[8:9], v19
                                        ; implicit-def: $vgpr1
; %bb.61:                               ;   in Loop: Header=BB92_55 Depth=1
	s_andn2_saveexec_b64 s[26:27], s[2:3]
	s_cbranch_execz .LBB92_54
; %bb.62:                               ;   in Loop: Header=BB92_55 Depth=1
	v_ashrrev_i32_e32 v2, 31, v1
	v_lshlrev_b64 v[1:2], 3, v[1:2]
	v_mov_b32_e32 v3, s19
	v_add_co_u32_e32 v1, vcc, s18, v1
	v_addc_co_u32_e32 v2, vcc, v3, v2, vcc
	global_load_dwordx2 v[1:2], v[1:2], off
	s_waitcnt lgkmcnt(0)
	ds_read_b64 v[8:9], v19
	v_cmp_gt_i32_e32 vcc, s33, v6
	v_cmp_le_i32_e64 s[2:3], s23, v6
	s_or_b64 s[2:3], vcc, s[2:3]
	s_waitcnt vmcnt(0) lgkmcnt(0)
	v_mul_f64 v[10:11], v[8:9], v[1:2]
	s_and_saveexec_b64 s[28:29], s[2:3]
	s_xor_b64 s[2:3], exec, s[28:29]
	s_cbranch_execz .LBB92_66
; %bb.63:                               ;   in Loop: Header=BB92_55 Depth=1
	v_ashrrev_i32_e32 v7, 31, v6
	v_lshlrev_b64 v[1:2], 3, v[6:7]
	v_mov_b32_e32 v3, s21
	v_add_co_u32_e32 v12, vcc, s20, v1
	v_addc_co_u32_e32 v13, vcc, v3, v2, vcc
	global_load_dwordx2 v[3:4], v[12:13], off
	s_mov_b64 s[28:29], 0
.LBB92_64:                              ;   Parent Loop BB92_55 Depth=1
                                        ; =>  This Inner Loop Header: Depth=2
	s_waitcnt vmcnt(0)
	v_add_f64 v[1:2], v[3:4], v[10:11]
	global_atomic_cmpswap_x2 v[1:2], v[12:13], v[1:4], off glc
	s_waitcnt vmcnt(0)
	v_cmp_eq_u64_e32 vcc, v[1:2], v[3:4]
	v_mov_b32_e32 v4, v2
	s_or_b64 s[28:29], vcc, s[28:29]
	v_mov_b32_e32 v3, v1
	s_andn2_b64 exec, exec, s[28:29]
	s_cbranch_execnz .LBB92_64
; %bb.65:                               ;   in Loop: Header=BB92_55 Depth=1
	s_or_b64 exec, exec, s[28:29]
                                        ; implicit-def: $vgpr10_vgpr11
.LBB92_66:                              ;   in Loop: Header=BB92_55 Depth=1
	s_andn2_saveexec_b64 s[2:3], s[2:3]
	s_cbranch_execz .LBB92_53
; %bb.67:                               ;   in Loop: Header=BB92_55 Depth=1
	v_subrev_u32_e32 v1, s33, v6
	v_lshl_add_u32 v3, v1, 3, v18
	ds_read_b64 v[1:2], v3
	s_mov_b64 s[28:29], 0
.LBB92_68:                              ;   Parent Loop BB92_55 Depth=1
                                        ; =>  This Inner Loop Header: Depth=2
	s_waitcnt lgkmcnt(0)
	v_add_f64 v[12:13], v[1:2], v[10:11]
	ds_cmpst_rtn_b64 v[12:13], v3, v[1:2], v[12:13]
	s_waitcnt lgkmcnt(0)
	v_cmp_eq_u64_e32 vcc, v[12:13], v[1:2]
	v_mov_b32_e32 v1, v12
	s_or_b64 s[28:29], vcc, s[28:29]
	v_mov_b32_e32 v2, v13
	s_andn2_b64 exec, exec, s[28:29]
	s_cbranch_execnz .LBB92_68
; %bb.69:                               ;   in Loop: Header=BB92_55 Depth=1
	s_or_b64 exec, exec, s[28:29]
	s_branch .LBB92_53
.LBB92_70:
	s_or_b64 exec, exec, s[10:11]
                                        ; implicit-def: $vgpr17
                                        ; implicit-def: $vgpr5
.LBB92_71:
	s_andn2_saveexec_b64 s[4:5], s[4:5]
	s_cbranch_execz .LBB92_141
; %bb.72:
	s_add_i32 s28, s23, -1
	s_add_i32 s0, s23, -2
	s_cmp_lg_u32 s22, s0
	s_cselect_b64 s[2:3], -1, 0
	s_cmp_eq_u32 s22, s0
	v_mov_b32_e32 v3, s22
	v_mov_b32_e32 v1, s28
	s_cbranch_scc1 .LBB92_76
; %bb.73:
	s_mov_b64 s[10:11], 0
	v_mov_b32_e32 v3, s22
	v_mov_b32_e32 v1, s28
	;; [unrolled: 1-line block ×3, first 2 shown]
.LBB92_74:                              ; =>This Inner Loop Header: Depth=1
	v_add_u32_e32 v4, v1, v3
	v_lshrrev_b32_e32 v7, 31, v4
	v_add_u32_e32 v4, v4, v7
	v_ashrrev_i32_e32 v7, 1, v4
	v_ashrrev_i32_e32 v8, 31, v7
	v_lshlrev_b64 v[8:9], 2, v[7:8]
	v_add_co_u32_e32 v8, vcc, s12, v8
	v_addc_co_u32_e32 v9, vcc, v2, v9, vcc
	global_load_dword v4, v[8:9], off
	s_waitcnt vmcnt(0)
	v_subrev_u32_e32 v4, s24, v4
	v_cmp_lt_i32_e32 vcc, v5, v4
	v_cndmask_b32_e32 v1, v1, v7, vcc
	v_cndmask_b32_e32 v3, v7, v3, vcc
	v_add_u32_e32 v4, -1, v1
	v_cmp_ge_i32_e32 vcc, v3, v1
	v_cmp_eq_u32_e64 s[0:1], v3, v4
	s_or_b64 s[0:1], vcc, s[0:1]
	s_and_b64 s[0:1], exec, s[0:1]
	s_or_b64 s[10:11], s[0:1], s[10:11]
	s_andn2_b64 exec, exec, s[10:11]
	s_cbranch_execnz .LBB92_74
; %bb.75:
	s_or_b64 exec, exec, s[10:11]
.LBB92_76:
	v_ashrrev_i32_e32 v2, 31, v1
	v_lshlrev_b64 v[7:8], 2, v[1:2]
	v_mov_b32_e32 v2, s13
	v_add_co_u32_e32 v7, vcc, s12, v7
	v_addc_co_u32_e32 v8, vcc, v2, v8, vcc
	global_load_dword v2, v[7:8], off
	v_lshlrev_b64 v[6:7], 2, v[5:6]
	v_mov_b32_e32 v4, s15
	v_add_co_u32_e32 v6, vcc, s14, v6
	v_addc_co_u32_e32 v7, vcc, v4, v7, vcc
	global_load_dword v4, v[6:7], off
	s_ashr_i32 s1, s23, 31
	s_mov_b32 s0, s23
	s_lshl_b64 s[0:1], s[0:1], 2
	s_add_u32 s10, s12, s0
	s_addc_u32 s11, s13, s1
                                        ; implicit-def: $vgpr8_vgpr9
	s_waitcnt vmcnt(1)
	v_subrev_u32_e32 v2, s24, v2
	v_cmp_lt_i32_e32 vcc, v5, v2
	v_cndmask_b32_e32 v1, v1, v3, vcc
	s_waitcnt vmcnt(0)
	v_subrev_u32_e32 v10, s24, v4
	v_cmp_ne_u32_e32 vcc, v10, v1
	s_and_saveexec_b64 s[0:1], vcc
	s_xor_b64 s[14:15], exec, s[0:1]
	s_cbranch_execz .LBB92_87
; %bb.77:
	s_load_dword s0, s[10:11], 0x0
	ds_read_b64 v[8:9], v16
	s_waitcnt lgkmcnt(0)
	s_sub_i32 s0, s0, s24
	v_cmp_gt_i32_e32 vcc, s0, v5
	s_and_saveexec_b64 s[16:17], vcc
	s_cbranch_execz .LBB92_86
; %bb.78:
	v_ashrrev_i32_e32 v2, 31, v1
	v_lshlrev_b64 v[1:2], 3, v[1:2]
	v_mov_b32_e32 v3, s19
	v_add_co_u32_e32 v1, vcc, s18, v1
	v_addc_co_u32_e32 v2, vcc, v3, v2, vcc
	global_load_dwordx2 v[1:2], v[1:2], off
	v_cmp_gt_i32_e32 vcc, s33, v10
	v_cmp_le_i32_e64 s[0:1], s23, v10
	s_or_b64 s[0:1], vcc, s[0:1]
	s_waitcnt vmcnt(0)
	v_mul_f64 v[12:13], v[8:9], v[1:2]
	s_and_saveexec_b64 s[26:27], s[0:1]
	s_xor_b64 s[0:1], exec, s[26:27]
	s_cbranch_execz .LBB92_82
; %bb.79:
	v_ashrrev_i32_e32 v11, 31, v10
	v_lshlrev_b64 v[1:2], 3, v[10:11]
	v_mov_b32_e32 v3, s21
	v_add_co_u32_e32 v14, vcc, s20, v1
	v_addc_co_u32_e32 v15, vcc, v3, v2, vcc
	global_load_dwordx2 v[3:4], v[14:15], off
	s_mov_b64 s[26:27], 0
.LBB92_80:                              ; =>This Inner Loop Header: Depth=1
	s_waitcnt vmcnt(0)
	v_add_f64 v[1:2], v[3:4], v[12:13]
	global_atomic_cmpswap_x2 v[1:2], v[14:15], v[1:4], off glc
	s_waitcnt vmcnt(0)
	v_cmp_eq_u64_e32 vcc, v[1:2], v[3:4]
	v_mov_b32_e32 v4, v2
	s_or_b64 s[26:27], vcc, s[26:27]
	v_mov_b32_e32 v3, v1
	s_andn2_b64 exec, exec, s[26:27]
	s_cbranch_execnz .LBB92_80
; %bb.81:
	s_or_b64 exec, exec, s[26:27]
                                        ; implicit-def: $vgpr12_vgpr13
.LBB92_82:
	s_andn2_saveexec_b64 s[0:1], s[0:1]
	s_cbranch_execz .LBB92_86
; %bb.83:
	v_subrev_u32_e32 v1, s33, v10
	v_mov_b32_e32 v2, 0x2000
	v_lshl_add_u32 v3, v1, 3, v2
	ds_read_b64 v[1:2], v3
	s_mov_b64 s[0:1], 0
.LBB92_84:                              ; =>This Inner Loop Header: Depth=1
	s_waitcnt lgkmcnt(0)
	v_add_f64 v[14:15], v[1:2], v[12:13]
	ds_cmpst_rtn_b64 v[14:15], v3, v[1:2], v[14:15]
	s_waitcnt lgkmcnt(0)
	v_cmp_eq_u64_e32 vcc, v[14:15], v[1:2]
	v_mov_b32_e32 v1, v14
	s_or_b64 s[0:1], vcc, s[0:1]
	v_mov_b32_e32 v2, v15
	s_andn2_b64 exec, exec, s[0:1]
	s_cbranch_execnz .LBB92_84
; %bb.85:
	s_or_b64 exec, exec, s[0:1]
.LBB92_86:
	s_or_b64 exec, exec, s[16:17]
.LBB92_87:
	s_andn2_saveexec_b64 s[0:1], s[14:15]
; %bb.88:
	ds_read_b64 v[8:9], v16
; %bb.89:
	s_or_b64 exec, exec, s[0:1]
	v_ashrrev_i32_e32 v11, 31, v10
	v_lshlrev_b64 v[1:2], 3, v[10:11]
	v_mov_b32_e32 v3, s19
	v_add_co_u32_e32 v1, vcc, s18, v1
	v_addc_co_u32_e32 v2, vcc, v3, v2, vcc
	global_load_dwordx2 v[1:2], v[1:2], off
	v_add_u32_e32 v3, 0x100, v5
	v_mov_b32_e32 v4, s22
	s_andn2_b64 vcc, exec, s[2:3]
	s_waitcnt vmcnt(0) lgkmcnt(0)
	v_mul_f64 v[1:2], v[1:2], v[8:9]
	v_cndmask_b32_e64 v8, 0, 1, s[2:3]
	v_cmp_ne_u32_e64 s[0:1], 1, v8
	ds_write_b64 v16, v[1:2]
	v_mov_b32_e32 v1, s28
	s_cbranch_vccnz .LBB92_93
; %bb.90:
	s_mov_b64 s[14:15], 0
	v_mov_b32_e32 v4, s22
	v_mov_b32_e32 v1, s28
	;; [unrolled: 1-line block ×3, first 2 shown]
.LBB92_91:                              ; =>This Inner Loop Header: Depth=1
	v_add_u32_e32 v8, v1, v4
	v_lshrrev_b32_e32 v9, 31, v8
	v_add_u32_e32 v8, v8, v9
	v_ashrrev_i32_e32 v8, 1, v8
	v_ashrrev_i32_e32 v9, 31, v8
	v_lshlrev_b64 v[9:10], 2, v[8:9]
	v_add_co_u32_e32 v9, vcc, s12, v9
	v_addc_co_u32_e32 v10, vcc, v2, v10, vcc
	global_load_dword v9, v[9:10], off
	s_waitcnt vmcnt(0)
	v_subrev_u32_e32 v9, s24, v9
	v_cmp_lt_i32_e32 vcc, v3, v9
	v_cndmask_b32_e32 v1, v1, v8, vcc
	v_cndmask_b32_e32 v4, v8, v4, vcc
	v_add_u32_e32 v8, -1, v1
	v_cmp_ge_i32_e32 vcc, v4, v1
	v_cmp_eq_u32_e64 s[2:3], v4, v8
	s_or_b64 s[2:3], vcc, s[2:3]
	s_and_b64 s[2:3], exec, s[2:3]
	s_or_b64 s[14:15], s[2:3], s[14:15]
	s_andn2_b64 exec, exec, s[14:15]
	s_cbranch_execnz .LBB92_91
; %bb.92:
	s_or_b64 exec, exec, s[14:15]
.LBB92_93:
	v_ashrrev_i32_e32 v2, 31, v1
	v_lshlrev_b64 v[8:9], 2, v[1:2]
	v_mov_b32_e32 v2, s13
	v_add_co_u32_e32 v8, vcc, s12, v8
	v_addc_co_u32_e32 v9, vcc, v2, v9, vcc
	global_load_dword v2, v[8:9], off
	global_load_dword v10, v[6:7], off offset:1024
                                        ; implicit-def: $vgpr8_vgpr9
	s_waitcnt vmcnt(1)
	v_subrev_u32_e32 v2, s24, v2
	v_cmp_lt_i32_e32 vcc, v3, v2
	v_cndmask_b32_e32 v1, v1, v4, vcc
	s_waitcnt vmcnt(0)
	v_subrev_u32_e32 v10, s24, v10
	v_cmp_ne_u32_e32 vcc, v10, v1
	s_and_saveexec_b64 s[2:3], vcc
	s_xor_b64 s[14:15], exec, s[2:3]
	s_cbranch_execz .LBB92_104
; %bb.94:
	s_load_dword s2, s[10:11], 0x0
	ds_read_b64 v[8:9], v16 offset:2048
	s_waitcnt lgkmcnt(0)
	s_sub_i32 s2, s2, s24
	v_cmp_gt_i32_e32 vcc, s2, v3
	s_and_saveexec_b64 s[16:17], vcc
	s_cbranch_execz .LBB92_103
; %bb.95:
	v_ashrrev_i32_e32 v2, 31, v1
	v_lshlrev_b64 v[1:2], 3, v[1:2]
	v_mov_b32_e32 v3, s19
	v_add_co_u32_e32 v1, vcc, s18, v1
	v_addc_co_u32_e32 v2, vcc, v3, v2, vcc
	global_load_dwordx2 v[1:2], v[1:2], off
	v_cmp_gt_i32_e32 vcc, s33, v10
	v_cmp_le_i32_e64 s[2:3], s23, v10
	s_or_b64 s[2:3], vcc, s[2:3]
	s_waitcnt vmcnt(0)
	v_mul_f64 v[12:13], v[8:9], v[1:2]
	s_and_saveexec_b64 s[26:27], s[2:3]
	s_xor_b64 s[2:3], exec, s[26:27]
	s_cbranch_execz .LBB92_99
; %bb.96:
	v_ashrrev_i32_e32 v11, 31, v10
	v_lshlrev_b64 v[1:2], 3, v[10:11]
	v_mov_b32_e32 v3, s21
	v_add_co_u32_e32 v14, vcc, s20, v1
	v_addc_co_u32_e32 v15, vcc, v3, v2, vcc
	global_load_dwordx2 v[3:4], v[14:15], off
	s_mov_b64 s[26:27], 0
.LBB92_97:                              ; =>This Inner Loop Header: Depth=1
	s_waitcnt vmcnt(0)
	v_add_f64 v[1:2], v[3:4], v[12:13]
	global_atomic_cmpswap_x2 v[1:2], v[14:15], v[1:4], off glc
	s_waitcnt vmcnt(0)
	v_cmp_eq_u64_e32 vcc, v[1:2], v[3:4]
	v_mov_b32_e32 v4, v2
	s_or_b64 s[26:27], vcc, s[26:27]
	v_mov_b32_e32 v3, v1
	s_andn2_b64 exec, exec, s[26:27]
	s_cbranch_execnz .LBB92_97
; %bb.98:
	s_or_b64 exec, exec, s[26:27]
                                        ; implicit-def: $vgpr12_vgpr13
.LBB92_99:
	s_andn2_saveexec_b64 s[2:3], s[2:3]
	s_cbranch_execz .LBB92_103
; %bb.100:
	v_subrev_u32_e32 v1, s33, v10
	v_mov_b32_e32 v2, 0x2000
	v_lshl_add_u32 v3, v1, 3, v2
	ds_read_b64 v[1:2], v3
	s_mov_b64 s[2:3], 0
.LBB92_101:                             ; =>This Inner Loop Header: Depth=1
	s_waitcnt lgkmcnt(0)
	v_add_f64 v[14:15], v[1:2], v[12:13]
	ds_cmpst_rtn_b64 v[14:15], v3, v[1:2], v[14:15]
	s_waitcnt lgkmcnt(0)
	v_cmp_eq_u64_e32 vcc, v[14:15], v[1:2]
	v_mov_b32_e32 v1, v14
	s_or_b64 s[2:3], vcc, s[2:3]
	v_mov_b32_e32 v2, v15
	s_andn2_b64 exec, exec, s[2:3]
	s_cbranch_execnz .LBB92_101
; %bb.102:
	s_or_b64 exec, exec, s[2:3]
.LBB92_103:
	s_or_b64 exec, exec, s[16:17]
.LBB92_104:
	s_andn2_saveexec_b64 s[2:3], s[14:15]
; %bb.105:
	ds_read_b64 v[8:9], v16 offset:2048
; %bb.106:
	s_or_b64 exec, exec, s[2:3]
	v_ashrrev_i32_e32 v11, 31, v10
	v_lshlrev_b64 v[1:2], 3, v[10:11]
	v_mov_b32_e32 v3, s19
	v_add_co_u32_e32 v1, vcc, s18, v1
	v_addc_co_u32_e32 v2, vcc, v3, v2, vcc
	global_load_dwordx2 v[1:2], v[1:2], off
	v_add_u32_e32 v3, 0x200, v5
	s_and_b64 vcc, exec, s[0:1]
	v_mov_b32_e32 v4, s22
	s_waitcnt vmcnt(0) lgkmcnt(0)
	v_mul_f64 v[1:2], v[1:2], v[8:9]
	ds_write_b64 v16, v[1:2] offset:2048
	v_mov_b32_e32 v1, s28
	s_cbranch_vccnz .LBB92_110
; %bb.107:
	s_mov_b64 s[14:15], 0
	v_mov_b32_e32 v4, s22
	v_mov_b32_e32 v1, s28
	;; [unrolled: 1-line block ×3, first 2 shown]
.LBB92_108:                             ; =>This Inner Loop Header: Depth=1
	v_add_u32_e32 v5, v1, v4
	v_lshrrev_b32_e32 v8, 31, v5
	v_add_u32_e32 v5, v5, v8
	v_ashrrev_i32_e32 v8, 1, v5
	v_ashrrev_i32_e32 v9, 31, v8
	v_lshlrev_b64 v[9:10], 2, v[8:9]
	v_add_co_u32_e32 v9, vcc, s12, v9
	v_addc_co_u32_e32 v10, vcc, v2, v10, vcc
	global_load_dword v5, v[9:10], off
	s_waitcnt vmcnt(0)
	v_subrev_u32_e32 v5, s24, v5
	v_cmp_lt_i32_e32 vcc, v3, v5
	v_cndmask_b32_e32 v1, v1, v8, vcc
	v_cndmask_b32_e32 v4, v8, v4, vcc
	v_add_u32_e32 v5, -1, v1
	v_cmp_ge_i32_e32 vcc, v4, v1
	v_cmp_eq_u32_e64 s[2:3], v4, v5
	s_or_b64 s[2:3], vcc, s[2:3]
	s_and_b64 s[2:3], exec, s[2:3]
	s_or_b64 s[14:15], s[2:3], s[14:15]
	s_andn2_b64 exec, exec, s[14:15]
	s_cbranch_execnz .LBB92_108
; %bb.109:
	s_or_b64 exec, exec, s[14:15]
.LBB92_110:
	v_ashrrev_i32_e32 v2, 31, v1
	v_lshlrev_b64 v[8:9], 2, v[1:2]
	v_mov_b32_e32 v2, s13
	v_add_co_u32_e32 v8, vcc, s12, v8
	v_addc_co_u32_e32 v9, vcc, v2, v9, vcc
	global_load_dword v2, v[8:9], off
	global_load_dword v5, v[6:7], off offset:2048
                                        ; implicit-def: $vgpr8_vgpr9
	s_waitcnt vmcnt(1)
	v_subrev_u32_e32 v2, s24, v2
	v_cmp_lt_i32_e32 vcc, v3, v2
	v_cndmask_b32_e32 v1, v1, v4, vcc
	s_waitcnt vmcnt(0)
	v_subrev_u32_e32 v10, s24, v5
	v_cmp_ne_u32_e32 vcc, v10, v1
	s_and_saveexec_b64 s[2:3], vcc
	s_xor_b64 s[14:15], exec, s[2:3]
	s_cbranch_execz .LBB92_121
; %bb.111:
	s_load_dword s2, s[10:11], 0x0
	ds_read_b64 v[8:9], v16 offset:4096
	s_waitcnt lgkmcnt(0)
	s_sub_i32 s2, s2, s24
	v_cmp_gt_i32_e32 vcc, s2, v3
	s_and_saveexec_b64 s[16:17], vcc
	s_cbranch_execz .LBB92_120
; %bb.112:
	v_ashrrev_i32_e32 v2, 31, v1
	v_lshlrev_b64 v[1:2], 3, v[1:2]
	v_mov_b32_e32 v3, s19
	v_add_co_u32_e32 v1, vcc, s18, v1
	v_addc_co_u32_e32 v2, vcc, v3, v2, vcc
	global_load_dwordx2 v[1:2], v[1:2], off
	v_cmp_gt_i32_e32 vcc, s33, v10
	v_cmp_le_i32_e64 s[2:3], s23, v10
	s_or_b64 s[2:3], vcc, s[2:3]
	s_waitcnt vmcnt(0)
	v_mul_f64 v[12:13], v[8:9], v[1:2]
	s_and_saveexec_b64 s[26:27], s[2:3]
	s_xor_b64 s[2:3], exec, s[26:27]
	s_cbranch_execz .LBB92_116
; %bb.113:
	v_ashrrev_i32_e32 v11, 31, v10
	v_lshlrev_b64 v[1:2], 3, v[10:11]
	v_mov_b32_e32 v3, s21
	v_add_co_u32_e32 v14, vcc, s20, v1
	v_addc_co_u32_e32 v15, vcc, v3, v2, vcc
	global_load_dwordx2 v[3:4], v[14:15], off
	s_mov_b64 s[26:27], 0
.LBB92_114:                             ; =>This Inner Loop Header: Depth=1
	s_waitcnt vmcnt(0)
	v_add_f64 v[1:2], v[3:4], v[12:13]
	global_atomic_cmpswap_x2 v[1:2], v[14:15], v[1:4], off glc
	s_waitcnt vmcnt(0)
	v_cmp_eq_u64_e32 vcc, v[1:2], v[3:4]
	v_mov_b32_e32 v4, v2
	s_or_b64 s[26:27], vcc, s[26:27]
	v_mov_b32_e32 v3, v1
	s_andn2_b64 exec, exec, s[26:27]
	s_cbranch_execnz .LBB92_114
; %bb.115:
	s_or_b64 exec, exec, s[26:27]
                                        ; implicit-def: $vgpr12_vgpr13
.LBB92_116:
	s_andn2_saveexec_b64 s[2:3], s[2:3]
	s_cbranch_execz .LBB92_120
; %bb.117:
	v_subrev_u32_e32 v1, s33, v10
	v_mov_b32_e32 v2, 0x2000
	v_lshl_add_u32 v3, v1, 3, v2
	ds_read_b64 v[1:2], v3
	s_mov_b64 s[2:3], 0
.LBB92_118:                             ; =>This Inner Loop Header: Depth=1
	s_waitcnt lgkmcnt(0)
	v_add_f64 v[4:5], v[1:2], v[12:13]
	ds_cmpst_rtn_b64 v[4:5], v3, v[1:2], v[4:5]
	s_waitcnt lgkmcnt(0)
	v_cmp_eq_u64_e32 vcc, v[4:5], v[1:2]
	v_mov_b32_e32 v1, v4
	s_or_b64 s[2:3], vcc, s[2:3]
	v_mov_b32_e32 v2, v5
	s_andn2_b64 exec, exec, s[2:3]
	s_cbranch_execnz .LBB92_118
; %bb.119:
	s_or_b64 exec, exec, s[2:3]
.LBB92_120:
	s_or_b64 exec, exec, s[16:17]
.LBB92_121:
	s_andn2_saveexec_b64 s[2:3], s[14:15]
; %bb.122:
	ds_read_b64 v[8:9], v16 offset:4096
; %bb.123:
	s_or_b64 exec, exec, s[2:3]
	v_ashrrev_i32_e32 v11, 31, v10
	v_lshlrev_b64 v[1:2], 3, v[10:11]
	v_mov_b32_e32 v3, s19
	v_add_co_u32_e32 v1, vcc, s18, v1
	v_addc_co_u32_e32 v2, vcc, v3, v2, vcc
	global_load_dwordx2 v[1:2], v[1:2], off
	s_and_b64 vcc, exec, s[0:1]
	v_mov_b32_e32 v3, s22
	s_waitcnt vmcnt(0) lgkmcnt(0)
	v_mul_f64 v[1:2], v[1:2], v[8:9]
	ds_write_b64 v16, v[1:2] offset:4096
	v_mov_b32_e32 v1, s28
	s_cbranch_vccnz .LBB92_127
; %bb.124:
	s_mov_b64 s[2:3], 0
	v_mov_b32_e32 v3, s22
	v_mov_b32_e32 v1, s28
	;; [unrolled: 1-line block ×3, first 2 shown]
.LBB92_125:                             ; =>This Inner Loop Header: Depth=1
	v_add_u32_e32 v4, v1, v3
	v_lshrrev_b32_e32 v5, 31, v4
	v_add_u32_e32 v4, v4, v5
	v_ashrrev_i32_e32 v4, 1, v4
	v_ashrrev_i32_e32 v5, 31, v4
	v_lshlrev_b64 v[8:9], 2, v[4:5]
	v_add_co_u32_e32 v8, vcc, s12, v8
	v_addc_co_u32_e32 v9, vcc, v2, v9, vcc
	global_load_dword v5, v[8:9], off
	s_waitcnt vmcnt(0)
	v_subrev_u32_e32 v5, s24, v5
	v_cmp_lt_i32_e32 vcc, v17, v5
	v_cndmask_b32_e32 v1, v1, v4, vcc
	v_cndmask_b32_e32 v3, v4, v3, vcc
	v_add_u32_e32 v4, -1, v1
	v_cmp_ge_i32_e32 vcc, v3, v1
	v_cmp_eq_u32_e64 s[0:1], v3, v4
	s_or_b64 s[0:1], vcc, s[0:1]
	s_and_b64 s[0:1], exec, s[0:1]
	s_or_b64 s[2:3], s[0:1], s[2:3]
	s_andn2_b64 exec, exec, s[2:3]
	s_cbranch_execnz .LBB92_125
; %bb.126:
	s_or_b64 exec, exec, s[2:3]
.LBB92_127:
	v_ashrrev_i32_e32 v2, 31, v1
	v_lshlrev_b64 v[4:5], 2, v[1:2]
	v_mov_b32_e32 v2, s13
	v_add_co_u32_e32 v4, vcc, s12, v4
	v_addc_co_u32_e32 v5, vcc, v2, v5, vcc
	global_load_dword v2, v[4:5], off
	global_load_dword v8, v[6:7], off offset:3072
                                        ; implicit-def: $vgpr5_vgpr6
	s_waitcnt vmcnt(1)
	v_subrev_u32_e32 v2, s24, v2
	v_cmp_lt_i32_e32 vcc, v17, v2
	v_cndmask_b32_e32 v1, v1, v3, vcc
	s_waitcnt vmcnt(0)
	v_subrev_u32_e32 v7, s24, v8
	v_cmp_ne_u32_e32 vcc, v7, v1
	s_and_saveexec_b64 s[0:1], vcc
	s_xor_b64 s[2:3], exec, s[0:1]
	s_cbranch_execz .LBB92_138
; %bb.128:
	s_load_dword s0, s[10:11], 0x0
	ds_read_b64 v[5:6], v16 offset:6144
	s_waitcnt lgkmcnt(0)
	s_sub_i32 s0, s0, s24
	v_cmp_gt_i32_e32 vcc, s0, v17
	s_and_saveexec_b64 s[10:11], vcc
	s_cbranch_execz .LBB92_137
; %bb.129:
	v_ashrrev_i32_e32 v2, 31, v1
	v_lshlrev_b64 v[1:2], 3, v[1:2]
	v_mov_b32_e32 v3, s19
	v_add_co_u32_e32 v1, vcc, s18, v1
	v_addc_co_u32_e32 v2, vcc, v3, v2, vcc
	global_load_dwordx2 v[1:2], v[1:2], off
	v_cmp_gt_i32_e32 vcc, s33, v7
	v_cmp_le_i32_e64 s[0:1], s23, v7
	s_or_b64 s[0:1], vcc, s[0:1]
	s_waitcnt vmcnt(0)
	v_mul_f64 v[9:10], v[5:6], v[1:2]
	s_and_saveexec_b64 s[14:15], s[0:1]
	s_xor_b64 s[0:1], exec, s[14:15]
	s_cbranch_execz .LBB92_133
; %bb.130:
	v_ashrrev_i32_e32 v8, 31, v7
	v_lshlrev_b64 v[1:2], 3, v[7:8]
	v_mov_b32_e32 v3, s21
	v_add_co_u32_e32 v11, vcc, s20, v1
	v_addc_co_u32_e32 v12, vcc, v3, v2, vcc
	global_load_dwordx2 v[3:4], v[11:12], off
	s_mov_b64 s[14:15], 0
.LBB92_131:                             ; =>This Inner Loop Header: Depth=1
	s_waitcnt vmcnt(0)
	v_add_f64 v[1:2], v[3:4], v[9:10]
	global_atomic_cmpswap_x2 v[1:2], v[11:12], v[1:4], off glc
	s_waitcnt vmcnt(0)
	v_cmp_eq_u64_e32 vcc, v[1:2], v[3:4]
	v_mov_b32_e32 v4, v2
	s_or_b64 s[14:15], vcc, s[14:15]
	v_mov_b32_e32 v3, v1
	s_andn2_b64 exec, exec, s[14:15]
	s_cbranch_execnz .LBB92_131
; %bb.132:
	s_or_b64 exec, exec, s[14:15]
                                        ; implicit-def: $vgpr9_vgpr10
.LBB92_133:
	s_andn2_saveexec_b64 s[0:1], s[0:1]
	s_cbranch_execz .LBB92_137
; %bb.134:
	v_subrev_u32_e32 v1, s33, v7
	v_mov_b32_e32 v2, 0x2000
	v_lshl_add_u32 v3, v1, 3, v2
	ds_read_b64 v[1:2], v3
	s_mov_b64 s[0:1], 0
.LBB92_135:                             ; =>This Inner Loop Header: Depth=1
	s_waitcnt lgkmcnt(0)
	v_add_f64 v[11:12], v[1:2], v[9:10]
	ds_cmpst_rtn_b64 v[11:12], v3, v[1:2], v[11:12]
	s_waitcnt lgkmcnt(0)
	v_cmp_eq_u64_e32 vcc, v[11:12], v[1:2]
	v_mov_b32_e32 v1, v11
	s_or_b64 s[0:1], vcc, s[0:1]
	v_mov_b32_e32 v2, v12
	s_andn2_b64 exec, exec, s[0:1]
	s_cbranch_execnz .LBB92_135
; %bb.136:
	s_or_b64 exec, exec, s[0:1]
.LBB92_137:
	s_or_b64 exec, exec, s[10:11]
.LBB92_138:
	s_andn2_saveexec_b64 s[0:1], s[2:3]
; %bb.139:
	ds_read_b64 v[5:6], v16 offset:6144
; %bb.140:
	s_or_b64 exec, exec, s[0:1]
	v_ashrrev_i32_e32 v8, 31, v7
	v_lshlrev_b64 v[1:2], 3, v[7:8]
	v_mov_b32_e32 v3, s19
	v_add_co_u32_e32 v1, vcc, s18, v1
	v_addc_co_u32_e32 v2, vcc, v3, v2, vcc
	global_load_dwordx2 v[1:2], v[1:2], off
	s_waitcnt vmcnt(0) lgkmcnt(0)
	v_mul_f64 v[1:2], v[1:2], v[5:6]
	ds_write_b64 v16, v[1:2] offset:6144
.LBB92_141:
	s_or_b64 exec, exec, s[4:5]
	s_min_i32 s9, s23, s9
	s_sub_i32 s10, s9, s25
	v_cmp_gt_i32_e32 vcc, s10, v0
	s_waitcnt lgkmcnt(0)
	s_barrier
	s_and_saveexec_b64 s[0:1], vcc
	s_cbranch_execz .LBB92_146
; %bb.142:
	s_mov_b64 s[2:3], 0
	v_mov_b32_e32 v9, s21
	v_mov_b32_e32 v10, 0x2000
	;; [unrolled: 1-line block ×3, first 2 shown]
.LBB92_143:                             ; =>This Loop Header: Depth=1
                                        ;     Child Loop BB92_144 Depth 2
	v_add_u32_e32 v1, s33, v11
	v_ashrrev_i32_e32 v2, 31, v1
	v_lshlrev_b64 v[1:2], 3, v[1:2]
	s_mov_b64 s[4:5], 0
	v_add_co_u32_e32 v5, vcc, s20, v1
	v_addc_co_u32_e32 v6, vcc, v9, v2, vcc
	global_load_dwordx2 v[3:4], v[5:6], off
	v_lshl_add_u32 v1, v11, 3, v10
	ds_read_b64 v[7:8], v1
.LBB92_144:                             ;   Parent Loop BB92_143 Depth=1
                                        ; =>  This Inner Loop Header: Depth=2
	s_waitcnt vmcnt(0) lgkmcnt(0)
	v_add_f64 v[1:2], v[3:4], v[7:8]
	global_atomic_cmpswap_x2 v[1:2], v[5:6], v[1:4], off glc
	s_waitcnt vmcnt(0)
	v_cmp_eq_u64_e32 vcc, v[1:2], v[3:4]
	v_mov_b32_e32 v4, v2
	s_or_b64 s[4:5], vcc, s[4:5]
	v_mov_b32_e32 v3, v1
	s_andn2_b64 exec, exec, s[4:5]
	s_cbranch_execnz .LBB92_144
; %bb.145:                              ;   in Loop: Header=BB92_143 Depth=1
	s_or_b64 exec, exec, s[4:5]
	v_add_u32_e32 v11, 0x100, v11
	v_cmp_le_i32_e32 vcc, s10, v11
	s_or_b64 s[2:3], vcc, s[2:3]
	s_andn2_b64 exec, exec, s[2:3]
	s_cbranch_execnz .LBB92_143
.LBB92_146:
	s_or_b64 exec, exec, s[0:1]
	s_mul_i32 s0, s8, s25
	s_sub_i32 s0, s31, s0
	s_add_i32 s1, s8, 1
	s_sub_i32 s2, s0, s25
	s_cmp_ge_u32 s0, s25
	s_cselect_b32 s1, s1, s8
	s_cselect_b32 s0, s2, s0
	s_add_i32 s2, s1, 1
	s_cmp_ge_u32 s0, s25
	s_cselect_b32 s0, s2, s1
	s_add_i32 s0, s0, -1
	s_ashr_i32 s1, s0, 1
	s_or_b32 s0, s1, s0
	s_ashr_i32 s1, s0, 2
	s_or_b32 s0, s1, s0
	;; [unrolled: 2-line block ×5, first 2 shown]
	s_add_i32 s0, s0, 1
	s_ashr_i32 s11, s0, 1
	v_add_u32_e32 v5, s22, v0
	s_cmp_gt_i32 s11, 1
	s_mov_b64 s[0:1], -1
	s_barrier
	s_cbranch_scc1 .LBB92_157
; %bb.147:
	v_cmp_gt_i32_e32 vcc, s23, v5
	s_and_saveexec_b64 s[0:1], vcc
	s_cbranch_execz .LBB92_156
; %bb.148:
	s_sub_i32 s2, s9, s23
	s_lshl_b32 s2, s2, 3
	s_add_i32 s14, s2, 0x2000
	s_lshl_b32 s2, s30, 3
	s_sub_i32 s15, 0, s2
	s_mov_b64 s[2:3], 0
	v_mov_b32_e32 v11, s13
	v_mov_b32_e32 v12, s21
	v_mov_b32_e32 v6, v5
.LBB92_149:                             ; =>This Loop Header: Depth=1
                                        ;     Child Loop BB92_151 Depth 2
                                        ;     Child Loop BB92_154 Depth 2
	v_ashrrev_i32_e32 v7, 31, v6
	v_lshlrev_b64 v[1:2], 2, v[6:7]
	v_add_co_u32_e32 v1, vcc, s12, v1
	v_addc_co_u32_e32 v2, vcc, v11, v2, vcc
	global_load_dwordx2 v[3:4], v[1:2], off
	v_mov_b32_e32 v1, 0
	v_mov_b32_e32 v2, 0
	s_waitcnt vmcnt(0)
	v_cmp_lt_i32_e32 vcc, v3, v4
	s_and_saveexec_b64 s[4:5], vcc
	s_cbranch_execz .LBB92_153
; %bb.150:                              ;   in Loop: Header=BB92_149 Depth=1
	v_mov_b32_e32 v1, 0
	v_subrev_u32_e32 v4, s30, v4
	v_subrev_u32_e32 v8, s30, v3
	v_lshl_add_u32 v3, v3, 3, s15
	v_mov_b32_e32 v2, 0
	s_mov_b64 s[8:9], 0
.LBB92_151:                             ;   Parent Loop BB92_149 Depth=1
                                        ; =>  This Inner Loop Header: Depth=2
	ds_read_b64 v[9:10], v3
	v_add_u32_e32 v8, 1, v8
	v_cmp_ge_i32_e32 vcc, v8, v4
	s_or_b64 s[8:9], vcc, s[8:9]
	v_add_u32_e32 v3, 8, v3
	s_waitcnt lgkmcnt(0)
	v_add_f64 v[1:2], v[1:2], v[9:10]
	s_andn2_b64 exec, exec, s[8:9]
	s_cbranch_execnz .LBB92_151
; %bb.152:                              ;   in Loop: Header=BB92_149 Depth=1
	s_or_b64 exec, exec, s[8:9]
.LBB92_153:                             ;   in Loop: Header=BB92_149 Depth=1
	s_or_b64 exec, exec, s[4:5]
	v_lshlrev_b64 v[3:4], 3, v[6:7]
	v_lshl_add_u32 v9, v6, 3, s14
	v_add_co_u32_e32 v7, vcc, s20, v3
	v_addc_co_u32_e32 v8, vcc, v12, v4, vcc
	global_load_dwordx2 v[3:4], v[7:8], off
	ds_read_b64 v[9:10], v9
	s_mov_b64 s[4:5], 0
	s_waitcnt lgkmcnt(0)
	v_add_f64 v[9:10], v[1:2], v[9:10]
.LBB92_154:                             ;   Parent Loop BB92_149 Depth=1
                                        ; =>  This Inner Loop Header: Depth=2
	s_waitcnt vmcnt(0)
	v_add_f64 v[1:2], v[3:4], v[9:10]
	global_atomic_cmpswap_x2 v[1:2], v[7:8], v[1:4], off glc
	s_waitcnt vmcnt(0)
	v_cmp_eq_u64_e32 vcc, v[1:2], v[3:4]
	v_mov_b32_e32 v4, v2
	s_or_b64 s[4:5], vcc, s[4:5]
	v_mov_b32_e32 v3, v1
	s_andn2_b64 exec, exec, s[4:5]
	s_cbranch_execnz .LBB92_154
; %bb.155:                              ;   in Loop: Header=BB92_149 Depth=1
	s_or_b64 exec, exec, s[4:5]
	v_add_u32_e32 v6, s31, v6
	v_cmp_le_i32_e32 vcc, s23, v6
	s_or_b64 s[2:3], vcc, s[2:3]
	s_andn2_b64 exec, exec, s[2:3]
	s_cbranch_execnz .LBB92_149
.LBB92_156:
	s_or_b64 exec, exec, s[0:1]
	s_mov_b64 s[0:1], 0
.LBB92_157:
	s_andn2_b64 vcc, exec, s[0:1]
	s_cbranch_vccnz .LBB92_171
; %bb.158:
	v_cvt_f32_u32_e32 v1, s11
	s_sub_i32 s0, 0, s11
	v_rcp_iflag_f32_e32 v1, v1
	v_mul_f32_e32 v1, 0x4f7ffffe, v1
	v_cvt_u32_f32_e32 v1, v1
	v_mul_lo_u32 v2, s0, v1
	v_mul_hi_u32 v2, v1, v2
	v_add_u32_e32 v1, v1, v2
	v_mul_hi_u32 v1, v0, v1
	v_mul_lo_u32 v2, v1, s11
	v_add_u32_e32 v3, 1, v1
	v_sub_u32_e32 v2, v0, v2
	v_cmp_le_u32_e32 vcc, s11, v2
	v_cndmask_b32_e32 v1, v1, v3, vcc
	v_subrev_u32_e32 v3, s11, v2
	v_cndmask_b32_e32 v2, v2, v3, vcc
	v_add_u32_e32 v3, 1, v1
	v_cmp_le_u32_e32 vcc, s11, v2
	v_cndmask_b32_e32 v6, v1, v3, vcc
	v_lshlrev_b32_e32 v1, 2, v6
	global_load_dwordx2 v[3:4], v1, s[6:7]
	v_mov_b32_e32 v1, 0
	v_mov_b32_e32 v2, 0
	v_cmp_gt_i32_e32 vcc, s25, v6
	s_and_saveexec_b64 s[0:1], vcc
	s_cbranch_execz .LBB92_166
; %bb.159:
	s_abs_i32 s4, s11
	v_cvt_f32_u32_e32 v1, s4
	s_sub_i32 s2, 0, s4
	s_waitcnt vmcnt(0)
	v_subrev_u32_e32 v3, s30, v3
	v_subrev_u32_e32 v6, s30, v4
	v_rcp_iflag_f32_e32 v1, v1
	v_sub_u32_e32 v4, v6, v3
	v_sub_u32_e32 v7, 0, v4
	v_max_i32_e32 v9, v4, v7
	v_mul_f32_e32 v1, 0x4f7ffffe, v1
	v_cvt_u32_f32_e32 v1, v1
	s_ashr_i32 s5, s11, 31
	v_ashrrev_i32_e32 v4, 31, v4
	v_xor_b32_e32 v4, s5, v4
	v_mul_lo_u32 v2, s2, v1
	v_mul_hi_u32 v2, v1, v2
	v_add_u32_e32 v1, v1, v2
	v_mad_u64_u32 v[7:8], s[2:3], v9, v1, 0
	s_add_i32 s2, s11, -1
	v_mov_b32_e32 v1, 0
	v_mul_lo_u32 v10, v8, s4
	v_add_u32_e32 v11, 1, v8
	v_and_b32_e32 v7, s2, v0
	v_mov_b32_e32 v2, 0
	v_sub_u32_e32 v9, v9, v10
	v_cmp_le_u32_e32 vcc, s4, v9
	v_subrev_u32_e32 v10, s4, v9
	v_cndmask_b32_e32 v8, v8, v11, vcc
	v_cndmask_b32_e32 v9, v9, v10, vcc
	v_add_u32_e32 v10, 1, v8
	v_cmp_le_u32_e32 vcc, s4, v9
	v_cndmask_b32_e32 v8, v8, v10, vcc
	v_xor_b32_e32 v8, v8, v4
	v_sub_u32_e32 v4, v8, v4
	v_cmp_lt_i32_e32 vcc, 0, v4
	v_lshlrev_b32_e32 v8, 3, v7
	s_and_saveexec_b64 s[2:3], vcc
	s_cbranch_execz .LBB92_163
; %bb.160:
	v_mov_b32_e32 v1, 0
	v_lshl_add_u32 v9, v3, 3, v8
	s_lshl_b32 s6, s11, 3
	v_mov_b32_e32 v2, 0
	s_mov_b64 s[4:5], 0
	v_mov_b32_e32 v10, v4
.LBB92_161:                             ; =>This Inner Loop Header: Depth=1
	ds_read_b64 v[11:12], v9
	v_add_u32_e32 v10, -1, v10
	v_cmp_eq_u32_e32 vcc, 0, v10
	s_or_b64 s[4:5], vcc, s[4:5]
	v_add_u32_e32 v9, s6, v9
	s_waitcnt lgkmcnt(0)
	v_add_f64 v[1:2], v[1:2], v[11:12]
	s_andn2_b64 exec, exec, s[4:5]
	s_cbranch_execnz .LBB92_161
; %bb.162:
	s_or_b64 exec, exec, s[4:5]
.LBB92_163:
	s_or_b64 exec, exec, s[2:3]
	v_mad_u64_u32 v[3:4], s[2:3], v4, s11, v[3:4]
	v_sub_u32_e32 v4, v6, v3
	v_cmp_lt_i32_e32 vcc, v7, v4
	s_and_saveexec_b64 s[2:3], vcc
	s_cbranch_execz .LBB92_165
; %bb.164:
	v_lshl_add_u32 v3, v3, 3, v8
	ds_read_b64 v[3:4], v3
	s_waitcnt lgkmcnt(0)
	v_add_f64 v[1:2], v[1:2], v[3:4]
.LBB92_165:
	s_or_b64 exec, exec, s[2:3]
.LBB92_166:
	s_or_b64 exec, exec, s[0:1]
	v_cmp_gt_i32_e32 vcc, s25, v0
	s_waitcnt vmcnt(0)
	s_barrier
	ds_write_b64 v16, v[1:2]
	s_waitcnt lgkmcnt(0)
	s_barrier
	s_and_b64 exec, exec, vcc
	s_cbranch_execz .LBB92_171
; %bb.167:
	v_mul_lo_u32 v1, s11, v0
	v_mov_b32_e32 v7, 0
	v_mov_b32_e32 v8, 0
	v_lshlrev_b32_e32 v1, 3, v1
.LBB92_168:                             ; =>This Inner Loop Header: Depth=1
	ds_read_b64 v[2:3], v1
	s_add_i32 s11, s11, -1
	s_cmp_eq_u32 s11, 0
	v_add_u32_e32 v1, 8, v1
	s_waitcnt lgkmcnt(0)
	v_add_f64 v[7:8], v[7:8], v[2:3]
	s_cbranch_scc0 .LBB92_168
; %bb.169:
	v_ashrrev_i32_e32 v6, 31, v5
	v_lshlrev_b64 v[1:2], 3, v[5:6]
	v_mov_b32_e32 v3, s21
	v_add_co_u32_e32 v4, vcc, s20, v1
	v_addc_co_u32_e32 v5, vcc, v3, v2, vcc
	global_load_dwordx2 v[2:3], v[4:5], off
	s_lshl_b32 s0, s10, 3
	s_addk_i32 s0, 0x2000
	v_lshl_add_u32 v0, v0, 3, s0
	ds_read_b64 v[0:1], v0
	s_mov_b64 s[0:1], 0
	s_waitcnt lgkmcnt(0)
	v_add_f64 v[6:7], v[7:8], v[0:1]
.LBB92_170:                             ; =>This Inner Loop Header: Depth=1
	s_waitcnt vmcnt(0)
	v_add_f64 v[0:1], v[2:3], v[6:7]
	global_atomic_cmpswap_x2 v[0:1], v[4:5], v[0:3], off glc
	s_waitcnt vmcnt(0)
	v_cmp_eq_u64_e32 vcc, v[0:1], v[2:3]
	v_mov_b32_e32 v3, v1
	s_or_b64 s[0:1], vcc, s[0:1]
	v_mov_b32_e32 v2, v0
	s_andn2_b64 exec, exec, s[0:1]
	s_cbranch_execnz .LBB92_170
.LBB92_171:
	s_endpgm
	.section	.rodata,"a",@progbits
	.p2align	6, 0x0
	.amdhsa_kernel _ZN9rocsparseL27csrmvn_symm_adaptive_kernelIiifdddEEvbT_S1_PKS1_NS_24const_host_device_scalarIT4_EES3_PKT0_PKT1_PKT2_S6_PT3_21rocsparse_index_base_b
		.amdhsa_group_segment_fixed_size 8192
		.amdhsa_private_segment_fixed_size 0
		.amdhsa_kernarg_size 344
		.amdhsa_user_sgpr_count 6
		.amdhsa_user_sgpr_private_segment_buffer 1
		.amdhsa_user_sgpr_dispatch_ptr 0
		.amdhsa_user_sgpr_queue_ptr 0
		.amdhsa_user_sgpr_kernarg_segment_ptr 1
		.amdhsa_user_sgpr_dispatch_id 0
		.amdhsa_user_sgpr_flat_scratch_init 0
		.amdhsa_user_sgpr_private_segment_size 0
		.amdhsa_uses_dynamic_stack 0
		.amdhsa_system_sgpr_private_segment_wavefront_offset 0
		.amdhsa_system_sgpr_workgroup_id_x 1
		.amdhsa_system_sgpr_workgroup_id_y 0
		.amdhsa_system_sgpr_workgroup_id_z 0
		.amdhsa_system_sgpr_workgroup_info 0
		.amdhsa_system_vgpr_workitem_id 0
		.amdhsa_next_free_vgpr 29
		.amdhsa_next_free_sgpr 61
		.amdhsa_reserve_vcc 1
		.amdhsa_reserve_flat_scratch 0
		.amdhsa_float_round_mode_32 0
		.amdhsa_float_round_mode_16_64 0
		.amdhsa_float_denorm_mode_32 3
		.amdhsa_float_denorm_mode_16_64 3
		.amdhsa_dx10_clamp 1
		.amdhsa_ieee_mode 1
		.amdhsa_fp16_overflow 0
		.amdhsa_exception_fp_ieee_invalid_op 0
		.amdhsa_exception_fp_denorm_src 0
		.amdhsa_exception_fp_ieee_div_zero 0
		.amdhsa_exception_fp_ieee_overflow 0
		.amdhsa_exception_fp_ieee_underflow 0
		.amdhsa_exception_fp_ieee_inexact 0
		.amdhsa_exception_int_div_zero 0
	.end_amdhsa_kernel
	.section	.text._ZN9rocsparseL27csrmvn_symm_adaptive_kernelIiifdddEEvbT_S1_PKS1_NS_24const_host_device_scalarIT4_EES3_PKT0_PKT1_PKT2_S6_PT3_21rocsparse_index_base_b,"axG",@progbits,_ZN9rocsparseL27csrmvn_symm_adaptive_kernelIiifdddEEvbT_S1_PKS1_NS_24const_host_device_scalarIT4_EES3_PKT0_PKT1_PKT2_S6_PT3_21rocsparse_index_base_b,comdat
.Lfunc_end92:
	.size	_ZN9rocsparseL27csrmvn_symm_adaptive_kernelIiifdddEEvbT_S1_PKS1_NS_24const_host_device_scalarIT4_EES3_PKT0_PKT1_PKT2_S6_PT3_21rocsparse_index_base_b, .Lfunc_end92-_ZN9rocsparseL27csrmvn_symm_adaptive_kernelIiifdddEEvbT_S1_PKS1_NS_24const_host_device_scalarIT4_EES3_PKT0_PKT1_PKT2_S6_PT3_21rocsparse_index_base_b
                                        ; -- End function
	.set _ZN9rocsparseL27csrmvn_symm_adaptive_kernelIiifdddEEvbT_S1_PKS1_NS_24const_host_device_scalarIT4_EES3_PKT0_PKT1_PKT2_S6_PT3_21rocsparse_index_base_b.num_vgpr, 21
	.set _ZN9rocsparseL27csrmvn_symm_adaptive_kernelIiifdddEEvbT_S1_PKS1_NS_24const_host_device_scalarIT4_EES3_PKT0_PKT1_PKT2_S6_PT3_21rocsparse_index_base_b.num_agpr, 0
	.set _ZN9rocsparseL27csrmvn_symm_adaptive_kernelIiifdddEEvbT_S1_PKS1_NS_24const_host_device_scalarIT4_EES3_PKT0_PKT1_PKT2_S6_PT3_21rocsparse_index_base_b.numbered_sgpr, 38
	.set _ZN9rocsparseL27csrmvn_symm_adaptive_kernelIiifdddEEvbT_S1_PKS1_NS_24const_host_device_scalarIT4_EES3_PKT0_PKT1_PKT2_S6_PT3_21rocsparse_index_base_b.num_named_barrier, 0
	.set _ZN9rocsparseL27csrmvn_symm_adaptive_kernelIiifdddEEvbT_S1_PKS1_NS_24const_host_device_scalarIT4_EES3_PKT0_PKT1_PKT2_S6_PT3_21rocsparse_index_base_b.private_seg_size, 0
	.set _ZN9rocsparseL27csrmvn_symm_adaptive_kernelIiifdddEEvbT_S1_PKS1_NS_24const_host_device_scalarIT4_EES3_PKT0_PKT1_PKT2_S6_PT3_21rocsparse_index_base_b.uses_vcc, 1
	.set _ZN9rocsparseL27csrmvn_symm_adaptive_kernelIiifdddEEvbT_S1_PKS1_NS_24const_host_device_scalarIT4_EES3_PKT0_PKT1_PKT2_S6_PT3_21rocsparse_index_base_b.uses_flat_scratch, 0
	.set _ZN9rocsparseL27csrmvn_symm_adaptive_kernelIiifdddEEvbT_S1_PKS1_NS_24const_host_device_scalarIT4_EES3_PKT0_PKT1_PKT2_S6_PT3_21rocsparse_index_base_b.has_dyn_sized_stack, 0
	.set _ZN9rocsparseL27csrmvn_symm_adaptive_kernelIiifdddEEvbT_S1_PKS1_NS_24const_host_device_scalarIT4_EES3_PKT0_PKT1_PKT2_S6_PT3_21rocsparse_index_base_b.has_recursion, 0
	.set _ZN9rocsparseL27csrmvn_symm_adaptive_kernelIiifdddEEvbT_S1_PKS1_NS_24const_host_device_scalarIT4_EES3_PKT0_PKT1_PKT2_S6_PT3_21rocsparse_index_base_b.has_indirect_call, 0
	.section	.AMDGPU.csdata,"",@progbits
; Kernel info:
; codeLenInByte = 6724
; TotalNumSgprs: 42
; NumVgprs: 21
; ScratchSize: 0
; MemoryBound: 0
; FloatMode: 240
; IeeeMode: 1
; LDSByteSize: 8192 bytes/workgroup (compile time only)
; SGPRBlocks: 8
; VGPRBlocks: 7
; NumSGPRsForWavesPerEU: 65
; NumVGPRsForWavesPerEU: 29
; Occupancy: 8
; WaveLimiterHint : 1
; COMPUTE_PGM_RSRC2:SCRATCH_EN: 0
; COMPUTE_PGM_RSRC2:USER_SGPR: 6
; COMPUTE_PGM_RSRC2:TRAP_HANDLER: 0
; COMPUTE_PGM_RSRC2:TGID_X_EN: 1
; COMPUTE_PGM_RSRC2:TGID_Y_EN: 0
; COMPUTE_PGM_RSRC2:TGID_Z_EN: 0
; COMPUTE_PGM_RSRC2:TIDIG_COMP_CNT: 0
	.section	.text._ZL33csrmvn_symm_large_adaptive_kernelIiifdddEvbT_PKS0_N9rocsparse24const_host_device_scalarIT4_EES2_PKT0_PKT1_PKT2_S6_PT3_21rocsparse_index_base_b,"axG",@progbits,_ZL33csrmvn_symm_large_adaptive_kernelIiifdddEvbT_PKS0_N9rocsparse24const_host_device_scalarIT4_EES2_PKT0_PKT1_PKT2_S6_PT3_21rocsparse_index_base_b,comdat
	.globl	_ZL33csrmvn_symm_large_adaptive_kernelIiifdddEvbT_PKS0_N9rocsparse24const_host_device_scalarIT4_EES2_PKT0_PKT1_PKT2_S6_PT3_21rocsparse_index_base_b ; -- Begin function _ZL33csrmvn_symm_large_adaptive_kernelIiifdddEvbT_PKS0_N9rocsparse24const_host_device_scalarIT4_EES2_PKT0_PKT1_PKT2_S6_PT3_21rocsparse_index_base_b
	.p2align	8
	.type	_ZL33csrmvn_symm_large_adaptive_kernelIiifdddEvbT_PKS0_N9rocsparse24const_host_device_scalarIT4_EES2_PKT0_PKT1_PKT2_S6_PT3_21rocsparse_index_base_b,@function
_ZL33csrmvn_symm_large_adaptive_kernelIiifdddEvbT_PKS0_N9rocsparse24const_host_device_scalarIT4_EES2_PKT0_PKT1_PKT2_S6_PT3_21rocsparse_index_base_b: ; @_ZL33csrmvn_symm_large_adaptive_kernelIiifdddEvbT_PKS0_N9rocsparse24const_host_device_scalarIT4_EES2_PKT0_PKT1_PKT2_S6_PT3_21rocsparse_index_base_b
; %bb.0:
	s_load_dwordx2 s[10:11], s[4:5], 0x48
	s_load_dwordx2 s[8:9], s[4:5], 0x10
	;; [unrolled: 1-line block ×3, first 2 shown]
	s_waitcnt lgkmcnt(0)
	s_bitcmp1_b32 s11, 0
	s_cselect_b64 s[12:13], -1, 0
	v_mov_b32_e32 v4, s8
	s_xor_b64 s[2:3], s[12:13], -1
	s_and_b64 vcc, exec, s[12:13]
	v_mov_b32_e32 v5, s9
	s_cbranch_vccnz .LBB93_2
; %bb.1:
	v_mov_b32_e32 v1, s8
	v_mov_b32_e32 v2, s9
	flat_load_dwordx2 v[4:5], v[1:2]
.LBB93_2:
	v_mov_b32_e32 v2, s1
	s_andn2_b64 vcc, exec, s[2:3]
	v_mov_b32_e32 v1, s0
	s_cbranch_vccnz .LBB93_4
; %bb.3:
	v_mov_b32_e32 v2, s1
	v_mov_b32_e32 v1, s0
	flat_load_dwordx2 v[1:2], v[1:2]
.LBB93_4:
	s_waitcnt vmcnt(0) lgkmcnt(0)
	v_cmp_neq_f64_e32 vcc, 0, v[4:5]
	v_cmp_neq_f64_e64 s[0:1], 1.0, v[1:2]
	s_or_b64 s[0:1], vcc, s[0:1]
	s_and_saveexec_b64 s[2:3], s[0:1]
	s_cbranch_execz .LBB93_37
; %bb.5:
	s_load_dwordx2 s[0:1], s[4:5], 0x8
	s_mov_b32 s2, 0
	s_mov_b32 s3, s2
	v_mov_b32_e32 v1, s2
	s_ashr_i32 s7, s6, 31
	v_mov_b32_e32 v2, s3
	s_lshl_b64 s[2:3], s[6:7], 2
	s_waitcnt lgkmcnt(0)
	s_add_u32 s0, s0, s2
	v_lshlrev_b32_e32 v10, 3, v0
	s_addc_u32 s1, s1, s3
	ds_write2st64_b64 v10, v[1:2], v[1:2] offset1:4
	ds_write2st64_b64 v10, v[1:2], v[1:2] offset0:8 offset1:12
	s_waitcnt lgkmcnt(0)
	s_barrier
	s_load_dwordx2 s[20:21], s[0:1], 0x0
	s_load_dwordx8 s[12:19], s[4:5], 0x18
	s_load_dwordx2 s[22:23], s[4:5], 0x40
	v_subrev_u32_e32 v11, s10, v0
	s_waitcnt lgkmcnt(0)
	s_cmp_ge_i32 s20, s21
	s_cbranch_scc1 .LBB93_27
; %bb.6:
	v_cmp_gt_u32_e64 s[0:1], 64, v0
	v_cmp_gt_u32_e64 s[2:3], 16, v0
	;; [unrolled: 1-line block ×3, first 2 shown]
	v_cmp_eq_u32_e64 s[6:7], 0, v0
	v_mov_b32_e32 v12, 0
	s_mov_b32 s24, s20
	s_branch .LBB93_8
.LBB93_7:                               ;   in Loop: Header=BB93_8 Depth=1
	s_or_b64 exec, exec, s[8:9]
	s_add_i32 s24, s24, 1
	s_cmp_ge_i32 s24, s21
	s_cbranch_scc1 .LBB93_27
.LBB93_8:                               ; =>This Loop Header: Depth=1
                                        ;     Child Loop BB93_10 Depth 2
                                        ;     Child Loop BB93_22 Depth 2
	;; [unrolled: 1-line block ×3, first 2 shown]
	s_ashr_i32 s25, s24, 31
	s_lshl_b64 s[8:9], s[24:25], 2
	s_add_u32 s8, s12, s8
	s_addc_u32 s9, s13, s9
	s_load_dwordx2 s[26:27], s[8:9], 0x0
	v_mov_b32_e32 v1, 0
	v_mov_b32_e32 v2, 0
	s_waitcnt lgkmcnt(0)
	s_sub_i32 s11, s27, s10
	v_add_u32_e32 v0, s26, v11
	v_cmp_gt_i32_e32 vcc, s11, v0
	s_and_saveexec_b64 s[26:27], vcc
	s_cbranch_execz .LBB93_12
; %bb.9:                                ;   in Loop: Header=BB93_8 Depth=1
	v_ashrrev_i32_e32 v1, 31, v0
	v_lshlrev_b64 v[1:2], 2, v[0:1]
	v_mov_b32_e32 v3, s15
	v_add_co_u32_e32 v6, vcc, s14, v1
	v_addc_co_u32_e32 v7, vcc, v3, v2, vcc
	v_mov_b32_e32 v3, s17
	v_add_co_u32_e32 v8, vcc, s16, v1
	v_addc_co_u32_e32 v9, vcc, v3, v2, vcc
	v_mov_b32_e32 v1, 0
	v_mov_b32_e32 v2, 0
	s_mov_b64 s[28:29], 0
.LBB93_10:                              ;   Parent Loop BB93_8 Depth=1
                                        ; =>  This Inner Loop Header: Depth=2
	global_load_dword v3, v[6:7], off
	global_load_dword v15, v[8:9], off
	v_mov_b32_e32 v16, s19
	v_add_u32_e32 v0, 0x100, v0
	v_cmp_le_i32_e64 s[8:9], s11, v0
	s_or_b64 s[28:29], s[8:9], s[28:29]
	s_waitcnt vmcnt(1)
	v_subrev_u32_e32 v13, s10, v3
	v_ashrrev_i32_e32 v14, 31, v13
	v_lshlrev_b64 v[13:14], 3, v[13:14]
	v_add_co_u32_e32 v13, vcc, s18, v13
	v_addc_co_u32_e32 v14, vcc, v16, v14, vcc
	global_load_dwordx2 v[13:14], v[13:14], off
	s_waitcnt vmcnt(1)
	v_cvt_f64_f32_e32 v[15:16], v15
	v_add_co_u32_e32 v6, vcc, 0x400, v6
	v_addc_co_u32_e32 v7, vcc, 0, v7, vcc
	v_add_co_u32_e32 v8, vcc, 0x400, v8
	v_addc_co_u32_e32 v9, vcc, 0, v9, vcc
	s_waitcnt vmcnt(0)
	v_fma_f64 v[1:2], v[15:16], v[13:14], v[1:2]
	s_andn2_b64 exec, exec, s[28:29]
	s_cbranch_execnz .LBB93_10
; %bb.11:                               ;   in Loop: Header=BB93_8 Depth=1
	s_or_b64 exec, exec, s[28:29]
.LBB93_12:                              ;   in Loop: Header=BB93_8 Depth=1
	s_or_b64 exec, exec, s[26:27]
	ds_write_b64 v10, v[1:2]
	s_waitcnt lgkmcnt(0)
	s_barrier
	ds_read2st64_b64 v[0:3], v10 offset1:4
	ds_read2st64_b64 v[6:9], v10 offset0:8 offset1:12
	s_waitcnt lgkmcnt(0)
	v_add_f64 v[2:3], v[2:3], v[6:7]
	v_add_f64 v[2:3], v[2:3], v[8:9]
	;; [unrolled: 1-line block ×3, first 2 shown]
	ds_write_b64 v10, v[0:1]
	s_waitcnt lgkmcnt(0)
	s_barrier
	s_and_saveexec_b64 s[8:9], s[0:1]
	s_cbranch_execz .LBB93_14
; %bb.13:                               ;   in Loop: Header=BB93_8 Depth=1
	ds_read2st64_b64 v[0:3], v10 offset1:1
	ds_read2st64_b64 v[6:9], v10 offset0:2 offset1:3
	s_waitcnt lgkmcnt(0)
	v_add_f64 v[2:3], v[2:3], v[6:7]
	v_add_f64 v[2:3], v[2:3], v[8:9]
	;; [unrolled: 1-line block ×3, first 2 shown]
	ds_write_b64 v10, v[0:1]
.LBB93_14:                              ;   in Loop: Header=BB93_8 Depth=1
	s_or_b64 exec, exec, s[8:9]
	s_waitcnt lgkmcnt(0)
	s_barrier
	s_and_saveexec_b64 s[8:9], s[2:3]
	s_cbranch_execz .LBB93_16
; %bb.15:                               ;   in Loop: Header=BB93_8 Depth=1
	ds_read2_b64 v[0:3], v10 offset1:16
	ds_read2_b64 v[6:9], v10 offset0:32 offset1:48
	s_waitcnt lgkmcnt(0)
	v_add_f64 v[2:3], v[2:3], v[6:7]
	v_add_f64 v[2:3], v[2:3], v[8:9]
	;; [unrolled: 1-line block ×3, first 2 shown]
	ds_write_b64 v10, v[0:1]
.LBB93_16:                              ;   in Loop: Header=BB93_8 Depth=1
	s_or_b64 exec, exec, s[8:9]
	s_waitcnt lgkmcnt(0)
	s_barrier
	s_and_saveexec_b64 s[8:9], s[4:5]
	s_cbranch_execz .LBB93_18
; %bb.17:                               ;   in Loop: Header=BB93_8 Depth=1
	ds_read2_b64 v[0:3], v10 offset1:4
	ds_read2_b64 v[6:9], v10 offset0:8 offset1:12
	s_waitcnt lgkmcnt(0)
	v_add_f64 v[2:3], v[2:3], v[6:7]
	v_add_f64 v[2:3], v[2:3], v[8:9]
	;; [unrolled: 1-line block ×3, first 2 shown]
	ds_write_b64 v10, v[0:1]
.LBB93_18:                              ;   in Loop: Header=BB93_8 Depth=1
	s_or_b64 exec, exec, s[8:9]
	s_waitcnt lgkmcnt(0)
	s_barrier
	s_and_saveexec_b64 s[8:9], s[6:7]
	s_cbranch_execz .LBB93_20
; %bb.19:                               ;   in Loop: Header=BB93_8 Depth=1
	ds_read2_b64 v[0:3], v12 offset0:1 offset1:2
	ds_read_b64 v[6:7], v10
	s_waitcnt lgkmcnt(1)
	v_add_f64 v[0:1], v[0:1], v[2:3]
	ds_read_b64 v[2:3], v12 offset:24
	s_waitcnt lgkmcnt(0)
	v_add_f64 v[0:1], v[0:1], v[2:3]
	v_add_f64 v[0:1], v[6:7], v[0:1]
	ds_write_b64 v10, v[0:1]
.LBB93_20:                              ;   in Loop: Header=BB93_8 Depth=1
	s_or_b64 exec, exec, s[8:9]
	s_waitcnt lgkmcnt(0)
	s_barrier
	s_and_saveexec_b64 s[8:9], s[6:7]
	s_cbranch_execz .LBB93_7
; %bb.21:                               ;   in Loop: Header=BB93_8 Depth=1
	ds_read_b64 v[0:1], v12
	v_mov_b32_e32 v6, 0
	s_mov_b64 s[26:27], exec
	v_bfrev_b32_e32 v7, 1
	s_waitcnt lgkmcnt(0)
	v_mul_f64 v[0:1], v[4:5], v[0:1]
.LBB93_22:                              ;   Parent Loop BB93_8 Depth=1
                                        ; =>  This Inner Loop Header: Depth=2
	s_ff1_i32_b64 s11, s[26:27]
	v_readlane_b32 s29, v1, s11
	v_readlane_b32 s28, v0, s11
	v_add_f64 v[6:7], v[6:7], s[28:29]
	s_lshl_b64 s[28:29], 1, s11
	s_andn2_b64 s[26:27], s[26:27], s[28:29]
	s_cmp_lg_u64 s[26:27], 0
	s_cbranch_scc1 .LBB93_22
; %bb.23:                               ;   in Loop: Header=BB93_8 Depth=1
	v_mbcnt_lo_u32_b32 v0, exec_lo, 0
	v_mbcnt_hi_u32_b32 v0, exec_hi, v0
	v_cmp_eq_u32_e32 vcc, 0, v0
	s_and_saveexec_b64 s[26:27], vcc
	s_xor_b64 s[26:27], exec, s[26:27]
	s_cbranch_execz .LBB93_7
; %bb.24:                               ;   in Loop: Header=BB93_8 Depth=1
	s_lshl_b64 s[26:27], s[24:25], 3
	s_add_u32 s26, s22, s26
	s_addc_u32 s27, s23, s27
	global_load_dwordx2 v[2:3], v12, s[26:27]
	s_mov_b64 s[28:29], 0
.LBB93_25:                              ;   Parent Loop BB93_8 Depth=1
                                        ; =>  This Inner Loop Header: Depth=2
	s_waitcnt vmcnt(0)
	v_add_f64 v[0:1], v[2:3], v[6:7]
	global_atomic_cmpswap_x2 v[0:1], v12, v[0:3], s[26:27] glc
	s_waitcnt vmcnt(0)
	v_cmp_eq_u64_e32 vcc, v[0:1], v[2:3]
	v_mov_b32_e32 v3, v1
	s_or_b64 s[28:29], vcc, s[28:29]
	v_mov_b32_e32 v2, v0
	s_andn2_b64 exec, exec, s[28:29]
	s_cbranch_execnz .LBB93_25
; %bb.26:                               ;   in Loop: Header=BB93_8 Depth=1
	s_or_b64 exec, exec, s[28:29]
	s_branch .LBB93_7
.LBB93_27:
	s_ashr_i32 s1, s20, 31
	s_mov_b32 s0, s20
	s_lshl_b64 s[0:1], s[0:1], 2
	s_add_u32 s0, s12, s0
	s_addc_u32 s1, s13, s1
	s_ashr_i32 s3, s21, 31
	s_mov_b32 s2, s21
	s_lshl_b64 s[2:3], s[2:3], 2
	s_add_u32 s2, s12, s2
	s_addc_u32 s3, s13, s3
	s_load_dword s4, s[2:3], 0x0
	s_load_dword s5, s[0:1], 0x0
	s_waitcnt lgkmcnt(0)
	s_sub_i32 s8, s4, s10
	v_add_u32_e32 v6, s5, v11
	v_cmp_gt_i32_e32 vcc, s8, v6
	s_and_b64 exec, exec, vcc
	s_cbranch_execz .LBB93_37
; %bb.28:
	s_add_i32 s9, s21, -1
	s_cmp_lt_i32 s20, s9
	s_cselect_b64 s[0:1], -1, 0
	s_add_i32 s2, s21, -2
	s_cmp_lg_u32 s20, s2
	s_cselect_b64 s[2:3], -1, 0
	s_and_b64 s[0:1], s[0:1], s[2:3]
	v_cndmask_b32_e64 v0, 0, 1, s[0:1]
	s_mov_b64 s[4:5], 0
	v_cmp_ne_u32_e64 s[0:1], 1, v0
	v_mov_b32_e32 v11, s13
	v_mov_b32_e32 v12, s15
	s_branch .LBB93_30
.LBB93_29:                              ;   in Loop: Header=BB93_30 Depth=1
	s_or_b64 exec, exec, s[2:3]
	v_add_u32_e32 v6, 0x100, v6
	v_cmp_le_i32_e32 vcc, s8, v6
	s_or_b64 s[4:5], vcc, s[4:5]
	s_andn2_b64 exec, exec, s[4:5]
	s_cbranch_execz .LBB93_37
.LBB93_30:                              ; =>This Loop Header: Depth=1
                                        ;     Child Loop BB93_32 Depth 2
                                        ;     Child Loop BB93_36 Depth 2
	s_and_b64 vcc, exec, s[0:1]
	v_mov_b32_e32 v8, s20
	v_mov_b32_e32 v0, s9
	s_cbranch_vccnz .LBB93_34
; %bb.31:                               ;   in Loop: Header=BB93_30 Depth=1
	s_mov_b64 s[6:7], 0
	v_mov_b32_e32 v8, s20
	v_mov_b32_e32 v0, s9
.LBB93_32:                              ;   Parent Loop BB93_30 Depth=1
                                        ; =>  This Inner Loop Header: Depth=2
	v_add_u32_e32 v1, v0, v8
	v_lshrrev_b32_e32 v2, 31, v1
	v_add_u32_e32 v1, v1, v2
	v_ashrrev_i32_e32 v1, 1, v1
	v_ashrrev_i32_e32 v2, 31, v1
	v_lshlrev_b64 v[2:3], 2, v[1:2]
	v_mov_b32_e32 v7, s13
	v_add_co_u32_e32 v2, vcc, s12, v2
	v_addc_co_u32_e32 v3, vcc, v7, v3, vcc
	global_load_dword v2, v[2:3], off
	s_waitcnt vmcnt(0)
	v_subrev_u32_e32 v2, s10, v2
	v_cmp_lt_i32_e32 vcc, v6, v2
	v_cndmask_b32_e32 v0, v0, v1, vcc
	v_cndmask_b32_e32 v8, v1, v8, vcc
	v_add_u32_e32 v1, -1, v0
	v_cmp_ge_i32_e32 vcc, v8, v0
	v_cmp_eq_u32_e64 s[2:3], v8, v1
	s_or_b64 s[2:3], vcc, s[2:3]
	s_and_b64 s[2:3], exec, s[2:3]
	s_or_b64 s[6:7], s[2:3], s[6:7]
	s_andn2_b64 exec, exec, s[6:7]
	s_cbranch_execnz .LBB93_32
; %bb.33:                               ;   in Loop: Header=BB93_30 Depth=1
	s_or_b64 exec, exec, s[6:7]
.LBB93_34:                              ;   in Loop: Header=BB93_30 Depth=1
	v_ashrrev_i32_e32 v1, 31, v0
	v_lshlrev_b64 v[1:2], 2, v[0:1]
	v_ashrrev_i32_e32 v7, 31, v6
	v_add_co_u32_e32 v1, vcc, s12, v1
	v_addc_co_u32_e32 v2, vcc, v11, v2, vcc
	global_load_dword v1, v[1:2], off
	v_lshlrev_b64 v[2:3], 2, v[6:7]
	v_add_co_u32_e32 v9, vcc, s14, v2
	v_addc_co_u32_e32 v10, vcc, v12, v3, vcc
	global_load_dword v7, v[9:10], off
	s_waitcnt vmcnt(1)
	v_subrev_u32_e32 v1, s10, v1
	v_cmp_lt_i32_e32 vcc, v6, v1
	v_cndmask_b32_e32 v1, v0, v8, vcc
	s_waitcnt vmcnt(0)
	v_subrev_u32_e32 v0, s10, v7
	v_cmp_ne_u32_e32 vcc, v0, v1
	s_and_saveexec_b64 s[2:3], vcc
	s_cbranch_execz .LBB93_29
; %bb.35:                               ;   in Loop: Header=BB93_30 Depth=1
	v_mov_b32_e32 v7, s17
	v_add_co_u32_e32 v2, vcc, s16, v2
	v_addc_co_u32_e32 v3, vcc, v7, v3, vcc
	global_load_dword v13, v[2:3], off
	v_ashrrev_i32_e32 v2, 31, v1
	v_lshlrev_b64 v[1:2], 3, v[1:2]
	v_mov_b32_e32 v3, s19
	v_add_co_u32_e32 v1, vcc, s18, v1
	v_addc_co_u32_e32 v2, vcc, v3, v2, vcc
	global_load_dwordx2 v[9:10], v[1:2], off
	v_ashrrev_i32_e32 v1, 31, v0
	v_lshlrev_b64 v[0:1], 3, v[0:1]
	v_mov_b32_e32 v2, s23
	v_add_co_u32_e32 v7, vcc, s22, v0
	v_addc_co_u32_e32 v8, vcc, v2, v1, vcc
	global_load_dwordx2 v[2:3], v[7:8], off
	s_mov_b64 s[6:7], 0
	s_waitcnt vmcnt(2)
	v_cvt_f64_f32_e32 v[0:1], v13
	v_mul_f64 v[0:1], v[4:5], v[0:1]
	s_waitcnt vmcnt(1)
	v_mul_f64 v[9:10], v[9:10], v[0:1]
.LBB93_36:                              ;   Parent Loop BB93_30 Depth=1
                                        ; =>  This Inner Loop Header: Depth=2
	s_waitcnt vmcnt(0)
	v_add_f64 v[0:1], v[2:3], v[9:10]
	global_atomic_cmpswap_x2 v[0:1], v[7:8], v[0:3], off glc
	s_waitcnt vmcnt(0)
	v_cmp_eq_u64_e32 vcc, v[0:1], v[2:3]
	v_mov_b32_e32 v3, v1
	s_or_b64 s[6:7], vcc, s[6:7]
	v_mov_b32_e32 v2, v0
	s_andn2_b64 exec, exec, s[6:7]
	s_cbranch_execnz .LBB93_36
	s_branch .LBB93_29
.LBB93_37:
	s_endpgm
	.section	.rodata,"a",@progbits
	.p2align	6, 0x0
	.amdhsa_kernel _ZL33csrmvn_symm_large_adaptive_kernelIiifdddEvbT_PKS0_N9rocsparse24const_host_device_scalarIT4_EES2_PKT0_PKT1_PKT2_S6_PT3_21rocsparse_index_base_b
		.amdhsa_group_segment_fixed_size 8192
		.amdhsa_private_segment_fixed_size 0
		.amdhsa_kernarg_size 80
		.amdhsa_user_sgpr_count 6
		.amdhsa_user_sgpr_private_segment_buffer 1
		.amdhsa_user_sgpr_dispatch_ptr 0
		.amdhsa_user_sgpr_queue_ptr 0
		.amdhsa_user_sgpr_kernarg_segment_ptr 1
		.amdhsa_user_sgpr_dispatch_id 0
		.amdhsa_user_sgpr_flat_scratch_init 0
		.amdhsa_user_sgpr_private_segment_size 0
		.amdhsa_uses_dynamic_stack 0
		.amdhsa_system_sgpr_private_segment_wavefront_offset 0
		.amdhsa_system_sgpr_workgroup_id_x 1
		.amdhsa_system_sgpr_workgroup_id_y 0
		.amdhsa_system_sgpr_workgroup_id_z 0
		.amdhsa_system_sgpr_workgroup_info 0
		.amdhsa_system_vgpr_workitem_id 0
		.amdhsa_next_free_vgpr 29
		.amdhsa_next_free_sgpr 61
		.amdhsa_reserve_vcc 1
		.amdhsa_reserve_flat_scratch 0
		.amdhsa_float_round_mode_32 0
		.amdhsa_float_round_mode_16_64 0
		.amdhsa_float_denorm_mode_32 3
		.amdhsa_float_denorm_mode_16_64 3
		.amdhsa_dx10_clamp 1
		.amdhsa_ieee_mode 1
		.amdhsa_fp16_overflow 0
		.amdhsa_exception_fp_ieee_invalid_op 0
		.amdhsa_exception_fp_denorm_src 0
		.amdhsa_exception_fp_ieee_div_zero 0
		.amdhsa_exception_fp_ieee_overflow 0
		.amdhsa_exception_fp_ieee_underflow 0
		.amdhsa_exception_fp_ieee_inexact 0
		.amdhsa_exception_int_div_zero 0
	.end_amdhsa_kernel
	.section	.text._ZL33csrmvn_symm_large_adaptive_kernelIiifdddEvbT_PKS0_N9rocsparse24const_host_device_scalarIT4_EES2_PKT0_PKT1_PKT2_S6_PT3_21rocsparse_index_base_b,"axG",@progbits,_ZL33csrmvn_symm_large_adaptive_kernelIiifdddEvbT_PKS0_N9rocsparse24const_host_device_scalarIT4_EES2_PKT0_PKT1_PKT2_S6_PT3_21rocsparse_index_base_b,comdat
.Lfunc_end93:
	.size	_ZL33csrmvn_symm_large_adaptive_kernelIiifdddEvbT_PKS0_N9rocsparse24const_host_device_scalarIT4_EES2_PKT0_PKT1_PKT2_S6_PT3_21rocsparse_index_base_b, .Lfunc_end93-_ZL33csrmvn_symm_large_adaptive_kernelIiifdddEvbT_PKS0_N9rocsparse24const_host_device_scalarIT4_EES2_PKT0_PKT1_PKT2_S6_PT3_21rocsparse_index_base_b
                                        ; -- End function
	.set _ZL33csrmvn_symm_large_adaptive_kernelIiifdddEvbT_PKS0_N9rocsparse24const_host_device_scalarIT4_EES2_PKT0_PKT1_PKT2_S6_PT3_21rocsparse_index_base_b.num_vgpr, 17
	.set _ZL33csrmvn_symm_large_adaptive_kernelIiifdddEvbT_PKS0_N9rocsparse24const_host_device_scalarIT4_EES2_PKT0_PKT1_PKT2_S6_PT3_21rocsparse_index_base_b.num_agpr, 0
	.set _ZL33csrmvn_symm_large_adaptive_kernelIiifdddEvbT_PKS0_N9rocsparse24const_host_device_scalarIT4_EES2_PKT0_PKT1_PKT2_S6_PT3_21rocsparse_index_base_b.numbered_sgpr, 30
	.set _ZL33csrmvn_symm_large_adaptive_kernelIiifdddEvbT_PKS0_N9rocsparse24const_host_device_scalarIT4_EES2_PKT0_PKT1_PKT2_S6_PT3_21rocsparse_index_base_b.num_named_barrier, 0
	.set _ZL33csrmvn_symm_large_adaptive_kernelIiifdddEvbT_PKS0_N9rocsparse24const_host_device_scalarIT4_EES2_PKT0_PKT1_PKT2_S6_PT3_21rocsparse_index_base_b.private_seg_size, 0
	.set _ZL33csrmvn_symm_large_adaptive_kernelIiifdddEvbT_PKS0_N9rocsparse24const_host_device_scalarIT4_EES2_PKT0_PKT1_PKT2_S6_PT3_21rocsparse_index_base_b.uses_vcc, 1
	.set _ZL33csrmvn_symm_large_adaptive_kernelIiifdddEvbT_PKS0_N9rocsparse24const_host_device_scalarIT4_EES2_PKT0_PKT1_PKT2_S6_PT3_21rocsparse_index_base_b.uses_flat_scratch, 0
	.set _ZL33csrmvn_symm_large_adaptive_kernelIiifdddEvbT_PKS0_N9rocsparse24const_host_device_scalarIT4_EES2_PKT0_PKT1_PKT2_S6_PT3_21rocsparse_index_base_b.has_dyn_sized_stack, 0
	.set _ZL33csrmvn_symm_large_adaptive_kernelIiifdddEvbT_PKS0_N9rocsparse24const_host_device_scalarIT4_EES2_PKT0_PKT1_PKT2_S6_PT3_21rocsparse_index_base_b.has_recursion, 0
	.set _ZL33csrmvn_symm_large_adaptive_kernelIiifdddEvbT_PKS0_N9rocsparse24const_host_device_scalarIT4_EES2_PKT0_PKT1_PKT2_S6_PT3_21rocsparse_index_base_b.has_indirect_call, 0
	.section	.AMDGPU.csdata,"",@progbits
; Kernel info:
; codeLenInByte = 1684
; TotalNumSgprs: 34
; NumVgprs: 17
; ScratchSize: 0
; MemoryBound: 0
; FloatMode: 240
; IeeeMode: 1
; LDSByteSize: 8192 bytes/workgroup (compile time only)
; SGPRBlocks: 8
; VGPRBlocks: 7
; NumSGPRsForWavesPerEU: 65
; NumVGPRsForWavesPerEU: 29
; Occupancy: 8
; WaveLimiterHint : 1
; COMPUTE_PGM_RSRC2:SCRATCH_EN: 0
; COMPUTE_PGM_RSRC2:USER_SGPR: 6
; COMPUTE_PGM_RSRC2:TRAP_HANDLER: 0
; COMPUTE_PGM_RSRC2:TGID_X_EN: 1
; COMPUTE_PGM_RSRC2:TGID_Y_EN: 0
; COMPUTE_PGM_RSRC2:TGID_Z_EN: 0
; COMPUTE_PGM_RSRC2:TIDIG_COMP_CNT: 0
	.section	.text._ZN9rocsparseL22csrmvn_adaptive_kernelIlifdddEEvbT_PKS1_PjPKT0_NS_24const_host_device_scalarIT4_EES3_S7_PKT1_PKT2_SA_PT3_21rocsparse_index_base_b,"axG",@progbits,_ZN9rocsparseL22csrmvn_adaptive_kernelIlifdddEEvbT_PKS1_PjPKT0_NS_24const_host_device_scalarIT4_EES3_S7_PKT1_PKT2_SA_PT3_21rocsparse_index_base_b,comdat
	.globl	_ZN9rocsparseL22csrmvn_adaptive_kernelIlifdddEEvbT_PKS1_PjPKT0_NS_24const_host_device_scalarIT4_EES3_S7_PKT1_PKT2_SA_PT3_21rocsparse_index_base_b ; -- Begin function _ZN9rocsparseL22csrmvn_adaptive_kernelIlifdddEEvbT_PKS1_PjPKT0_NS_24const_host_device_scalarIT4_EES3_S7_PKT1_PKT2_SA_PT3_21rocsparse_index_base_b
	.p2align	8
	.type	_ZN9rocsparseL22csrmvn_adaptive_kernelIlifdddEEvbT_PKS1_PjPKT0_NS_24const_host_device_scalarIT4_EES3_S7_PKT1_PKT2_SA_PT3_21rocsparse_index_base_b,@function
_ZN9rocsparseL22csrmvn_adaptive_kernelIlifdddEEvbT_PKS1_PjPKT0_NS_24const_host_device_scalarIT4_EES3_S7_PKT1_PKT2_SA_PT3_21rocsparse_index_base_b: ; @_ZN9rocsparseL22csrmvn_adaptive_kernelIlifdddEEvbT_PKS1_PjPKT0_NS_24const_host_device_scalarIT4_EES3_S7_PKT1_PKT2_SA_PT3_21rocsparse_index_base_b
; %bb.0:
	s_load_dwordx2 s[44:45], s[4:5], 0x60
	s_load_dwordx2 s[8:9], s[4:5], 0x28
	;; [unrolled: 1-line block ×3, first 2 shown]
	s_waitcnt lgkmcnt(0)
	s_bitcmp1_b32 s45, 0
	s_cselect_b64 s[10:11], -1, 0
	v_mov_b32_e32 v7, s8
	s_xor_b64 s[2:3], s[10:11], -1
	s_and_b64 vcc, exec, s[10:11]
	v_mov_b32_e32 v8, s9
	s_cbranch_vccnz .LBB94_2
; %bb.1:
	v_mov_b32_e32 v1, s8
	v_mov_b32_e32 v2, s9
	flat_load_dwordx2 v[7:8], v[1:2]
.LBB94_2:
	v_mov_b32_e32 v6, s1
	s_andn2_b64 vcc, exec, s[2:3]
	v_mov_b32_e32 v5, s0
	s_cbranch_vccnz .LBB94_4
; %bb.3:
	v_mov_b32_e32 v2, s1
	v_mov_b32_e32 v1, s0
	flat_load_dwordx2 v[5:6], v[1:2]
.LBB94_4:
	s_waitcnt vmcnt(0) lgkmcnt(0)
	v_cmp_neq_f64_e32 vcc, 0, v[7:8]
	v_cmp_neq_f64_e64 s[0:1], 1.0, v[5:6]
	s_or_b64 s[0:1], vcc, s[0:1]
	s_and_saveexec_b64 s[2:3], s[0:1]
	s_cbranch_execz .LBB94_116
; %bb.5:
	s_load_dwordx2 s[0:1], s[4:5], 0x10
	s_load_dwordx2 s[8:9], s[4:5], 0x20
	s_ashr_i32 s7, s6, 31
	s_lshl_b64 s[2:3], s[6:7], 3
	s_waitcnt lgkmcnt(0)
	s_add_u32 s0, s0, s2
	s_addc_u32 s1, s1, s3
	s_load_dwordx4 s[36:39], s[0:1], 0x0
	s_load_dwordx2 s[34:35], s[4:5], 0x58
	s_load_dwordx8 s[24:31], s[4:5], 0x30
	s_lshl_b64 s[48:49], s[6:7], 2
	s_waitcnt lgkmcnt(0)
	s_sub_i32 s2, s38, s36
	s_add_u32 s0, s8, s48
	s_addc_u32 s1, s9, s49
	s_lshl_b64 s[46:47], s[36:37], 3
	s_add_u32 s40, s24, s46
	s_addc_u32 s41, s25, s47
	s_load_dword s33, s[0:1], 0x0
	s_load_dwordx2 s[42:43], s[40:41], 0x0
	s_cmp_lt_i32 s2, 2
	s_mov_b64 s[0:1], -1
	s_cbranch_scc0 .LBB94_72
; %bb.6:
	s_cmp_lg_u32 s2, 1
	s_cselect_b64 s[0:1], -1, 0
	s_waitcnt lgkmcnt(0)
	s_cmp_lg_u32 s33, 0
	s_cselect_b64 s[2:3], -1, 0
	s_or_b64 s[2:3], s[0:1], s[2:3]
	s_mov_b64 s[0:1], -1
	s_and_b64 vcc, exec, s[2:3]
	s_cbranch_vccnz .LBB94_35
; %bb.7:
	v_mov_b32_e32 v1, s36
	v_mov_b32_e32 v2, s37
	v_cmp_le_i64_e32 vcc, s[38:39], v[1:2]
	s_cbranch_vccnz .LBB94_34
; %bb.8:
	v_cmp_neq_f64_e64 s[12:13], 0, v[5:6]
	v_subrev_co_u32_e32 v16, vcc, s44, v0
	v_subb_co_u32_e64 v17, s[0:1], 0, 0, vcc
	s_movk_i32 s0, 0x80
	v_mov_b32_e32 v1, s38
	v_mov_b32_e32 v15, 0
	v_lshlrev_b32_e32 v18, 3, v0
	v_cmp_gt_u32_e64 s[0:1], s0, v0
	v_cmp_gt_u32_e64 s[2:3], 64, v0
	;; [unrolled: 1-line block ×7, first 2 shown]
	v_cmp_eq_u32_e64 s[20:21], 0, v0
	v_mov_b32_e32 v2, s39
	s_movk_i32 s7, 0x100
	s_mov_b64 s[50:51], s[36:37]
	s_branch .LBB94_11
.LBB94_9:                               ;   in Loop: Header=BB94_11 Depth=1
	s_or_b64 exec, exec, s[54:55]
	s_add_u32 s52, s34, s52
	s_addc_u32 s53, s35, s53
	s_waitcnt lgkmcnt(0)
	global_store_dwordx2 v15, v[3:4], s[52:53]
.LBB94_10:                              ;   in Loop: Header=BB94_11 Depth=1
	s_or_b64 exec, exec, s[22:23]
	s_add_u32 s50, s50, 1
	s_addc_u32 s51, s51, 0
	v_cmp_ge_i64_e32 vcc, s[50:51], v[1:2]
	s_cbranch_vccnz .LBB94_34
.LBB94_11:                              ; =>This Loop Header: Depth=1
                                        ;     Child Loop BB94_13 Depth 2
	s_lshl_b64 s[52:53], s[50:51], 3
	s_add_u32 s22, s24, s52
	s_addc_u32 s23, s25, s53
	s_load_dwordx4 s[56:59], s[22:23], 0x0
	v_mov_b32_e32 v9, 0
	v_mov_b32_e32 v10, 0
	s_waitcnt lgkmcnt(0)
	s_sub_u32 s54, s58, s44
	v_mov_b32_e32 v4, s57
	v_add_co_u32_e32 v3, vcc, s56, v16
	s_subb_u32 s55, s59, 0
	v_addc_co_u32_e32 v4, vcc, v4, v17, vcc
	v_cmp_gt_i64_e32 vcc, s[54:55], v[3:4]
	s_and_saveexec_b64 s[56:57], vcc
	s_cbranch_execz .LBB94_15
; %bb.12:                               ;   in Loop: Header=BB94_11 Depth=1
	v_lshlrev_b64 v[9:10], 2, v[3:4]
	v_mov_b32_e32 v12, s29
	v_add_co_u32_e32 v11, vcc, s28, v9
	v_addc_co_u32_e32 v12, vcc, v12, v10, vcc
	v_mov_b32_e32 v14, s27
	v_add_co_u32_e32 v13, vcc, s26, v9
	v_addc_co_u32_e32 v14, vcc, v14, v10, vcc
	v_mov_b32_e32 v9, 0
	v_mov_b32_e32 v10, 0
	s_mov_b64 s[58:59], 0
.LBB94_13:                              ;   Parent Loop BB94_11 Depth=1
                                        ; =>  This Inner Loop Header: Depth=2
	global_load_dword v19, v[13:14], off
	global_load_dword v21, v[11:12], off
	v_mov_b32_e32 v22, s31
	s_waitcnt vmcnt(1)
	v_subrev_u32_e32 v19, s44, v19
	v_ashrrev_i32_e32 v20, 31, v19
	v_lshlrev_b64 v[19:20], 3, v[19:20]
	v_add_co_u32_e32 v19, vcc, s30, v19
	v_addc_co_u32_e32 v20, vcc, v22, v20, vcc
	global_load_dwordx2 v[19:20], v[19:20], off
	s_waitcnt vmcnt(1)
	v_cvt_f64_f32_e32 v[21:22], v21
	v_add_co_u32_e32 v3, vcc, s7, v3
	v_addc_co_u32_e32 v4, vcc, 0, v4, vcc
	v_mul_f64 v[21:22], v[7:8], v[21:22]
	v_add_co_u32_e32 v11, vcc, 0x400, v11
	v_addc_co_u32_e32 v12, vcc, 0, v12, vcc
	v_cmp_le_i64_e64 s[22:23], s[54:55], v[3:4]
	v_add_co_u32_e32 v13, vcc, 0x400, v13
	s_or_b64 s[58:59], s[22:23], s[58:59]
	v_addc_co_u32_e32 v14, vcc, 0, v14, vcc
	s_waitcnt vmcnt(0)
	v_fma_f64 v[9:10], v[21:22], v[19:20], v[9:10]
	s_andn2_b64 exec, exec, s[58:59]
	s_cbranch_execnz .LBB94_13
; %bb.14:                               ;   in Loop: Header=BB94_11 Depth=1
	s_or_b64 exec, exec, s[58:59]
.LBB94_15:                              ;   in Loop: Header=BB94_11 Depth=1
	s_or_b64 exec, exec, s[56:57]
	ds_write_b64 v18, v[9:10]
	s_waitcnt vmcnt(0) lgkmcnt(0)
	s_barrier
	s_and_saveexec_b64 s[22:23], s[0:1]
	s_cbranch_execz .LBB94_17
; %bb.16:                               ;   in Loop: Header=BB94_11 Depth=1
	ds_read2st64_b64 v[9:12], v18 offset1:2
	s_waitcnt lgkmcnt(0)
	v_add_f64 v[3:4], v[9:10], v[11:12]
	ds_write_b64 v18, v[3:4]
.LBB94_17:                              ;   in Loop: Header=BB94_11 Depth=1
	s_or_b64 exec, exec, s[22:23]
	s_waitcnt lgkmcnt(0)
	s_barrier
	s_and_saveexec_b64 s[22:23], s[2:3]
	s_cbranch_execz .LBB94_19
; %bb.18:                               ;   in Loop: Header=BB94_11 Depth=1
	ds_read2st64_b64 v[9:12], v18 offset1:1
	s_waitcnt lgkmcnt(0)
	v_add_f64 v[3:4], v[9:10], v[11:12]
	ds_write_b64 v18, v[3:4]
.LBB94_19:                              ;   in Loop: Header=BB94_11 Depth=1
	s_or_b64 exec, exec, s[22:23]
	s_waitcnt lgkmcnt(0)
	s_barrier
	s_and_saveexec_b64 s[22:23], s[8:9]
	s_cbranch_execz .LBB94_21
; %bb.20:                               ;   in Loop: Header=BB94_11 Depth=1
	ds_read2_b64 v[9:12], v18 offset1:32
	s_waitcnt lgkmcnt(0)
	v_add_f64 v[3:4], v[9:10], v[11:12]
	ds_write_b64 v18, v[3:4]
.LBB94_21:                              ;   in Loop: Header=BB94_11 Depth=1
	s_or_b64 exec, exec, s[22:23]
	s_waitcnt lgkmcnt(0)
	s_barrier
	s_and_saveexec_b64 s[22:23], s[10:11]
	s_cbranch_execz .LBB94_23
; %bb.22:                               ;   in Loop: Header=BB94_11 Depth=1
	ds_read2_b64 v[9:12], v18 offset1:16
	s_waitcnt lgkmcnt(0)
	v_add_f64 v[3:4], v[9:10], v[11:12]
	ds_write_b64 v18, v[3:4]
.LBB94_23:                              ;   in Loop: Header=BB94_11 Depth=1
	;; [unrolled: 11-line block ×5, first 2 shown]
	s_or_b64 exec, exec, s[22:23]
	s_waitcnt lgkmcnt(0)
	s_barrier
	s_and_saveexec_b64 s[22:23], s[20:21]
	s_cbranch_execz .LBB94_31
; %bb.30:                               ;   in Loop: Header=BB94_11 Depth=1
	ds_read_b128 v[9:12], v15
	s_waitcnt lgkmcnt(0)
	v_add_f64 v[3:4], v[9:10], v[11:12]
	ds_write_b64 v15, v[3:4]
.LBB94_31:                              ;   in Loop: Header=BB94_11 Depth=1
	s_or_b64 exec, exec, s[22:23]
	s_waitcnt lgkmcnt(0)
	s_barrier
	s_and_saveexec_b64 s[22:23], s[20:21]
	s_cbranch_execz .LBB94_10
; %bb.32:                               ;   in Loop: Header=BB94_11 Depth=1
	ds_read_b64 v[3:4], v15
	s_and_saveexec_b64 s[54:55], s[12:13]
	s_cbranch_execz .LBB94_9
; %bb.33:                               ;   in Loop: Header=BB94_11 Depth=1
	s_add_u32 s56, s34, s52
	s_addc_u32 s57, s35, s53
	global_load_dwordx2 v[9:10], v15, s[56:57]
	s_waitcnt vmcnt(0) lgkmcnt(0)
	v_fma_f64 v[3:4], v[5:6], v[9:10], v[3:4]
	s_branch .LBB94_9
.LBB94_34:
	s_mov_b64 s[0:1], 0
.LBB94_35:
	s_andn2_b64 vcc, exec, s[0:1]
	s_cbranch_vccnz .LBB94_71
; %bb.36:
	s_load_dwordx2 s[8:9], s[4:5], 0x18
	s_sub_i32 s6, s6, s33
	v_mov_b32_e32 v3, 0
	v_or_b32_e32 v4, s33, v0
	v_mov_b32_e32 v1, 0
	s_waitcnt lgkmcnt(0)
	s_add_u32 s2, s8, s48
	s_addc_u32 s3, s9, s49
	global_load_dword v13, v3, s[2:3]
	v_mov_b32_e32 v2, 0
	v_cmp_eq_u32_e32 vcc, 0, v4
	s_and_saveexec_b64 s[0:1], vcc
	s_cbranch_execz .LBB94_40
; %bb.37:
	s_add_u32 s12, s34, s46
	s_addc_u32 s13, s35, s47
	global_load_dwordx2 v[1:2], v3, s[12:13]
	v_add_f64 v[3:4], v[5:6], -1.0
	s_mov_b64 s[10:11], exec
	v_mbcnt_lo_u32_b32 v9, s10, 0
	v_mbcnt_hi_u32_b32 v9, s11, v9
	v_cmp_eq_u32_e32 vcc, 0, v9
	s_waitcnt vmcnt(0) expcnt(0) lgkmcnt(0)
	s_and_saveexec_b64 s[12:13], vcc
	s_cbranch_execz .LBB94_39
; %bb.38:
	s_ashr_i32 s7, s6, 31
	s_lshl_b64 s[14:15], s[6:7], 2
	s_add_u32 s14, s8, s14
	s_addc_u32 s15, s9, s15
	s_bcnt1_i32_b64 s7, s[10:11]
	s_and_b32 s7, s7, 1
	v_mov_b32_e32 v9, 0
	v_mov_b32_e32 v10, s7
	global_atomic_xor v9, v10, s[14:15]
.LBB94_39:
	s_or_b64 exec, exec, s[12:13]
	v_mul_f64 v[1:2], v[3:4], v[1:2]
.LBB94_40:
	s_or_b64 exec, exec, s[0:1]
	s_load_dwordx2 s[0:1], s[40:41], 0x8
	s_sub_u32 s11, s42, s44
	s_mul_i32 s7, s33, 0xc00
	s_subb_u32 s12, s43, 0
	s_mul_hi_i32 s10, s33, 0xc00
	s_add_u32 s7, s11, s7
	s_addc_u32 s12, s12, s10
	s_waitcnt lgkmcnt(0)
	s_sub_u32 s0, s0, s44
	v_mov_b32_e32 v4, s12
	v_add_co_u32_e32 v3, vcc, s7, v0
	s_subb_u32 s1, s1, 0
	v_addc_co_u32_e32 v4, vcc, 0, v4, vcc
	v_cmp_gt_i64_e32 vcc, s[0:1], v[3:4]
	s_and_saveexec_b64 s[10:11], vcc
	s_cbranch_execz .LBB94_44
; %bb.41:
	s_add_u32 s14, s7, 0xc00
	v_mov_b32_e32 v10, s1
	s_addc_u32 s15, s12, 0
	v_mov_b32_e32 v9, s0
	v_cmp_lt_i64_e32 vcc, s[14:15], v[9:10]
	v_lshlrev_b64 v[11:12], 2, v[3:4]
	s_and_b64 s[12:13], vcc, exec
	v_mov_b32_e32 v10, s29
	v_add_co_u32_e32 v9, vcc, s28, v11
	v_addc_co_u32_e32 v10, vcc, v10, v12, vcc
	v_mov_b32_e32 v14, s27
	v_add_co_u32_e32 v11, vcc, s26, v11
	s_cselect_b32 s13, s15, s1
	s_cselect_b32 s12, s14, s0
	v_addc_co_u32_e32 v12, vcc, v14, v12, vcc
	s_mov_b64 s[14:15], 0
	v_mov_b32_e32 v14, s31
	s_movk_i32 s7, 0x100
.LBB94_42:                              ; =>This Inner Loop Header: Depth=1
	global_load_dword v15, v[11:12], off
	global_load_dword v17, v[9:10], off
	s_waitcnt vmcnt(1)
	v_subrev_u32_e32 v15, s44, v15
	v_ashrrev_i32_e32 v16, 31, v15
	v_lshlrev_b64 v[15:16], 3, v[15:16]
	s_waitcnt vmcnt(0)
	v_cvt_f64_f32_e32 v[17:18], v17
	v_add_co_u32_e32 v15, vcc, s30, v15
	v_addc_co_u32_e32 v16, vcc, v14, v16, vcc
	global_load_dwordx2 v[15:16], v[15:16], off
	v_mul_f64 v[17:18], v[7:8], v[17:18]
	v_add_co_u32_e32 v3, vcc, s7, v3
	v_addc_co_u32_e32 v4, vcc, 0, v4, vcc
	v_add_co_u32_e32 v9, vcc, 0x400, v9
	v_addc_co_u32_e32 v10, vcc, 0, v10, vcc
	v_cmp_le_i64_e64 s[0:1], s[12:13], v[3:4]
	v_add_co_u32_e32 v11, vcc, 0x400, v11
	s_or_b64 s[14:15], s[0:1], s[14:15]
	v_addc_co_u32_e32 v12, vcc, 0, v12, vcc
	s_waitcnt vmcnt(0)
	v_fma_f64 v[1:2], v[17:18], v[15:16], v[1:2]
	s_andn2_b64 exec, exec, s[14:15]
	s_cbranch_execnz .LBB94_42
; %bb.43:
	s_or_b64 exec, exec, s[14:15]
.LBB94_44:
	s_or_b64 exec, exec, s[10:11]
	s_movk_i32 s0, 0x80
	v_lshlrev_b32_e32 v3, 3, v0
	v_cmp_gt_u32_e32 vcc, s0, v0
	ds_write_b64 v3, v[1:2]
	s_waitcnt vmcnt(0) lgkmcnt(0)
	s_barrier
	s_and_saveexec_b64 s[0:1], vcc
	s_cbranch_execz .LBB94_46
; %bb.45:
	ds_read2st64_b64 v[9:12], v3 offset1:2
	s_waitcnt lgkmcnt(0)
	v_add_f64 v[1:2], v[9:10], v[11:12]
	ds_write_b64 v3, v[1:2]
.LBB94_46:
	s_or_b64 exec, exec, s[0:1]
	v_cmp_gt_u32_e32 vcc, 64, v0
	s_waitcnt lgkmcnt(0)
	s_barrier
	s_and_saveexec_b64 s[0:1], vcc
	s_cbranch_execz .LBB94_48
; %bb.47:
	ds_read2st64_b64 v[9:12], v3 offset1:1
	s_waitcnt lgkmcnt(0)
	v_add_f64 v[1:2], v[9:10], v[11:12]
	ds_write_b64 v3, v[1:2]
.LBB94_48:
	s_or_b64 exec, exec, s[0:1]
	v_cmp_gt_u32_e32 vcc, 32, v0
	s_waitcnt lgkmcnt(0)
	s_barrier
	s_and_saveexec_b64 s[0:1], vcc
	s_cbranch_execz .LBB94_50
; %bb.49:
	ds_read2_b64 v[9:12], v3 offset1:32
	s_waitcnt lgkmcnt(0)
	v_add_f64 v[1:2], v[9:10], v[11:12]
	ds_write_b64 v3, v[1:2]
.LBB94_50:
	s_or_b64 exec, exec, s[0:1]
	v_cmp_gt_u32_e32 vcc, 16, v0
	s_waitcnt lgkmcnt(0)
	s_barrier
	s_and_saveexec_b64 s[0:1], vcc
	s_cbranch_execz .LBB94_52
; %bb.51:
	ds_read2_b64 v[9:12], v3 offset1:16
	s_waitcnt lgkmcnt(0)
	v_add_f64 v[1:2], v[9:10], v[11:12]
	ds_write_b64 v3, v[1:2]
.LBB94_52:
	s_or_b64 exec, exec, s[0:1]
	v_cmp_gt_u32_e32 vcc, 8, v0
	s_waitcnt lgkmcnt(0)
	s_barrier
	s_and_saveexec_b64 s[0:1], vcc
	s_cbranch_execz .LBB94_54
; %bb.53:
	ds_read2_b64 v[9:12], v3 offset1:8
	s_waitcnt lgkmcnt(0)
	v_add_f64 v[1:2], v[9:10], v[11:12]
	ds_write_b64 v3, v[1:2]
.LBB94_54:
	s_or_b64 exec, exec, s[0:1]
	v_cmp_gt_u32_e32 vcc, 4, v0
	s_waitcnt lgkmcnt(0)
	s_barrier
	s_and_saveexec_b64 s[0:1], vcc
	s_cbranch_execz .LBB94_56
; %bb.55:
	ds_read2_b64 v[9:12], v3 offset1:4
	s_waitcnt lgkmcnt(0)
	v_add_f64 v[1:2], v[9:10], v[11:12]
	ds_write_b64 v3, v[1:2]
.LBB94_56:
	s_or_b64 exec, exec, s[0:1]
	v_cmp_gt_u32_e32 vcc, 2, v0
	s_waitcnt lgkmcnt(0)
	s_barrier
	s_and_saveexec_b64 s[0:1], vcc
	s_cbranch_execz .LBB94_58
; %bb.57:
	ds_read2_b64 v[9:12], v3 offset1:2
	s_waitcnt lgkmcnt(0)
	v_add_f64 v[1:2], v[9:10], v[11:12]
	ds_write_b64 v3, v[1:2]
.LBB94_58:
	s_or_b64 exec, exec, s[0:1]
	v_cmp_eq_u32_e32 vcc, 0, v0
	s_waitcnt lgkmcnt(0)
	s_barrier
	s_and_saveexec_b64 s[0:1], vcc
	s_cbranch_execz .LBB94_60
; %bb.59:
	v_mov_b32_e32 v9, 0
	ds_read_b128 v[1:4], v9
	s_waitcnt lgkmcnt(0)
	v_add_f64 v[1:2], v[1:2], v[3:4]
	ds_write_b64 v9, v[1:2]
.LBB94_60:
	s_or_b64 exec, exec, s[0:1]
	s_waitcnt lgkmcnt(0)
	s_barrier
	s_and_saveexec_b64 s[0:1], vcc
	s_cbranch_execz .LBB94_70
; %bb.61:
	s_cmp_eq_u32 s33, 0
	s_cbranch_scc1 .LBB94_67
; %bb.62:
	s_ashr_i32 s7, s6, 31
	s_lshl_b64 s[6:7], s[6:7], 2
	s_add_u32 s6, s8, s6
	s_addc_u32 s7, s9, s7
	v_mov_b32_e32 v1, 0
	s_branch .LBB94_64
.LBB94_63:                              ;   in Loop: Header=BB94_64 Depth=1
	s_or_b64 exec, exec, s[8:9]
	s_waitcnt vmcnt(0)
	v_readfirstlane_b32 s8, v2
	v_cmp_eq_u32_e32 vcc, s8, v13
	s_cbranch_vccz .LBB94_66
.LBB94_64:                              ; =>This Inner Loop Header: Depth=1
	v_mbcnt_lo_u32_b32 v2, exec_lo, 0
	v_mbcnt_hi_u32_b32 v2, exec_hi, v2
	v_cmp_eq_u32_e32 vcc, 0, v2
                                        ; implicit-def: $vgpr2
	s_and_saveexec_b64 s[8:9], vcc
	s_cbranch_execz .LBB94_63
; %bb.65:                               ;   in Loop: Header=BB94_64 Depth=1
	global_load_dword v2, v1, s[6:7] glc
	s_branch .LBB94_63
.LBB94_66:
	v_mov_b32_e32 v1, 0
	global_load_ushort v2, v1, s[2:3]
	s_waitcnt vmcnt(0)
	v_xor_b32_e32 v2, 1, v2
	global_store_short v1, v2, s[2:3]
.LBB94_67:
	s_mov_b64 s[6:7], exec
	v_mbcnt_lo_u32_b32 v1, s6, 0
	v_mbcnt_hi_u32_b32 v1, s7, v1
	v_cmp_eq_u32_e32 vcc, 0, v1
	s_and_b64 s[2:3], exec, vcc
	s_mov_b64 exec, s[2:3]
	s_cbranch_execz .LBB94_70
; %bb.68:
	s_add_u32 s2, s34, s46
	s_addc_u32 s3, s35, s47
	v_mov_b32_e32 v11, 0
	global_load_dwordx2 v[3:4], v11, s[2:3]
	ds_read_b64 v[1:2], v11
	s_bcnt1_i32_b64 s6, s[6:7]
	v_cvt_f64_u32_e32 v[9:10], s6
	s_mov_b64 s[6:7], 0
	s_waitcnt lgkmcnt(0)
	v_mul_f64 v[9:10], v[1:2], v[9:10]
.LBB94_69:                              ; =>This Inner Loop Header: Depth=1
	s_waitcnt vmcnt(0)
	v_add_f64 v[1:2], v[3:4], v[9:10]
	global_atomic_cmpswap_x2 v[1:2], v11, v[1:4], s[2:3] glc
	s_waitcnt vmcnt(0)
	v_cmp_eq_u64_e32 vcc, v[1:2], v[3:4]
	v_mov_b32_e32 v4, v2
	s_or_b64 s[6:7], vcc, s[6:7]
	v_mov_b32_e32 v3, v1
	s_andn2_b64 exec, exec, s[6:7]
	s_cbranch_execnz .LBB94_69
.LBB94_70:
	s_or_b64 exec, exec, s[0:1]
.LBB94_71:
	s_mov_b64 s[0:1], 0
.LBB94_72:
	s_andn2_b64 vcc, exec, s[0:1]
	s_cbranch_vccnz .LBB94_116
; %bb.73:
	s_load_dwordx2 s[0:1], s[4:5], 0x8
	v_subrev_co_u32_e32 v1, vcc, s44, v0
	v_subb_co_u32_e64 v2, s[2:3], 0, 0, vcc
	s_waitcnt lgkmcnt(0)
	v_mov_b32_e32 v3, s43
	v_add_co_u32_e32 v1, vcc, s42, v1
	v_addc_co_u32_e32 v2, vcc, v3, v2, vcc
	v_add_co_u32_e32 v3, vcc, 0x300, v1
	v_addc_co_u32_e32 v4, vcc, 0, v2, vcc
	v_cmp_le_i64_e32 vcc, s[0:1], v[3:4]
	s_and_saveexec_b64 s[0:1], vcc
	s_xor_b64 s[2:3], exec, s[0:1]
	s_cbranch_execz .LBB94_78
; %bb.74:
	s_lshl_b64 s[0:1], s[38:39], 3
	s_add_u32 s0, s24, s0
	s_addc_u32 s1, s25, s1
	s_load_dwordx2 s[0:1], s[0:1], 0x0
	s_waitcnt lgkmcnt(0)
	s_sub_u32 s4, s0, s44
	s_subb_u32 s5, s1, 0
	v_cmp_gt_i64_e32 vcc, s[4:5], v[1:2]
	s_and_saveexec_b64 s[6:7], vcc
	s_cbranch_execz .LBB94_77
; %bb.75:
	v_lshlrev_b64 v[9:10], 2, v[1:2]
	v_mov_b32_e32 v4, s29
	v_add_co_u32_e32 v3, vcc, s28, v9
	v_addc_co_u32_e32 v4, vcc, v4, v10, vcc
	v_mov_b32_e32 v12, s27
	v_add_co_u32_e32 v9, vcc, s26, v9
	v_lshlrev_b32_e32 v11, 3, v0
	v_addc_co_u32_e32 v10, vcc, v12, v10, vcc
	s_mov_b64 s[8:9], 0
	v_mov_b32_e32 v12, s31
	s_movk_i32 s10, 0x100
.LBB94_76:                              ; =>This Inner Loop Header: Depth=1
	global_load_dword v13, v[9:10], off
	global_load_dword v15, v[3:4], off
	s_waitcnt vmcnt(1)
	v_subrev_u32_e32 v13, s44, v13
	v_ashrrev_i32_e32 v14, 31, v13
	v_lshlrev_b64 v[13:14], 3, v[13:14]
	s_waitcnt vmcnt(0)
	v_cvt_f64_f32_e32 v[15:16], v15
	v_add_co_u32_e32 v13, vcc, s30, v13
	v_addc_co_u32_e32 v14, vcc, v12, v14, vcc
	global_load_dwordx2 v[13:14], v[13:14], off
	v_mul_f64 v[15:16], v[7:8], v[15:16]
	v_add_co_u32_e32 v1, vcc, s10, v1
	v_addc_co_u32_e32 v2, vcc, 0, v2, vcc
	v_add_co_u32_e32 v3, vcc, 0x400, v3
	v_addc_co_u32_e32 v4, vcc, 0, v4, vcc
	v_cmp_le_i64_e64 s[0:1], s[4:5], v[1:2]
	v_add_co_u32_e32 v9, vcc, 0x400, v9
	v_addc_co_u32_e32 v10, vcc, 0, v10, vcc
	s_or_b64 s[8:9], s[0:1], s[8:9]
	s_waitcnt vmcnt(0)
	v_mul_f64 v[13:14], v[15:16], v[13:14]
	ds_write_b64 v11, v[13:14]
	v_add_u32_e32 v11, 0x800, v11
	s_andn2_b64 exec, exec, s[8:9]
	s_cbranch_execnz .LBB94_76
.LBB94_77:
	s_or_b64 exec, exec, s[6:7]
                                        ; implicit-def: $vgpr1_vgpr2
                                        ; implicit-def: $vgpr7_vgpr8
.LBB94_78:
	s_or_saveexec_b64 s[0:1], s[2:3]
	v_lshlrev_b32_e32 v11, 3, v0
	s_xor_b64 exec, exec, s[0:1]
	s_cbranch_execz .LBB94_80
; %bb.79:
	v_lshlrev_b64 v[1:2], 2, v[1:2]
	v_mov_b32_e32 v4, s27
	v_add_co_u32_e32 v3, vcc, s26, v1
	v_addc_co_u32_e32 v4, vcc, v4, v2, vcc
	global_load_dword v9, v[3:4], off
	global_load_dword v10, v[3:4], off offset:1024
	global_load_dword v12, v[3:4], off offset:2048
	;; [unrolled: 1-line block ×3, first 2 shown]
	v_mov_b32_e32 v3, s29
	v_add_co_u32_e32 v1, vcc, s28, v1
	v_addc_co_u32_e32 v2, vcc, v3, v2, vcc
	global_load_dword v22, v[1:2], off
	global_load_dword v23, v[1:2], off offset:1024
	global_load_dword v24, v[1:2], off offset:2048
	;; [unrolled: 1-line block ×3, first 2 shown]
	v_mov_b32_e32 v14, s31
	v_mov_b32_e32 v15, s31
	;; [unrolled: 1-line block ×4, first 2 shown]
	s_waitcnt vmcnt(7)
	v_subrev_u32_e32 v1, s44, v9
	v_ashrrev_i32_e32 v2, 31, v1
	s_waitcnt vmcnt(6)
	v_subrev_u32_e32 v3, s44, v10
	v_lshlrev_b64 v[1:2], 3, v[1:2]
	v_ashrrev_i32_e32 v4, 31, v3
	s_waitcnt vmcnt(5)
	v_subrev_u32_e32 v9, s44, v12
	v_lshlrev_b64 v[3:4], 3, v[3:4]
	v_add_co_u32_e32 v1, vcc, s30, v1
	v_ashrrev_i32_e32 v10, 31, v9
	v_addc_co_u32_e32 v2, vcc, v14, v2, vcc
	s_waitcnt vmcnt(4)
	v_subrev_u32_e32 v12, s44, v13
	v_lshlrev_b64 v[9:10], 3, v[9:10]
	v_add_co_u32_e32 v3, vcc, s30, v3
	v_ashrrev_i32_e32 v13, 31, v12
	v_addc_co_u32_e32 v4, vcc, v15, v4, vcc
	v_lshlrev_b64 v[12:13], 3, v[12:13]
	v_add_co_u32_e32 v9, vcc, s30, v9
	v_addc_co_u32_e32 v10, vcc, v16, v10, vcc
	v_add_co_u32_e32 v12, vcc, s30, v12
	v_addc_co_u32_e32 v13, vcc, v17, v13, vcc
	global_load_dwordx2 v[14:15], v[1:2], off
	global_load_dwordx2 v[16:17], v[3:4], off
	;; [unrolled: 1-line block ×4, first 2 shown]
	s_waitcnt vmcnt(7)
	v_cvt_f64_f32_e32 v[1:2], v22
	s_waitcnt vmcnt(6)
	v_cvt_f64_f32_e32 v[3:4], v23
	;; [unrolled: 2-line block ×4, first 2 shown]
	v_mul_f64 v[1:2], v[7:8], v[1:2]
	v_mul_f64 v[3:4], v[7:8], v[3:4]
	;; [unrolled: 1-line block ×4, first 2 shown]
	s_waitcnt vmcnt(3)
	v_mul_f64 v[1:2], v[1:2], v[14:15]
	s_waitcnt vmcnt(2)
	v_mul_f64 v[3:4], v[3:4], v[16:17]
	;; [unrolled: 2-line block ×4, first 2 shown]
	ds_write2st64_b64 v11, v[1:2], v[3:4] offset1:4
	ds_write2st64_b64 v11, v[9:10], v[7:8] offset0:8 offset1:12
.LBB94_80:
	s_or_b64 exec, exec, s[0:1]
	s_cmp_lt_i32 s33, 2
	s_mov_b64 s[0:1], -1
	s_waitcnt vmcnt(0) lgkmcnt(0)
	s_barrier
	s_cbranch_scc0 .LBB94_91
; %bb.81:
	v_mov_b32_e32 v1, s37
	v_add_co_u32_e32 v7, vcc, s36, v0
	v_addc_co_u32_e32 v8, vcc, 0, v1, vcc
	v_cmp_gt_i64_e32 vcc, s[38:39], v[7:8]
	s_and_saveexec_b64 s[4:5], vcc
	s_cbranch_execz .LBB94_90
; %bb.82:
	v_cmp_neq_f64_e64 s[0:1], 0, v[5:6]
	s_lshl_b32 s2, s42, 3
	s_mov_b64 s[6:7], 0
	s_sub_i32 s10, 0, s2
	v_mov_b32_e32 v12, s25
	v_mov_b32_e32 v13, s35
	s_branch .LBB94_84
.LBB94_83:                              ;   in Loop: Header=BB94_84 Depth=1
	s_or_b64 exec, exec, s[2:3]
	v_add_co_u32_e32 v7, vcc, 0x100, v7
	v_addc_co_u32_e32 v8, vcc, 0, v8, vcc
	v_cmp_le_i64_e32 vcc, s[38:39], v[7:8]
	v_add_co_u32_e64 v9, s[2:3], s34, v9
	v_addc_co_u32_e64 v10, s[2:3], v13, v10, s[2:3]
	s_or_b64 s[6:7], vcc, s[6:7]
	global_store_dwordx2 v[9:10], v[2:3], off
	s_andn2_b64 exec, exec, s[6:7]
	s_cbranch_execz .LBB94_90
.LBB94_84:                              ; =>This Loop Header: Depth=1
                                        ;     Child Loop BB94_86 Depth 2
	v_lshlrev_b64 v[9:10], 3, v[7:8]
	v_add_co_u32_e32 v1, vcc, s24, v9
	v_addc_co_u32_e32 v2, vcc, v12, v10, vcc
	global_load_dwordx4 v[1:4], v[1:2], off
	s_waitcnt vmcnt(0)
	v_subrev_u32_e32 v4, s42, v1
	v_subrev_u32_e32 v14, s42, v3
	v_mov_b32_e32 v2, 0
	v_mov_b32_e32 v3, 0
	v_cmp_lt_i32_e32 vcc, v4, v14
	s_and_saveexec_b64 s[2:3], vcc
	s_cbranch_execz .LBB94_88
; %bb.85:                               ;   in Loop: Header=BB94_84 Depth=1
	v_mov_b32_e32 v2, 0
	v_lshl_add_u32 v1, v1, 3, s10
	v_mov_b32_e32 v3, 0
	s_mov_b64 s[8:9], 0
.LBB94_86:                              ;   Parent Loop BB94_84 Depth=1
                                        ; =>  This Inner Loop Header: Depth=2
	ds_read_b64 v[15:16], v1
	v_add_u32_e32 v4, 1, v4
	v_cmp_ge_i32_e32 vcc, v4, v14
	s_or_b64 s[8:9], vcc, s[8:9]
	v_add_u32_e32 v1, 8, v1
	s_waitcnt lgkmcnt(0)
	v_add_f64 v[2:3], v[2:3], v[15:16]
	s_andn2_b64 exec, exec, s[8:9]
	s_cbranch_execnz .LBB94_86
; %bb.87:                               ;   in Loop: Header=BB94_84 Depth=1
	s_or_b64 exec, exec, s[8:9]
.LBB94_88:                              ;   in Loop: Header=BB94_84 Depth=1
	s_or_b64 exec, exec, s[2:3]
	s_and_saveexec_b64 s[2:3], s[0:1]
	s_cbranch_execz .LBB94_83
; %bb.89:                               ;   in Loop: Header=BB94_84 Depth=1
	v_mov_b32_e32 v1, s35
	v_add_co_u32_e32 v14, vcc, s34, v9
	v_addc_co_u32_e32 v15, vcc, v1, v10, vcc
	global_load_dwordx2 v[14:15], v[14:15], off
	s_waitcnt vmcnt(0)
	v_fma_f64 v[2:3], v[5:6], v[14:15], v[2:3]
	s_branch .LBB94_83
.LBB94_90:
	s_or_b64 exec, exec, s[4:5]
	s_mov_b64 s[0:1], 0
.LBB94_91:
	s_andn2_b64 vcc, exec, s[0:1]
	s_cbranch_vccnz .LBB94_116
; %bb.92:
	s_flbit_i32_b32 s0, s33
	s_xor_b32 s0, s0, 31
	v_lshrrev_b32_e32 v7, s0, v0
	v_mov_b32_e32 v2, s37
	v_add_co_u32_e32 v1, vcc, s36, v7
	v_addc_co_u32_e32 v2, vcc, 0, v2, vcc
	s_add_i32 s2, s33, -1
	v_cmp_le_i64_e32 vcc, s[38:39], v[1:2]
	v_cmp_gt_i64_e64 s[0:1], s[38:39], v[1:2]
	v_mov_b32_e32 v3, 0
	v_mov_b32_e32 v4, 0
	v_and_b32_e32 v0, s2, v0
	s_and_saveexec_b64 s[2:3], s[0:1]
	s_cbranch_execz .LBB94_98
; %bb.93:
	v_lshlrev_b32_e32 v3, 3, v7
	global_load_dword v4, v3, s[40:41] offset:8
	global_load_dword v8, v3, s[40:41]
	s_waitcnt vmcnt(1)
	v_subrev_u32_e32 v7, s42, v4
	s_waitcnt vmcnt(0)
	v_subrev_u32_e32 v3, s42, v8
	v_add_u32_e32 v8, v0, v3
	v_mov_b32_e32 v3, 0
	v_mov_b32_e32 v4, 0
	v_cmp_lt_i32_e64 s[0:1], v8, v7
	s_and_saveexec_b64 s[4:5], s[0:1]
	s_cbranch_execz .LBB94_97
; %bb.94:
	v_mov_b32_e32 v3, 0
	v_lshlrev_b32_e32 v9, 3, v8
	s_lshl_b32 s8, s33, 3
	v_mov_b32_e32 v4, 0
	s_mov_b64 s[6:7], 0
.LBB94_95:                              ; =>This Inner Loop Header: Depth=1
	ds_read_b64 v[12:13], v9
	v_add_u32_e32 v8, s33, v8
	v_cmp_ge_i32_e64 s[0:1], v8, v7
	s_or_b64 s[6:7], s[0:1], s[6:7]
	v_add_u32_e32 v9, s8, v9
	s_waitcnt lgkmcnt(0)
	v_add_f64 v[3:4], v[3:4], v[12:13]
	s_andn2_b64 exec, exec, s[6:7]
	s_cbranch_execnz .LBB94_95
; %bb.96:
	s_or_b64 exec, exec, s[6:7]
.LBB94_97:
	s_or_b64 exec, exec, s[4:5]
.LBB94_98:
	s_or_b64 exec, exec, s[2:3]
	s_cmpk_lt_u32 s33, 0x81
	s_waitcnt vmcnt(0)
	s_barrier
	ds_write_b64 v11, v[3:4]
	s_waitcnt lgkmcnt(0)
	s_barrier
	s_cbranch_scc1 .LBB94_100
; %bb.99:
	ds_read_b64 v[7:8], v11 offset:1024
	s_waitcnt lgkmcnt(0)
	s_barrier
	v_add_f64 v[3:4], v[3:4], v[7:8]
	ds_write_b64 v11, v[3:4]
.LBB94_100:
	s_cmpk_lt_u32 s33, 0x41
	s_waitcnt lgkmcnt(0)
	s_barrier
	s_cbranch_scc1 .LBB94_102
; %bb.101:
	ds_read_b64 v[7:8], v11 offset:512
	s_waitcnt lgkmcnt(0)
	s_barrier
	v_add_f64 v[3:4], v[3:4], v[7:8]
	ds_write_b64 v11, v[3:4]
.LBB94_102:
	s_cmp_lt_u32 s33, 33
	s_waitcnt lgkmcnt(0)
	s_barrier
	s_cbranch_scc1 .LBB94_104
; %bb.103:
	ds_read_b64 v[7:8], v11 offset:256
	s_waitcnt lgkmcnt(0)
	s_barrier
	v_add_f64 v[3:4], v[3:4], v[7:8]
	ds_write_b64 v11, v[3:4]
.LBB94_104:
	s_cmp_lt_u32 s33, 17
	;; [unrolled: 11-line block ×4, first 2 shown]
	s_waitcnt lgkmcnt(0)
	s_barrier
	s_cbranch_scc1 .LBB94_110
; %bb.109:
	ds_read_b64 v[7:8], v11 offset:32
	s_waitcnt lgkmcnt(0)
	s_barrier
	v_add_f64 v[3:4], v[3:4], v[7:8]
	ds_write_b64 v11, v[3:4]
.LBB94_110:
	s_cmp_eq_u32 s33, 2
	s_waitcnt lgkmcnt(0)
	s_barrier
	s_cbranch_scc1 .LBB94_112
; %bb.111:
	ds_read_b64 v[7:8], v11 offset:16
	s_waitcnt lgkmcnt(0)
	s_barrier
	v_add_f64 v[3:4], v[3:4], v[7:8]
	ds_write_b64 v11, v[3:4]
.LBB94_112:
	s_waitcnt lgkmcnt(0)
	s_barrier
	ds_read_b64 v[7:8], v11 offset:8
	v_cmp_eq_u32_e64 s[0:1], 0, v0
	s_xor_b64 s[2:3], vcc, -1
	s_and_b64 s[0:1], s[0:1], s[2:3]
	s_waitcnt lgkmcnt(0)
	v_add_f64 v[3:4], v[3:4], v[7:8]
	s_barrier
	ds_write_b64 v11, v[3:4]
	s_and_b64 exec, exec, s[0:1]
	s_cbranch_execz .LBB94_116
; %bb.113:
	v_cmp_neq_f64_e32 vcc, 0, v[5:6]
	v_lshlrev_b64 v[0:1], 3, v[1:2]
	s_and_saveexec_b64 s[0:1], vcc
	s_cbranch_execz .LBB94_115
; %bb.114:
	v_mov_b32_e32 v2, s35
	v_add_co_u32_e32 v7, vcc, s34, v0
	v_addc_co_u32_e32 v8, vcc, v2, v1, vcc
	global_load_dwordx2 v[7:8], v[7:8], off
	s_waitcnt vmcnt(0)
	v_fma_f64 v[3:4], v[5:6], v[7:8], v[3:4]
.LBB94_115:
	s_or_b64 exec, exec, s[0:1]
	v_mov_b32_e32 v2, s35
	v_add_co_u32_e32 v0, vcc, s34, v0
	v_addc_co_u32_e32 v1, vcc, v2, v1, vcc
	global_store_dwordx2 v[0:1], v[3:4], off
.LBB94_116:
	s_endpgm
	.section	.rodata,"a",@progbits
	.p2align	6, 0x0
	.amdhsa_kernel _ZN9rocsparseL22csrmvn_adaptive_kernelIlifdddEEvbT_PKS1_PjPKT0_NS_24const_host_device_scalarIT4_EES3_S7_PKT1_PKT2_SA_PT3_21rocsparse_index_base_b
		.amdhsa_group_segment_fixed_size 8192
		.amdhsa_private_segment_fixed_size 0
		.amdhsa_kernarg_size 104
		.amdhsa_user_sgpr_count 6
		.amdhsa_user_sgpr_private_segment_buffer 1
		.amdhsa_user_sgpr_dispatch_ptr 0
		.amdhsa_user_sgpr_queue_ptr 0
		.amdhsa_user_sgpr_kernarg_segment_ptr 1
		.amdhsa_user_sgpr_dispatch_id 0
		.amdhsa_user_sgpr_flat_scratch_init 0
		.amdhsa_user_sgpr_private_segment_size 0
		.amdhsa_uses_dynamic_stack 0
		.amdhsa_system_sgpr_private_segment_wavefront_offset 0
		.amdhsa_system_sgpr_workgroup_id_x 1
		.amdhsa_system_sgpr_workgroup_id_y 0
		.amdhsa_system_sgpr_workgroup_id_z 0
		.amdhsa_system_sgpr_workgroup_info 0
		.amdhsa_system_vgpr_workitem_id 0
		.amdhsa_next_free_vgpr 29
		.amdhsa_next_free_sgpr 61
		.amdhsa_reserve_vcc 1
		.amdhsa_reserve_flat_scratch 0
		.amdhsa_float_round_mode_32 0
		.amdhsa_float_round_mode_16_64 0
		.amdhsa_float_denorm_mode_32 3
		.amdhsa_float_denorm_mode_16_64 3
		.amdhsa_dx10_clamp 1
		.amdhsa_ieee_mode 1
		.amdhsa_fp16_overflow 0
		.amdhsa_exception_fp_ieee_invalid_op 0
		.amdhsa_exception_fp_denorm_src 0
		.amdhsa_exception_fp_ieee_div_zero 0
		.amdhsa_exception_fp_ieee_overflow 0
		.amdhsa_exception_fp_ieee_underflow 0
		.amdhsa_exception_fp_ieee_inexact 0
		.amdhsa_exception_int_div_zero 0
	.end_amdhsa_kernel
	.section	.text._ZN9rocsparseL22csrmvn_adaptive_kernelIlifdddEEvbT_PKS1_PjPKT0_NS_24const_host_device_scalarIT4_EES3_S7_PKT1_PKT2_SA_PT3_21rocsparse_index_base_b,"axG",@progbits,_ZN9rocsparseL22csrmvn_adaptive_kernelIlifdddEEvbT_PKS1_PjPKT0_NS_24const_host_device_scalarIT4_EES3_S7_PKT1_PKT2_SA_PT3_21rocsparse_index_base_b,comdat
.Lfunc_end94:
	.size	_ZN9rocsparseL22csrmvn_adaptive_kernelIlifdddEEvbT_PKS1_PjPKT0_NS_24const_host_device_scalarIT4_EES3_S7_PKT1_PKT2_SA_PT3_21rocsparse_index_base_b, .Lfunc_end94-_ZN9rocsparseL22csrmvn_adaptive_kernelIlifdddEEvbT_PKS1_PjPKT0_NS_24const_host_device_scalarIT4_EES3_S7_PKT1_PKT2_SA_PT3_21rocsparse_index_base_b
                                        ; -- End function
	.set _ZN9rocsparseL22csrmvn_adaptive_kernelIlifdddEEvbT_PKS1_PjPKT0_NS_24const_host_device_scalarIT4_EES3_S7_PKT1_PKT2_SA_PT3_21rocsparse_index_base_b.num_vgpr, 26
	.set _ZN9rocsparseL22csrmvn_adaptive_kernelIlifdddEEvbT_PKS1_PjPKT0_NS_24const_host_device_scalarIT4_EES3_S7_PKT1_PKT2_SA_PT3_21rocsparse_index_base_b.num_agpr, 0
	.set _ZN9rocsparseL22csrmvn_adaptive_kernelIlifdddEEvbT_PKS1_PjPKT0_NS_24const_host_device_scalarIT4_EES3_S7_PKT1_PKT2_SA_PT3_21rocsparse_index_base_b.numbered_sgpr, 60
	.set _ZN9rocsparseL22csrmvn_adaptive_kernelIlifdddEEvbT_PKS1_PjPKT0_NS_24const_host_device_scalarIT4_EES3_S7_PKT1_PKT2_SA_PT3_21rocsparse_index_base_b.num_named_barrier, 0
	.set _ZN9rocsparseL22csrmvn_adaptive_kernelIlifdddEEvbT_PKS1_PjPKT0_NS_24const_host_device_scalarIT4_EES3_S7_PKT1_PKT2_SA_PT3_21rocsparse_index_base_b.private_seg_size, 0
	.set _ZN9rocsparseL22csrmvn_adaptive_kernelIlifdddEEvbT_PKS1_PjPKT0_NS_24const_host_device_scalarIT4_EES3_S7_PKT1_PKT2_SA_PT3_21rocsparse_index_base_b.uses_vcc, 1
	.set _ZN9rocsparseL22csrmvn_adaptive_kernelIlifdddEEvbT_PKS1_PjPKT0_NS_24const_host_device_scalarIT4_EES3_S7_PKT1_PKT2_SA_PT3_21rocsparse_index_base_b.uses_flat_scratch, 0
	.set _ZN9rocsparseL22csrmvn_adaptive_kernelIlifdddEEvbT_PKS1_PjPKT0_NS_24const_host_device_scalarIT4_EES3_S7_PKT1_PKT2_SA_PT3_21rocsparse_index_base_b.has_dyn_sized_stack, 0
	.set _ZN9rocsparseL22csrmvn_adaptive_kernelIlifdddEEvbT_PKS1_PjPKT0_NS_24const_host_device_scalarIT4_EES3_S7_PKT1_PKT2_SA_PT3_21rocsparse_index_base_b.has_recursion, 0
	.set _ZN9rocsparseL22csrmvn_adaptive_kernelIlifdddEEvbT_PKS1_PjPKT0_NS_24const_host_device_scalarIT4_EES3_S7_PKT1_PKT2_SA_PT3_21rocsparse_index_base_b.has_indirect_call, 0
	.section	.AMDGPU.csdata,"",@progbits
; Kernel info:
; codeLenInByte = 4112
; TotalNumSgprs: 64
; NumVgprs: 26
; ScratchSize: 0
; MemoryBound: 0
; FloatMode: 240
; IeeeMode: 1
; LDSByteSize: 8192 bytes/workgroup (compile time only)
; SGPRBlocks: 8
; VGPRBlocks: 7
; NumSGPRsForWavesPerEU: 65
; NumVGPRsForWavesPerEU: 29
; Occupancy: 8
; WaveLimiterHint : 1
; COMPUTE_PGM_RSRC2:SCRATCH_EN: 0
; COMPUTE_PGM_RSRC2:USER_SGPR: 6
; COMPUTE_PGM_RSRC2:TRAP_HANDLER: 0
; COMPUTE_PGM_RSRC2:TGID_X_EN: 1
; COMPUTE_PGM_RSRC2:TGID_Y_EN: 0
; COMPUTE_PGM_RSRC2:TGID_Z_EN: 0
; COMPUTE_PGM_RSRC2:TIDIG_COMP_CNT: 0
	.section	.text._ZN9rocsparseL27csrmvn_symm_adaptive_kernelIlifdddEEvbT_S1_PKS1_NS_24const_host_device_scalarIT4_EES3_PKT0_PKT1_PKT2_S6_PT3_21rocsparse_index_base_b,"axG",@progbits,_ZN9rocsparseL27csrmvn_symm_adaptive_kernelIlifdddEEvbT_S1_PKS1_NS_24const_host_device_scalarIT4_EES3_PKT0_PKT1_PKT2_S6_PT3_21rocsparse_index_base_b,comdat
	.globl	_ZN9rocsparseL27csrmvn_symm_adaptive_kernelIlifdddEEvbT_S1_PKS1_NS_24const_host_device_scalarIT4_EES3_PKT0_PKT1_PKT2_S6_PT3_21rocsparse_index_base_b ; -- Begin function _ZN9rocsparseL27csrmvn_symm_adaptive_kernelIlifdddEEvbT_S1_PKS1_NS_24const_host_device_scalarIT4_EES3_PKT0_PKT1_PKT2_S6_PT3_21rocsparse_index_base_b
	.p2align	8
	.type	_ZN9rocsparseL27csrmvn_symm_adaptive_kernelIlifdddEEvbT_S1_PKS1_NS_24const_host_device_scalarIT4_EES3_PKT0_PKT1_PKT2_S6_PT3_21rocsparse_index_base_b,@function
_ZN9rocsparseL27csrmvn_symm_adaptive_kernelIlifdddEEvbT_S1_PKS1_NS_24const_host_device_scalarIT4_EES3_PKT0_PKT1_PKT2_S6_PT3_21rocsparse_index_base_b: ; @_ZN9rocsparseL27csrmvn_symm_adaptive_kernelIlifdddEEvbT_S1_PKS1_NS_24const_host_device_scalarIT4_EES3_PKT0_PKT1_PKT2_S6_PT3_21rocsparse_index_base_b
; %bb.0:
	s_load_dwordx2 s[30:31], s[4:5], 0x58
	s_load_dwordx2 s[8:9], s[4:5], 0x20
	;; [unrolled: 1-line block ×3, first 2 shown]
	s_waitcnt lgkmcnt(0)
	s_bitcmp1_b32 s31, 0
	s_cselect_b64 s[10:11], -1, 0
	v_mov_b32_e32 v11, s9
	s_xor_b64 s[2:3], s[10:11], -1
	s_and_b64 vcc, exec, s[10:11]
	v_mov_b32_e32 v10, s8
	s_cbranch_vccnz .LBB95_2
; %bb.1:
	v_mov_b32_e32 v1, s8
	v_mov_b32_e32 v2, s9
	flat_load_dwordx2 v[10:11], v[1:2]
.LBB95_2:
	v_mov_b32_e32 v2, s1
	s_andn2_b64 vcc, exec, s[2:3]
	v_mov_b32_e32 v1, s0
	s_cbranch_vccnz .LBB95_4
; %bb.3:
	v_mov_b32_e32 v2, s1
	v_mov_b32_e32 v1, s0
	flat_load_dwordx2 v[1:2], v[1:2]
.LBB95_4:
	s_waitcnt vmcnt(0) lgkmcnt(0)
	v_cmp_neq_f64_e32 vcc, 0, v[10:11]
	v_cmp_neq_f64_e64 s[0:1], 1.0, v[1:2]
	s_or_b64 s[0:1], vcc, s[0:1]
	s_and_saveexec_b64 s[2:3], s[0:1]
	s_cbranch_execz .LBB95_167
; %bb.5:
	s_load_dwordx2 s[0:1], s[4:5], 0x18
	s_mov_b32 s2, 0
	s_mov_b32 s3, s2
	v_mov_b32_e32 v1, s2
	s_ashr_i32 s7, s6, 31
	v_mov_b32_e32 v2, s3
	s_lshl_b64 s[2:3], s[6:7], 3
	s_waitcnt lgkmcnt(0)
	s_add_u32 s0, s0, s2
	v_lshlrev_b32_e32 v18, 3, v0
	s_addc_u32 s1, s1, s3
	ds_write2st64_b64 v18, v[1:2], v[1:2] offset1:4
	ds_write2st64_b64 v18, v[1:2], v[1:2] offset0:8 offset1:12
	s_waitcnt lgkmcnt(0)
	s_barrier
	s_load_dwordx4 s[24:27], s[0:1], 0x0
	s_load_dwordx8 s[16:23], s[4:5], 0x28
	s_load_dwordx2 s[14:15], s[4:5], 0x50
	s_mov_b64 s[0:1], -1
	s_waitcnt lgkmcnt(0)
	s_sub_u32 s28, s26, s24
	s_subb_u32 s29, s27, s25
	v_cmp_gt_i64_e64 s[2:3], s[28:29], 2
	s_and_b64 vcc, exec, s[2:3]
	s_cbranch_vccnz .LBB95_41
; %bb.6:
	v_mov_b32_e32 v1, s24
	v_mov_b32_e32 v2, s25
	v_cmp_le_i64_e32 vcc, s[26:27], v[1:2]
	v_subrev_co_u32_e64 v9, s[0:1], s30, v0
	v_mov_b32_e32 v15, 0
	v_subb_co_u32_e64 v14, s[0:1], 0, 0, s[0:1]
	s_cbranch_vccnz .LBB95_30
; %bb.7:
	s_movk_i32 s31, 0x100
	v_mov_b32_e32 v5, s26
	v_cmp_gt_u32_e64 s[0:1], s31, v0
	v_cmp_gt_u32_e64 s[2:3], 64, v0
	;; [unrolled: 1-line block ×4, first 2 shown]
	v_cmp_eq_u32_e64 s[10:11], 0, v0
	v_mov_b32_e32 v6, s27
	s_mov_b64 s[34:35], s[24:25]
	s_branch .LBB95_9
.LBB95_8:                               ;   in Loop: Header=BB95_9 Depth=1
	s_or_b64 exec, exec, s[12:13]
	s_add_u32 s34, s34, 1
	s_addc_u32 s35, s35, 0
	v_cmp_ge_i64_e32 vcc, s[34:35], v[5:6]
	s_cbranch_vccnz .LBB95_30
.LBB95_9:                               ; =>This Loop Header: Depth=1
                                        ;     Child Loop BB95_11 Depth 2
                                        ;     Child Loop BB95_25 Depth 2
	;; [unrolled: 1-line block ×3, first 2 shown]
	s_lshl_b64 s[36:37], s[34:35], 3
	s_add_u32 s12, s16, s36
	s_addc_u32 s13, s17, s37
	s_load_dwordx4 s[40:43], s[12:13], 0x0
	v_mov_b32_e32 v3, 0
	v_mov_b32_e32 v4, 0
	s_waitcnt lgkmcnt(0)
	s_sub_u32 s38, s42, s30
	v_mov_b32_e32 v2, s41
	v_add_co_u32_e32 v1, vcc, s40, v9
	s_subb_u32 s39, s43, 0
	v_addc_co_u32_e32 v2, vcc, v2, v14, vcc
	v_cmp_gt_i64_e32 vcc, s[38:39], v[1:2]
	s_and_saveexec_b64 s[40:41], vcc
	s_cbranch_execz .LBB95_13
; %bb.10:                               ;   in Loop: Header=BB95_9 Depth=1
	v_lshlrev_b64 v[3:4], 2, v[1:2]
	v_mov_b32_e32 v8, s19
	v_add_co_u32_e32 v7, vcc, s18, v3
	v_addc_co_u32_e32 v8, vcc, v8, v4, vcc
	v_mov_b32_e32 v13, s21
	v_add_co_u32_e32 v12, vcc, s20, v3
	v_addc_co_u32_e32 v13, vcc, v13, v4, vcc
	v_mov_b32_e32 v3, 0
	v_mov_b32_e32 v4, 0
	s_mov_b64 s[42:43], 0
.LBB95_11:                              ;   Parent Loop BB95_9 Depth=1
                                        ; =>  This Inner Loop Header: Depth=2
	global_load_dword v16, v[7:8], off
	global_load_dword v19, v[12:13], off
	v_mov_b32_e32 v20, s23
	s_waitcnt vmcnt(1)
	v_subrev_u32_e32 v16, s30, v16
	v_ashrrev_i32_e32 v17, 31, v16
	v_lshlrev_b64 v[16:17], 3, v[16:17]
	v_add_co_u32_e32 v16, vcc, s22, v16
	v_addc_co_u32_e32 v17, vcc, v20, v17, vcc
	global_load_dwordx2 v[16:17], v[16:17], off
	s_waitcnt vmcnt(1)
	v_cvt_f64_f32_e32 v[19:20], v19
	v_add_co_u32_e32 v1, vcc, s31, v1
	v_addc_co_u32_e32 v2, vcc, 0, v2, vcc
	v_add_co_u32_e32 v7, vcc, 0x400, v7
	v_addc_co_u32_e32 v8, vcc, 0, v8, vcc
	v_cmp_le_i64_e64 s[12:13], s[38:39], v[1:2]
	v_add_co_u32_e32 v12, vcc, 0x400, v12
	s_or_b64 s[42:43], s[12:13], s[42:43]
	v_addc_co_u32_e32 v13, vcc, 0, v13, vcc
	s_waitcnt vmcnt(0)
	v_fma_f64 v[3:4], v[19:20], v[16:17], v[3:4]
	s_andn2_b64 exec, exec, s[42:43]
	s_cbranch_execnz .LBB95_11
; %bb.12:                               ;   in Loop: Header=BB95_9 Depth=1
	s_or_b64 exec, exec, s[42:43]
.LBB95_13:                              ;   in Loop: Header=BB95_9 Depth=1
	s_or_b64 exec, exec, s[40:41]
	ds_write_b64 v18, v[3:4]
	s_waitcnt lgkmcnt(0)
	s_barrier
	s_and_saveexec_b64 s[12:13], s[0:1]
	s_cbranch_execz .LBB95_15
; %bb.14:                               ;   in Loop: Header=BB95_9 Depth=1
	ds_read2st64_b64 v[1:4], v18 offset1:4
	ds_read2st64_b64 v[19:22], v18 offset0:8 offset1:12
	s_waitcnt lgkmcnt(0)
	v_add_f64 v[3:4], v[3:4], v[19:20]
	v_add_f64 v[3:4], v[3:4], v[21:22]
	;; [unrolled: 1-line block ×3, first 2 shown]
	ds_write_b64 v18, v[1:2]
.LBB95_15:                              ;   in Loop: Header=BB95_9 Depth=1
	s_or_b64 exec, exec, s[12:13]
	s_waitcnt lgkmcnt(0)
	s_barrier
	s_and_saveexec_b64 s[12:13], s[2:3]
	s_cbranch_execz .LBB95_17
; %bb.16:                               ;   in Loop: Header=BB95_9 Depth=1
	ds_read2st64_b64 v[1:4], v18 offset1:1
	ds_read2st64_b64 v[19:22], v18 offset0:2 offset1:3
	s_waitcnt lgkmcnt(0)
	v_add_f64 v[3:4], v[3:4], v[19:20]
	v_add_f64 v[3:4], v[3:4], v[21:22]
	v_add_f64 v[1:2], v[1:2], v[3:4]
	ds_write_b64 v18, v[1:2]
.LBB95_17:                              ;   in Loop: Header=BB95_9 Depth=1
	s_or_b64 exec, exec, s[12:13]
	s_waitcnt lgkmcnt(0)
	s_barrier
	s_and_saveexec_b64 s[12:13], s[6:7]
	s_cbranch_execz .LBB95_19
; %bb.18:                               ;   in Loop: Header=BB95_9 Depth=1
	ds_read2_b64 v[1:4], v18 offset1:16
	ds_read2_b64 v[19:22], v18 offset0:32 offset1:48
	s_waitcnt lgkmcnt(0)
	v_add_f64 v[3:4], v[3:4], v[19:20]
	v_add_f64 v[3:4], v[3:4], v[21:22]
	;; [unrolled: 1-line block ×3, first 2 shown]
	ds_write_b64 v18, v[1:2]
.LBB95_19:                              ;   in Loop: Header=BB95_9 Depth=1
	s_or_b64 exec, exec, s[12:13]
	s_waitcnt lgkmcnt(0)
	s_barrier
	s_and_saveexec_b64 s[12:13], s[8:9]
	s_cbranch_execz .LBB95_21
; %bb.20:                               ;   in Loop: Header=BB95_9 Depth=1
	ds_read2_b64 v[1:4], v18 offset1:4
	ds_read2_b64 v[19:22], v18 offset0:8 offset1:12
	s_waitcnt lgkmcnt(0)
	v_add_f64 v[3:4], v[3:4], v[19:20]
	v_add_f64 v[3:4], v[3:4], v[21:22]
	;; [unrolled: 1-line block ×3, first 2 shown]
	ds_write_b64 v18, v[1:2]
.LBB95_21:                              ;   in Loop: Header=BB95_9 Depth=1
	s_or_b64 exec, exec, s[12:13]
	s_waitcnt lgkmcnt(0)
	s_barrier
	s_and_saveexec_b64 s[12:13], s[10:11]
	s_cbranch_execz .LBB95_23
; %bb.22:                               ;   in Loop: Header=BB95_9 Depth=1
	ds_read2_b64 v[1:4], v15 offset0:1 offset1:2
	ds_read_b64 v[7:8], v18
	s_waitcnt lgkmcnt(1)
	v_add_f64 v[1:2], v[1:2], v[3:4]
	ds_read_b64 v[3:4], v15 offset:24
	s_waitcnt lgkmcnt(0)
	v_add_f64 v[1:2], v[1:2], v[3:4]
	v_add_f64 v[1:2], v[7:8], v[1:2]
	ds_write_b64 v18, v[1:2]
.LBB95_23:                              ;   in Loop: Header=BB95_9 Depth=1
	s_or_b64 exec, exec, s[12:13]
	s_waitcnt lgkmcnt(0)
	s_barrier
	s_and_saveexec_b64 s[12:13], s[10:11]
	s_cbranch_execz .LBB95_8
; %bb.24:                               ;   in Loop: Header=BB95_9 Depth=1
	ds_read_b64 v[1:2], v15
	v_mov_b32_e32 v7, 0
	s_mov_b64 s[38:39], exec
	v_bfrev_b32_e32 v8, 1
	s_waitcnt lgkmcnt(0)
	v_mul_f64 v[1:2], v[10:11], v[1:2]
.LBB95_25:                              ;   Parent Loop BB95_9 Depth=1
                                        ; =>  This Inner Loop Header: Depth=2
	s_ff1_i32_b64 s33, s[38:39]
	v_readlane_b32 s41, v2, s33
	v_readlane_b32 s40, v1, s33
	v_add_f64 v[7:8], v[7:8], s[40:41]
	s_lshl_b64 s[40:41], 1, s33
	s_andn2_b64 s[38:39], s[38:39], s[40:41]
	s_cmp_lg_u64 s[38:39], 0
	s_cbranch_scc1 .LBB95_25
; %bb.26:                               ;   in Loop: Header=BB95_9 Depth=1
	v_mbcnt_lo_u32_b32 v1, exec_lo, 0
	v_mbcnt_hi_u32_b32 v1, exec_hi, v1
	v_cmp_eq_u32_e32 vcc, 0, v1
	s_and_saveexec_b64 s[38:39], vcc
	s_xor_b64 s[38:39], exec, s[38:39]
	s_cbranch_execz .LBB95_8
; %bb.27:                               ;   in Loop: Header=BB95_9 Depth=1
	s_add_u32 s36, s14, s36
	s_addc_u32 s37, s15, s37
	global_load_dwordx2 v[3:4], v15, s[36:37]
	s_mov_b64 s[38:39], 0
.LBB95_28:                              ;   Parent Loop BB95_9 Depth=1
                                        ; =>  This Inner Loop Header: Depth=2
	s_waitcnt vmcnt(0)
	v_add_f64 v[1:2], v[3:4], v[7:8]
	global_atomic_cmpswap_x2 v[1:2], v15, v[1:4], s[36:37] glc
	s_waitcnt vmcnt(0)
	v_cmp_eq_u64_e32 vcc, v[1:2], v[3:4]
	v_mov_b32_e32 v4, v2
	s_or_b64 s[38:39], vcc, s[38:39]
	v_mov_b32_e32 v3, v1
	s_andn2_b64 exec, exec, s[38:39]
	s_cbranch_execnz .LBB95_28
; %bb.29:                               ;   in Loop: Header=BB95_9 Depth=1
	s_or_b64 exec, exec, s[38:39]
	s_branch .LBB95_8
.LBB95_30:
	s_lshl_b64 s[0:1], s[24:25], 3
	s_add_u32 s0, s16, s0
	s_addc_u32 s1, s17, s1
	s_lshl_b64 s[2:3], s[26:27], 3
	s_add_u32 s2, s16, s2
	s_addc_u32 s3, s17, s3
	s_load_dwordx2 s[8:9], s[0:1], 0x0
	s_load_dwordx2 s[6:7], s[2:3], 0x0
	s_waitcnt lgkmcnt(0)
	v_mov_b32_e32 v1, s9
	s_sub_u32 s6, s6, s30
	v_add_co_u32_e32 v5, vcc, s8, v9
	s_subb_u32 s7, s7, 0
	v_addc_co_u32_e32 v6, vcc, v1, v14, vcc
	v_cmp_gt_i64_e32 vcc, s[6:7], v[5:6]
	s_and_saveexec_b64 s[8:9], vcc
	s_cbranch_execz .LBB95_40
; %bb.31:
	s_add_u32 s10, s26, -1
	s_addc_u32 s11, s27, -1
	v_mov_b32_e32 v1, s10
	s_add_u32 s0, s26, -2
	v_mov_b32_e32 v2, s11
	s_addc_u32 s1, s27, -1
	v_cmp_lt_i64_e32 vcc, s[24:25], v[1:2]
	s_cmp_lg_u64 s[24:25], s[0:1]
	s_cselect_b64 s[0:1], -1, 0
	s_and_b64 s[0:1], vcc, s[0:1]
	v_cndmask_b32_e64 v1, 0, 1, s[0:1]
	s_mov_b64 s[12:13], 0
	v_cmp_ne_u32_e64 s[0:1], 1, v1
	v_mov_b32_e32 v9, s17
	v_mov_b32_e32 v14, s19
	s_branch .LBB95_33
.LBB95_32:                              ;   in Loop: Header=BB95_33 Depth=1
	s_or_b64 exec, exec, s[2:3]
	v_add_co_u32_e32 v5, vcc, 0x100, v5
	v_addc_co_u32_e32 v6, vcc, 0, v6, vcc
	v_cmp_le_i64_e32 vcc, s[6:7], v[5:6]
	s_or_b64 s[12:13], vcc, s[12:13]
	s_andn2_b64 exec, exec, s[12:13]
	s_cbranch_execz .LBB95_40
.LBB95_33:                              ; =>This Loop Header: Depth=1
                                        ;     Child Loop BB95_35 Depth 2
                                        ;     Child Loop BB95_39 Depth 2
	v_mov_b32_e32 v1, s24
	v_mov_b32_e32 v3, s10
	s_and_b64 vcc, exec, s[0:1]
	v_mov_b32_e32 v2, s25
	v_mov_b32_e32 v4, s11
	s_cbranch_vccnz .LBB95_37
; %bb.34:                               ;   in Loop: Header=BB95_33 Depth=1
	v_mov_b32_e32 v1, s24
	v_mov_b32_e32 v3, s10
	s_mov_b64 s[34:35], 0
	v_mov_b32_e32 v2, s25
	v_mov_b32_e32 v4, s11
.LBB95_35:                              ;   Parent Loop BB95_33 Depth=1
                                        ; =>  This Inner Loop Header: Depth=2
	v_add_co_u32_e32 v7, vcc, v3, v1
	v_addc_co_u32_e32 v8, vcc, v4, v2, vcc
	v_lshrrev_b32_e32 v12, 31, v8
	v_add_co_u32_e32 v7, vcc, v7, v12
	v_addc_co_u32_e32 v8, vcc, 0, v8, vcc
	v_ashrrev_i64 v[7:8], 1, v[7:8]
	v_mov_b32_e32 v15, s17
	v_lshlrev_b64 v[12:13], 3, v[7:8]
	v_add_co_u32_e32 v12, vcc, s16, v12
	v_addc_co_u32_e32 v13, vcc, v15, v13, vcc
	global_load_dwordx2 v[12:13], v[12:13], off
	s_waitcnt vmcnt(0)
	v_subrev_co_u32_e32 v12, vcc, s30, v12
	v_subbrev_co_u32_e32 v13, vcc, 0, v13, vcc
	v_cmp_lt_i64_e32 vcc, v[5:6], v[12:13]
	v_cndmask_b32_e32 v3, v3, v7, vcc
	v_cndmask_b32_e32 v4, v4, v8, vcc
	;; [unrolled: 1-line block ×3, first 2 shown]
	v_add_co_u32_e64 v7, s[2:3], -1, v3
	v_cndmask_b32_e32 v2, v8, v2, vcc
	v_addc_co_u32_e64 v8, s[2:3], -1, v4, s[2:3]
	v_cmp_ge_i64_e32 vcc, v[1:2], v[3:4]
	v_cmp_eq_u64_e64 s[2:3], v[1:2], v[7:8]
	s_or_b64 s[2:3], vcc, s[2:3]
	s_and_b64 s[2:3], exec, s[2:3]
	s_or_b64 s[34:35], s[2:3], s[34:35]
	s_andn2_b64 exec, exec, s[34:35]
	s_cbranch_execnz .LBB95_35
; %bb.36:                               ;   in Loop: Header=BB95_33 Depth=1
	s_or_b64 exec, exec, s[34:35]
.LBB95_37:                              ;   in Loop: Header=BB95_33 Depth=1
	v_lshlrev_b64 v[7:8], 3, v[3:4]
	v_lshlrev_b64 v[12:13], 2, v[5:6]
	v_add_co_u32_e32 v7, vcc, s16, v7
	v_addc_co_u32_e32 v8, vcc, v9, v8, vcc
	global_load_dwordx2 v[7:8], v[7:8], off
	v_add_co_u32_e32 v15, vcc, s18, v12
	v_addc_co_u32_e32 v16, vcc, v14, v13, vcc
	global_load_dword v17, v[15:16], off
	s_waitcnt vmcnt(1)
	v_subrev_co_u32_e32 v15, vcc, s30, v7
	v_subbrev_co_u32_e32 v16, vcc, 0, v8, vcc
	v_cmp_lt_i64_e32 vcc, v[5:6], v[15:16]
	s_waitcnt vmcnt(0)
	v_subrev_u32_e32 v7, s30, v17
	v_cndmask_b32_e32 v2, v4, v2, vcc
	v_cndmask_b32_e32 v1, v3, v1, vcc
	v_ashrrev_i32_e32 v8, 31, v7
	v_cmp_ne_u64_e32 vcc, v[1:2], v[7:8]
	s_and_saveexec_b64 s[2:3], vcc
	s_cbranch_execz .LBB95_32
; %bb.38:                               ;   in Loop: Header=BB95_33 Depth=1
	v_mov_b32_e32 v4, s21
	v_add_co_u32_e32 v3, vcc, s20, v12
	v_addc_co_u32_e32 v4, vcc, v4, v13, vcc
	global_load_dword v12, v[3:4], off
	v_lshlrev_b64 v[1:2], 3, v[1:2]
	v_mov_b32_e32 v3, s23
	v_add_co_u32_e32 v1, vcc, s22, v1
	v_addc_co_u32_e32 v2, vcc, v3, v2, vcc
	global_load_dwordx2 v[1:2], v[1:2], off
	v_lshlrev_b64 v[3:4], 3, v[7:8]
	v_mov_b32_e32 v8, s15
	v_add_co_u32_e32 v7, vcc, s14, v3
	v_addc_co_u32_e32 v8, vcc, v8, v4, vcc
	global_load_dwordx2 v[3:4], v[7:8], off
	s_mov_b64 s[34:35], 0
	s_waitcnt vmcnt(2)
	v_cvt_f64_f32_e32 v[12:13], v12
	v_mul_f64 v[12:13], v[10:11], v[12:13]
	s_waitcnt vmcnt(1)
	v_mul_f64 v[12:13], v[1:2], v[12:13]
.LBB95_39:                              ;   Parent Loop BB95_33 Depth=1
                                        ; =>  This Inner Loop Header: Depth=2
	s_waitcnt vmcnt(0)
	v_add_f64 v[1:2], v[3:4], v[12:13]
	global_atomic_cmpswap_x2 v[1:2], v[7:8], v[1:4], off glc
	s_waitcnt vmcnt(0)
	v_cmp_eq_u64_e32 vcc, v[1:2], v[3:4]
	v_mov_b32_e32 v4, v2
	s_or_b64 s[34:35], vcc, s[34:35]
	v_mov_b32_e32 v3, v1
	s_andn2_b64 exec, exec, s[34:35]
	s_cbranch_execnz .LBB95_39
	s_branch .LBB95_32
.LBB95_40:
	s_or_b64 exec, exec, s[8:9]
	s_mov_b64 s[0:1], 0
.LBB95_41:
	s_and_b64 vcc, exec, s[0:1]
	s_cbranch_vccz .LBB95_167
; %bb.42:
	s_load_dword s0, s[4:5], 0x6c
	v_mov_b32_e32 v1, s28
	s_mov_b32 s13, 0
	v_mov_b32_e32 v2, s29
	s_mov_b64 s[36:37], 0
	s_waitcnt lgkmcnt(0)
	s_and_b32 s12, s0, 0xffff
	v_cmp_lt_u64_e32 vcc, s[12:13], v[1:2]
	s_cbranch_vccnz .LBB95_44
; %bb.43:
	v_cvt_f32_u32_e32 v1, s28
	s_sub_i32 s0, 0, s28
	v_rcp_iflag_f32_e32 v1, v1
	v_mul_f32_e32 v1, 0x4f7ffffe, v1
	v_cvt_u32_f32_e32 v1, v1
	v_readfirstlane_b32 s1, v1
	s_mul_i32 s0, s0, s1
	s_mul_hi_u32 s0, s1, s0
	s_add_i32 s1, s1, s0
	s_mul_hi_u32 s0, s12, s1
	s_mul_i32 s2, s0, s28
	s_sub_i32 s2, s12, s2
	s_add_i32 s1, s0, 1
	s_sub_i32 s3, s2, s28
	s_cmp_ge_u32 s2, s28
	s_cselect_b32 s0, s1, s0
	s_cselect_b32 s2, s3, s2
	s_add_i32 s1, s0, 1
	s_cmp_ge_u32 s2, s28
	s_cselect_b32 s36, s1, s0
.LBB95_44:
	s_lshl_b64 s[0:1], s[24:25], 3
	s_add_u32 s34, s16, s0
	s_addc_u32 s35, s17, s1
	s_load_dwordx2 s[6:7], s[34:35], 0x0
	s_load_dwordx4 s[8:11], s[4:5], 0x8
	v_subrev_co_u32_e32 v1, vcc, s30, v0
	v_subb_co_u32_e64 v2, s[0:1], 0, 0, vcc
	s_waitcnt lgkmcnt(0)
	v_mov_b32_e32 v3, s7
	v_add_co_u32_e32 v6, vcc, s6, v1
	v_addc_co_u32_e32 v7, vcc, v3, v2, vcc
	v_add_co_u32_e32 v8, vcc, 0x300, v6
	v_addc_co_u32_e32 v9, vcc, 0, v7, vcc
	v_cmp_le_i64_e64 s[0:1], s[8:9], v[8:9]
	v_mov_b32_e32 v1, 0
	s_and_saveexec_b64 s[2:3], s[0:1]
	s_xor_b64 s[2:3], exec, s[2:3]
	s_cbranch_execnz .LBB95_47
; %bb.45:
	s_or_saveexec_b64 s[2:3], s[2:3]
	v_lshlrev_b64 v[2:3], 2, v[6:7]
	s_xor_b64 exec, exec, s[2:3]
	s_cbranch_execnz .LBB95_51
.LBB95_46:
	s_or_b64 exec, exec, s[2:3]
	v_cmp_gt_i64_e32 vcc, s[10:11], v[0:1]
	s_and_saveexec_b64 s[2:3], vcc
	s_cbranch_execnz .LBB95_52
	s_branch .LBB95_54
.LBB95_47:
	s_lshl_b64 s[4:5], s[26:27], 3
	s_add_u32 s4, s16, s4
	s_addc_u32 s5, s17, s5
	s_load_dwordx2 s[4:5], s[4:5], 0x0
	s_waitcnt lgkmcnt(0)
	s_sub_u32 s4, s4, s6
	s_subb_u32 s5, s5, s7
	v_cmp_gt_i64_e32 vcc, s[4:5], v[0:1]
	s_and_saveexec_b64 s[8:9], vcc
	s_cbranch_execz .LBB95_50
; %bb.48:
	v_lshlrev_b64 v[2:3], 2, v[6:7]
	v_mov_b32_e32 v4, s21
	v_add_co_u32_e32 v2, vcc, s20, v2
	v_addc_co_u32_e32 v3, vcc, v4, v3, vcc
	v_mov_b32_e32 v5, v1
	s_mov_b64 s[38:39], 0
	v_mov_b32_e32 v12, v18
	v_mov_b32_e32 v4, v0
.LBB95_49:                              ; =>This Inner Loop Header: Depth=1
	global_load_dword v13, v[2:3], off
	v_add_co_u32_e32 v2, vcc, 0x400, v2
	v_addc_co_u32_e32 v3, vcc, 0, v3, vcc
	v_add_co_u32_e32 v4, vcc, 0x100, v4
	v_addc_co_u32_e32 v5, vcc, 0, v5, vcc
	v_cmp_le_i64_e32 vcc, s[4:5], v[4:5]
	s_or_b64 s[38:39], vcc, s[38:39]
	s_waitcnt vmcnt(0)
	v_cvt_f64_f32_e32 v[13:14], v13
	v_mul_f64 v[13:14], v[10:11], v[13:14]
	ds_write_b64 v12, v[13:14]
	v_add_u32_e32 v12, 0x800, v12
	s_andn2_b64 exec, exec, s[38:39]
	s_cbranch_execnz .LBB95_49
.LBB95_50:
	s_or_b64 exec, exec, s[8:9]
                                        ; implicit-def: $vgpr10_vgpr11
	s_or_saveexec_b64 s[2:3], s[2:3]
	v_lshlrev_b64 v[2:3], 2, v[6:7]
	s_xor_b64 exec, exec, s[2:3]
	s_cbranch_execz .LBB95_46
.LBB95_51:
	v_mov_b32_e32 v5, s21
	v_add_co_u32_e32 v4, vcc, s20, v2
	v_addc_co_u32_e32 v5, vcc, v5, v3, vcc
	global_load_dword v12, v[4:5], off
	global_load_dword v13, v[4:5], off offset:1024
	global_load_dword v14, v[4:5], off offset:2048
	;; [unrolled: 1-line block ×3, first 2 shown]
	s_waitcnt vmcnt(3)
	v_cvt_f64_f32_e32 v[4:5], v12
	s_waitcnt vmcnt(2)
	v_cvt_f64_f32_e32 v[12:13], v13
	;; [unrolled: 2-line block ×4, first 2 shown]
	v_mul_f64 v[4:5], v[10:11], v[4:5]
	v_mul_f64 v[12:13], v[10:11], v[12:13]
	;; [unrolled: 1-line block ×4, first 2 shown]
	ds_write2st64_b64 v18, v[4:5], v[12:13] offset1:4
	ds_write2st64_b64 v18, v[14:15], v[10:11] offset0:8 offset1:12
	s_or_b64 exec, exec, s[2:3]
	v_cmp_gt_i64_e32 vcc, s[10:11], v[0:1]
	s_and_saveexec_b64 s[2:3], vcc
	s_cbranch_execz .LBB95_54
.LBB95_52:
	v_mov_b32_e32 v4, 0x2000
	v_lshl_add_u32 v12, v0, 3, v4
	v_mov_b32_e32 v4, 0
	v_mov_b32_e32 v11, v1
	s_mov_b64 s[4:5], 0
	v_mov_b32_e32 v5, v4
	v_mov_b32_e32 v10, v0
.LBB95_53:                              ; =>This Inner Loop Header: Depth=1
	v_add_co_u32_e32 v10, vcc, 0x100, v10
	v_addc_co_u32_e32 v11, vcc, 0, v11, vcc
	v_cmp_le_i64_e32 vcc, s[10:11], v[10:11]
	ds_write_b64 v12, v[4:5]
	s_or_b64 s[4:5], vcc, s[4:5]
	v_add_u32_e32 v12, 0x800, v12
	s_andn2_b64 exec, exec, s[4:5]
	s_cbranch_execnz .LBB95_53
.LBB95_54:
	s_or_b64 exec, exec, s[2:3]
	v_mov_b32_e32 v4, s10
	v_mov_b32_e32 v5, s11
	s_sub_u32 s4, s26, s10
	v_cmp_ge_i64_e32 vcc, s[26:27], v[4:5]
	s_subb_u32 s5, s27, s11
	s_and_b64 s[2:3], vcc, exec
	s_cselect_b32 s9, s5, 0
	s_cselect_b32 s8, s4, 0
	s_waitcnt lgkmcnt(0)
	s_barrier
	s_and_saveexec_b64 s[2:3], s[0:1]
	s_xor_b64 s[20:21], exec, s[2:3]
	s_cbranch_execz .LBB95_75
; %bb.55:
	s_lshl_b64 s[0:1], s[26:27], 3
	s_add_u32 s0, s16, s0
	s_addc_u32 s1, s17, s1
	s_load_dwordx2 s[0:1], s[0:1], 0x0
	s_waitcnt lgkmcnt(0)
	s_sub_u32 s38, s0, s6
	s_subb_u32 s39, s1, s7
	v_cmp_gt_i64_e32 vcc, s[38:39], v[0:1]
	s_and_saveexec_b64 s[40:41], vcc
	s_cbranch_execz .LBB95_74
; %bb.56:
	s_add_u32 s42, s26, -1
	s_addc_u32 s43, s27, -1
	s_add_u32 s2, s26, -2
	s_addc_u32 s3, s27, -1
	s_cmp_lg_u64 s[24:25], s[2:3]
	s_cselect_b64 s[2:3], -1, 0
	s_sub_u32 s44, s0, s30
	v_cndmask_b32_e64 v2, 0, 1, s[2:3]
	s_subb_u32 s45, s1, 0
	s_mov_b64 s[46:47], 0
	v_cmp_ne_u32_e64 s[0:1], 1, v2
	v_mov_b32_e32 v16, s17
	v_mov_b32_e32 v17, s19
	;; [unrolled: 1-line block ×4, first 2 shown]
	s_mov_b64 s[48:49], 0
	s_branch .LBB95_59
.LBB95_57:                              ;   in Loop: Header=BB95_59 Depth=1
	s_or_b64 exec, exec, s[2:3]
.LBB95_58:                              ;   in Loop: Header=BB95_59 Depth=1
	s_or_b64 exec, exec, s[4:5]
	v_lshlrev_b64 v[2:3], 3, v[8:9]
	s_add_u32 s48, s48, 0x100
	v_add_co_u32_e32 v2, vcc, s22, v2
	v_addc_co_u32_e32 v3, vcc, v19, v3, vcc
	global_load_dwordx2 v[2:3], v[2:3], off
	s_addc_u32 s49, s49, 0
	v_mov_b32_e32 v5, s49
	v_add_co_u32_e32 v4, vcc, s48, v0
	v_addc_co_u32_e32 v5, vcc, 0, v5, vcc
	v_cmp_le_i64_e32 vcc, s[38:39], v[4:5]
	v_lshlrev_b32_e32 v4, 3, v21
	s_or_b64 s[46:47], vcc, s[46:47]
	s_waitcnt vmcnt(0) lgkmcnt(0)
	v_mul_f64 v[2:3], v[2:3], v[10:11]
	ds_write_b64 v4, v[2:3]
	s_andn2_b64 exec, exec, s[46:47]
	s_cbranch_execz .LBB95_74
.LBB95_59:                              ; =>This Loop Header: Depth=1
                                        ;     Child Loop BB95_61 Depth 2
                                        ;     Child Loop BB95_68 Depth 2
	;; [unrolled: 1-line block ×3, first 2 shown]
	v_mov_b32_e32 v3, s49
	v_add_co_u32_e32 v2, vcc, s48, v6
	v_addc_co_u32_e32 v3, vcc, v3, v7, vcc
	v_mov_b32_e32 v4, s24
	v_mov_b32_e32 v10, s42
	s_and_b64 vcc, exec, s[0:1]
	v_mov_b32_e32 v5, s25
	v_mov_b32_e32 v11, s43
	s_cbranch_vccnz .LBB95_63
; %bb.60:                               ;   in Loop: Header=BB95_59 Depth=1
	v_mov_b32_e32 v4, s24
	v_mov_b32_e32 v10, s42
	s_mov_b64 s[4:5], 0
	v_mov_b32_e32 v5, s25
	v_mov_b32_e32 v11, s43
.LBB95_61:                              ;   Parent Loop BB95_59 Depth=1
                                        ; =>  This Inner Loop Header: Depth=2
	v_add_co_u32_e32 v8, vcc, v10, v4
	v_addc_co_u32_e32 v9, vcc, v11, v5, vcc
	v_lshrrev_b32_e32 v12, 31, v9
	v_add_co_u32_e32 v8, vcc, v8, v12
	v_addc_co_u32_e32 v9, vcc, 0, v9, vcc
	v_ashrrev_i64 v[8:9], 1, v[8:9]
	v_mov_b32_e32 v14, s17
	v_lshlrev_b64 v[12:13], 3, v[8:9]
	v_add_co_u32_e32 v12, vcc, s16, v12
	v_addc_co_u32_e32 v13, vcc, v14, v13, vcc
	global_load_dwordx2 v[12:13], v[12:13], off
	s_waitcnt vmcnt(0)
	v_subrev_co_u32_e32 v12, vcc, s30, v12
	v_subbrev_co_u32_e32 v13, vcc, 0, v13, vcc
	v_cmp_lt_i64_e32 vcc, v[2:3], v[12:13]
	v_cndmask_b32_e32 v10, v10, v8, vcc
	v_cndmask_b32_e32 v11, v11, v9, vcc
	;; [unrolled: 1-line block ×3, first 2 shown]
	v_add_co_u32_e64 v8, s[2:3], -1, v10
	v_cndmask_b32_e32 v5, v9, v5, vcc
	v_addc_co_u32_e64 v9, s[2:3], -1, v11, s[2:3]
	v_cmp_ge_i64_e32 vcc, v[4:5], v[10:11]
	v_cmp_eq_u64_e64 s[2:3], v[4:5], v[8:9]
	s_or_b64 s[2:3], vcc, s[2:3]
	s_and_b64 s[2:3], exec, s[2:3]
	s_or_b64 s[4:5], s[2:3], s[4:5]
	s_andn2_b64 exec, exec, s[4:5]
	s_cbranch_execnz .LBB95_61
; %bb.62:                               ;   in Loop: Header=BB95_59 Depth=1
	s_or_b64 exec, exec, s[4:5]
.LBB95_63:                              ;   in Loop: Header=BB95_59 Depth=1
	v_lshlrev_b64 v[8:9], 3, v[10:11]
	v_lshlrev_b64 v[12:13], 2, v[2:3]
	v_add_co_u32_e32 v8, vcc, s16, v8
	v_addc_co_u32_e32 v9, vcc, v16, v9, vcc
	global_load_dwordx2 v[8:9], v[8:9], off
	v_add_co_u32_e32 v12, vcc, s18, v12
	v_addc_co_u32_e32 v13, vcc, v17, v13, vcc
	global_load_dword v14, v[12:13], off
	v_cmp_le_i64_e32 vcc, s[44:45], v[2:3]
	v_add_co_u32_e64 v21, s[4:5], s48, v0
	s_waitcnt vmcnt(1)
	v_subrev_co_u32_e64 v12, s[2:3], s30, v8
	v_subbrev_co_u32_e64 v13, s[2:3], 0, v9, s[2:3]
	v_cmp_lt_i64_e64 s[2:3], v[2:3], v[12:13]
	s_waitcnt vmcnt(0)
	v_subrev_u32_e32 v8, s30, v14
	v_cndmask_b32_e64 v3, v11, v5, s[2:3]
	v_ashrrev_i32_e32 v9, 31, v8
	v_cndmask_b32_e64 v2, v10, v4, s[2:3]
	v_cmp_eq_u64_e64 s[2:3], v[2:3], v[8:9]
	v_lshlrev_b32_e32 v14, 3, v21
	s_or_b64 s[2:3], s[2:3], vcc
                                        ; implicit-def: $vgpr10_vgpr11
	s_and_saveexec_b64 s[4:5], s[2:3]
	s_xor_b64 s[2:3], exec, s[4:5]
; %bb.64:                               ;   in Loop: Header=BB95_59 Depth=1
	ds_read_b64 v[10:11], v14
                                        ; implicit-def: $vgpr2_vgpr3
                                        ; implicit-def: $vgpr14
; %bb.65:                               ;   in Loop: Header=BB95_59 Depth=1
	s_andn2_saveexec_b64 s[4:5], s[2:3]
	s_cbranch_execz .LBB95_58
; %bb.66:                               ;   in Loop: Header=BB95_59 Depth=1
	v_cmp_gt_i64_e32 vcc, s[8:9], v[8:9]
	v_cmp_le_i64_e64 s[2:3], s[26:27], v[8:9]
	v_lshlrev_b64 v[2:3], 3, v[2:3]
	s_or_b64 s[2:3], vcc, s[2:3]
                                        ; implicit-def: $vgpr10_vgpr11
	s_and_saveexec_b64 s[50:51], s[2:3]
	s_xor_b64 s[2:3], exec, s[50:51]
	s_cbranch_execz .LBB95_70
; %bb.67:                               ;   in Loop: Header=BB95_59 Depth=1
	v_mov_b32_e32 v4, s23
	v_add_co_u32_e32 v2, vcc, s22, v2
	v_addc_co_u32_e32 v3, vcc, v4, v3, vcc
	global_load_dwordx2 v[2:3], v[2:3], off
	v_lshlrev_b64 v[4:5], 3, v[8:9]
	s_waitcnt lgkmcnt(0)
	v_mov_b32_e32 v10, s15
	v_add_co_u32_e32 v12, vcc, s14, v4
	v_addc_co_u32_e32 v13, vcc, v10, v5, vcc
	global_load_dwordx2 v[4:5], v[12:13], off
	ds_read_b64 v[10:11], v14
	s_mov_b64 s[50:51], 0
	s_waitcnt vmcnt(1) lgkmcnt(0)
	v_mul_f64 v[14:15], v[10:11], v[2:3]
.LBB95_68:                              ;   Parent Loop BB95_59 Depth=1
                                        ; =>  This Inner Loop Header: Depth=2
	s_waitcnt vmcnt(0)
	v_add_f64 v[2:3], v[4:5], v[14:15]
	global_atomic_cmpswap_x2 v[2:3], v[12:13], v[2:5], off glc
	s_waitcnt vmcnt(0)
	v_cmp_eq_u64_e32 vcc, v[2:3], v[4:5]
	v_mov_b32_e32 v5, v3
	s_or_b64 s[50:51], vcc, s[50:51]
	v_mov_b32_e32 v4, v2
	s_andn2_b64 exec, exec, s[50:51]
	s_cbranch_execnz .LBB95_68
; %bb.69:                               ;   in Loop: Header=BB95_59 Depth=1
	s_or_b64 exec, exec, s[50:51]
                                        ; implicit-def: $vgpr14
                                        ; implicit-def: $vgpr2_vgpr3
.LBB95_70:                              ;   in Loop: Header=BB95_59 Depth=1
	s_andn2_saveexec_b64 s[2:3], s[2:3]
	s_cbranch_execz .LBB95_57
; %bb.71:                               ;   in Loop: Header=BB95_59 Depth=1
	v_add_co_u32_e32 v2, vcc, s22, v2
	v_addc_co_u32_e32 v3, vcc, v19, v3, vcc
	global_load_dwordx2 v[2:3], v[2:3], off
	s_waitcnt lgkmcnt(0)
	ds_read_b64 v[10:11], v14
	v_subrev_u32_e32 v4, s8, v8
	v_lshl_add_u32 v12, v4, 3, v20
	ds_read_b64 v[4:5], v12
	s_mov_b64 s[50:51], 0
	s_waitcnt vmcnt(0) lgkmcnt(1)
	v_mul_f64 v[2:3], v[10:11], v[2:3]
.LBB95_72:                              ;   Parent Loop BB95_59 Depth=1
                                        ; =>  This Inner Loop Header: Depth=2
	s_waitcnt lgkmcnt(0)
	v_add_f64 v[13:14], v[4:5], v[2:3]
	ds_cmpst_rtn_b64 v[13:14], v12, v[4:5], v[13:14]
	s_waitcnt lgkmcnt(0)
	v_cmp_eq_u64_e32 vcc, v[13:14], v[4:5]
	v_mov_b32_e32 v4, v13
	s_or_b64 s[50:51], vcc, s[50:51]
	v_mov_b32_e32 v5, v14
	s_andn2_b64 exec, exec, s[50:51]
	s_cbranch_execnz .LBB95_72
; %bb.73:                               ;   in Loop: Header=BB95_59 Depth=1
	s_or_b64 exec, exec, s[50:51]
	s_branch .LBB95_57
.LBB95_74:
	s_or_b64 exec, exec, s[40:41]
                                        ; implicit-def: $vgpr8_vgpr9
                                        ; implicit-def: $vgpr6
                                        ; implicit-def: $vgpr2_vgpr3
.LBB95_75:
	s_andn2_saveexec_b64 s[4:5], s[20:21]
	s_cbranch_execz .LBB95_133
; %bb.76:
	s_add_u32 s20, s26, -1
	s_addc_u32 s21, s27, -1
	s_add_u32 s0, s26, -2
	s_addc_u32 s1, s27, -1
	s_cmp_lg_u64 s[24:25], s[0:1]
	v_mov_b32_e32 v4, s24
	v_mov_b32_e32 v13, s20
	s_cselect_b64 s[2:3], -1, 0
	s_cmp_eq_u64 s[24:25], s[0:1]
	v_mov_b32_e32 v5, s25
	v_mov_b32_e32 v14, s21
	s_cbranch_scc1 .LBB95_80
; %bb.77:
	v_mov_b32_e32 v4, s24
	v_mov_b32_e32 v13, s20
	s_mov_b64 s[38:39], 0
	v_mov_b32_e32 v5, s25
	v_mov_b32_e32 v14, s21
	;; [unrolled: 1-line block ×3, first 2 shown]
.LBB95_78:                              ; =>This Inner Loop Header: Depth=1
	v_add_co_u32_e32 v11, vcc, v13, v4
	v_addc_co_u32_e32 v12, vcc, v14, v5, vcc
	v_lshrrev_b32_e32 v15, 31, v12
	v_add_co_u32_e32 v11, vcc, v11, v15
	v_addc_co_u32_e32 v12, vcc, 0, v12, vcc
	v_ashrrev_i64 v[11:12], 1, v[11:12]
	v_lshlrev_b64 v[15:16], 3, v[11:12]
	v_add_co_u32_e32 v15, vcc, s16, v15
	v_addc_co_u32_e32 v16, vcc, v10, v16, vcc
	global_load_dwordx2 v[15:16], v[15:16], off
	s_waitcnt vmcnt(0)
	v_subrev_co_u32_e32 v15, vcc, s30, v15
	v_subbrev_co_u32_e32 v16, vcc, 0, v16, vcc
	v_cmp_lt_i64_e32 vcc, v[6:7], v[15:16]
	v_cndmask_b32_e32 v13, v13, v11, vcc
	v_cndmask_b32_e32 v14, v14, v12, vcc
	;; [unrolled: 1-line block ×3, first 2 shown]
	v_add_co_u32_e64 v11, s[0:1], -1, v13
	v_cndmask_b32_e32 v5, v12, v5, vcc
	v_addc_co_u32_e64 v12, s[0:1], -1, v14, s[0:1]
	v_cmp_ge_i64_e32 vcc, v[4:5], v[13:14]
	v_cmp_eq_u64_e64 s[0:1], v[4:5], v[11:12]
	s_or_b64 s[0:1], vcc, s[0:1]
	s_and_b64 s[0:1], exec, s[0:1]
	s_or_b64 s[38:39], s[0:1], s[38:39]
	s_andn2_b64 exec, exec, s[38:39]
	s_cbranch_execnz .LBB95_78
; %bb.79:
	s_or_b64 exec, exec, s[38:39]
.LBB95_80:
	v_lshlrev_b64 v[15:16], 3, v[13:14]
	v_mov_b32_e32 v11, s19
	v_add_co_u32_e32 v10, vcc, s18, v2
	v_addc_co_u32_e32 v11, vcc, v11, v3, vcc
	v_mov_b32_e32 v12, s17
	v_add_co_u32_e32 v2, vcc, s16, v15
	v_addc_co_u32_e32 v3, vcc, v12, v16, vcc
	global_load_dwordx2 v[2:3], v[2:3], off
	s_lshl_b64 s[0:1], s[26:27], 3
	global_load_dword v17, v[10:11], off
	s_add_u32 s18, s16, s0
	s_addc_u32 s19, s17, s1
	s_waitcnt vmcnt(1)
	v_subrev_co_u32_e32 v2, vcc, s30, v2
	v_subbrev_co_u32_e32 v3, vcc, 0, v3, vcc
	v_cmp_lt_i64_e32 vcc, v[6:7], v[2:3]
	s_waitcnt vmcnt(0)
	v_subrev_u32_e32 v12, s30, v17
	v_cndmask_b32_e32 v3, v14, v5, vcc
	v_cndmask_b32_e32 v2, v13, v4, vcc
	v_ashrrev_i32_e32 v13, 31, v12
	v_cmp_ne_u64_e32 vcc, v[2:3], v[12:13]
	s_and_saveexec_b64 s[38:39], vcc
	s_cbranch_execz .LBB95_90
; %bb.81:
	s_load_dwordx2 s[0:1], s[18:19], 0x0
	s_waitcnt lgkmcnt(0)
	s_sub_u32 s0, s0, s30
	s_subb_u32 s1, s1, 0
	v_cmp_gt_i64_e32 vcc, s[0:1], v[6:7]
	s_and_b64 exec, exec, vcc
	s_cbranch_execz .LBB95_90
; %bb.82:
	v_cmp_gt_i64_e32 vcc, s[8:9], v[12:13]
	v_cmp_le_i64_e64 s[0:1], s[26:27], v[12:13]
	v_lshlrev_b64 v[2:3], 3, v[2:3]
	s_or_b64 s[0:1], vcc, s[0:1]
	s_and_saveexec_b64 s[40:41], s[0:1]
	s_xor_b64 s[0:1], exec, s[40:41]
	s_cbranch_execz .LBB95_86
; %bb.83:
	v_mov_b32_e32 v4, s23
	v_add_co_u32_e32 v2, vcc, s22, v2
	v_addc_co_u32_e32 v3, vcc, v4, v3, vcc
	global_load_dwordx2 v[2:3], v[2:3], off
	v_lshlrev_b64 v[4:5], 3, v[12:13]
	v_mov_b32_e32 v15, s15
	v_add_co_u32_e32 v14, vcc, s14, v4
	v_addc_co_u32_e32 v15, vcc, v15, v5, vcc
	global_load_dwordx2 v[4:5], v[14:15], off
	ds_read_b64 v[16:17], v18
	s_mov_b64 s[40:41], 0
	s_waitcnt vmcnt(1) lgkmcnt(0)
	v_mul_f64 v[16:17], v[16:17], v[2:3]
.LBB95_84:                              ; =>This Inner Loop Header: Depth=1
	s_waitcnt vmcnt(0)
	v_add_f64 v[2:3], v[4:5], v[16:17]
	global_atomic_cmpswap_x2 v[2:3], v[14:15], v[2:5], off glc
	s_waitcnt vmcnt(0)
	v_cmp_eq_u64_e32 vcc, v[2:3], v[4:5]
	v_mov_b32_e32 v5, v3
	s_or_b64 s[40:41], vcc, s[40:41]
	v_mov_b32_e32 v4, v2
	s_andn2_b64 exec, exec, s[40:41]
	s_cbranch_execnz .LBB95_84
; %bb.85:
	s_or_b64 exec, exec, s[40:41]
                                        ; implicit-def: $vgpr2_vgpr3
.LBB95_86:
	s_andn2_saveexec_b64 s[0:1], s[0:1]
	s_cbranch_execz .LBB95_90
; %bb.87:
	v_mov_b32_e32 v4, s23
	v_add_co_u32_e32 v2, vcc, s22, v2
	v_addc_co_u32_e32 v3, vcc, v4, v3, vcc
	global_load_dwordx2 v[2:3], v[2:3], off
	ds_read_b64 v[4:5], v18
	v_subrev_u32_e32 v14, s8, v12
	s_mov_b64 s[0:1], 0
	s_waitcnt vmcnt(0) lgkmcnt(0)
	v_mul_f64 v[2:3], v[4:5], v[2:3]
	v_mov_b32_e32 v4, 0x2000
	v_lshl_add_u32 v14, v14, 3, v4
	ds_read_b64 v[4:5], v14
.LBB95_88:                              ; =>This Inner Loop Header: Depth=1
	s_waitcnt lgkmcnt(0)
	v_add_f64 v[15:16], v[4:5], v[2:3]
	ds_cmpst_rtn_b64 v[15:16], v14, v[4:5], v[15:16]
	s_waitcnt lgkmcnt(0)
	v_cmp_eq_u64_e32 vcc, v[15:16], v[4:5]
	v_mov_b32_e32 v4, v15
	s_or_b64 s[0:1], vcc, s[0:1]
	v_mov_b32_e32 v5, v16
	s_andn2_b64 exec, exec, s[0:1]
	s_cbranch_execnz .LBB95_88
; %bb.89:
	s_or_b64 exec, exec, s[0:1]
.LBB95_90:
	s_or_b64 exec, exec, s[38:39]
	v_lshlrev_b64 v[2:3], 3, v[12:13]
	v_mov_b32_e32 v4, s23
	v_add_co_u32_e32 v2, vcc, s22, v2
	v_addc_co_u32_e32 v3, vcc, v4, v3, vcc
	global_load_dwordx2 v[3:4], v[2:3], off
	ds_read_b64 v[12:13], v18
	v_add_co_u32_e32 v2, vcc, 0x100, v6
	v_cndmask_b32_e64 v14, 0, 1, s[2:3]
	v_cmp_ne_u32_e64 s[0:1], 1, v14
	s_waitcnt vmcnt(0) lgkmcnt(0)
	v_mul_f64 v[12:13], v[3:4], v[12:13]
	v_mov_b32_e32 v4, s24
	v_addc_co_u32_e32 v3, vcc, 0, v7, vcc
	v_mov_b32_e32 v5, s25
	s_andn2_b64 vcc, exec, s[2:3]
	ds_write_b64 v18, v[12:13]
	v_mov_b32_e32 v13, s20
	v_mov_b32_e32 v14, s21
	s_cbranch_vccnz .LBB95_94
; %bb.91:
	v_mov_b32_e32 v4, s24
	v_mov_b32_e32 v13, s20
	s_mov_b64 s[38:39], 0
	v_mov_b32_e32 v5, s25
	v_mov_b32_e32 v14, s21
	;; [unrolled: 1-line block ×3, first 2 shown]
.LBB95_92:                              ; =>This Inner Loop Header: Depth=1
	v_add_co_u32_e32 v15, vcc, v13, v4
	v_addc_co_u32_e32 v16, vcc, v14, v5, vcc
	v_lshrrev_b32_e32 v17, 31, v16
	v_add_co_u32_e32 v15, vcc, v15, v17
	v_addc_co_u32_e32 v16, vcc, 0, v16, vcc
	v_ashrrev_i64 v[15:16], 1, v[15:16]
	v_lshlrev_b64 v[19:20], 3, v[15:16]
	v_add_co_u32_e32 v19, vcc, s16, v19
	v_addc_co_u32_e32 v20, vcc, v12, v20, vcc
	global_load_dwordx2 v[19:20], v[19:20], off
	s_waitcnt vmcnt(0)
	v_subrev_co_u32_e32 v19, vcc, s30, v19
	v_subbrev_co_u32_e32 v20, vcc, 0, v20, vcc
	v_cmp_lt_i64_e32 vcc, v[2:3], v[19:20]
	v_cndmask_b32_e32 v13, v13, v15, vcc
	v_cndmask_b32_e32 v14, v14, v16, vcc
	;; [unrolled: 1-line block ×3, first 2 shown]
	v_add_co_u32_e64 v15, s[2:3], -1, v13
	v_cndmask_b32_e32 v5, v16, v5, vcc
	v_addc_co_u32_e64 v16, s[2:3], -1, v14, s[2:3]
	v_cmp_ge_i64_e32 vcc, v[4:5], v[13:14]
	v_cmp_eq_u64_e64 s[2:3], v[4:5], v[15:16]
	s_or_b64 s[2:3], vcc, s[2:3]
	s_and_b64 s[2:3], exec, s[2:3]
	s_or_b64 s[38:39], s[2:3], s[38:39]
	s_andn2_b64 exec, exec, s[38:39]
	s_cbranch_execnz .LBB95_92
; %bb.93:
	s_or_b64 exec, exec, s[38:39]
.LBB95_94:
	v_lshlrev_b64 v[15:16], 3, v[13:14]
	v_mov_b32_e32 v12, s17
	v_add_co_u32_e32 v15, vcc, s16, v15
	v_addc_co_u32_e32 v16, vcc, v12, v16, vcc
	global_load_dwordx2 v[15:16], v[15:16], off
	s_waitcnt vmcnt(0)
	v_subrev_co_u32_e32 v15, vcc, s30, v15
	global_load_dword v17, v[10:11], off offset:1024
	v_subbrev_co_u32_e32 v16, vcc, 0, v16, vcc
	v_cmp_lt_i64_e32 vcc, v[2:3], v[15:16]
	v_cndmask_b32_e32 v5, v14, v5, vcc
	v_cndmask_b32_e32 v4, v13, v4, vcc
	s_waitcnt vmcnt(0)
	v_subrev_u32_e32 v12, s30, v17
	v_ashrrev_i32_e32 v13, 31, v12
	v_cmp_ne_u64_e32 vcc, v[4:5], v[12:13]
	s_and_saveexec_b64 s[38:39], vcc
	s_cbranch_execz .LBB95_104
; %bb.95:
	s_load_dwordx2 s[2:3], s[18:19], 0x0
	s_waitcnt lgkmcnt(0)
	s_sub_u32 s2, s2, s30
	s_subb_u32 s3, s3, 0
	v_cmp_gt_i64_e32 vcc, s[2:3], v[2:3]
	s_and_b64 exec, exec, vcc
	s_cbranch_execz .LBB95_104
; %bb.96:
	v_cmp_gt_i64_e32 vcc, s[8:9], v[12:13]
	v_cmp_le_i64_e64 s[2:3], s[26:27], v[12:13]
	v_lshlrev_b64 v[2:3], 3, v[4:5]
	s_or_b64 s[2:3], vcc, s[2:3]
	s_and_saveexec_b64 s[40:41], s[2:3]
	s_xor_b64 s[2:3], exec, s[40:41]
	s_cbranch_execz .LBB95_100
; %bb.97:
	v_mov_b32_e32 v4, s23
	v_add_co_u32_e32 v2, vcc, s22, v2
	v_addc_co_u32_e32 v3, vcc, v4, v3, vcc
	global_load_dwordx2 v[2:3], v[2:3], off
	v_lshlrev_b64 v[4:5], 3, v[12:13]
	v_mov_b32_e32 v15, s15
	v_add_co_u32_e32 v14, vcc, s14, v4
	v_addc_co_u32_e32 v15, vcc, v15, v5, vcc
	global_load_dwordx2 v[4:5], v[14:15], off
	ds_read_b64 v[16:17], v18 offset:2048
	s_mov_b64 s[40:41], 0
	s_waitcnt vmcnt(1) lgkmcnt(0)
	v_mul_f64 v[16:17], v[16:17], v[2:3]
.LBB95_98:                              ; =>This Inner Loop Header: Depth=1
	s_waitcnt vmcnt(0)
	v_add_f64 v[2:3], v[4:5], v[16:17]
	global_atomic_cmpswap_x2 v[2:3], v[14:15], v[2:5], off glc
	s_waitcnt vmcnt(0)
	v_cmp_eq_u64_e32 vcc, v[2:3], v[4:5]
	v_mov_b32_e32 v5, v3
	s_or_b64 s[40:41], vcc, s[40:41]
	v_mov_b32_e32 v4, v2
	s_andn2_b64 exec, exec, s[40:41]
	s_cbranch_execnz .LBB95_98
; %bb.99:
	s_or_b64 exec, exec, s[40:41]
                                        ; implicit-def: $vgpr2_vgpr3
.LBB95_100:
	s_andn2_saveexec_b64 s[2:3], s[2:3]
	s_cbranch_execz .LBB95_104
; %bb.101:
	v_mov_b32_e32 v4, s23
	v_add_co_u32_e32 v2, vcc, s22, v2
	v_addc_co_u32_e32 v3, vcc, v4, v3, vcc
	global_load_dwordx2 v[2:3], v[2:3], off
	ds_read_b64 v[4:5], v18 offset:2048
	v_subrev_u32_e32 v14, s8, v12
	s_mov_b64 s[2:3], 0
	s_waitcnt vmcnt(0) lgkmcnt(0)
	v_mul_f64 v[2:3], v[4:5], v[2:3]
	v_mov_b32_e32 v4, 0x2000
	v_lshl_add_u32 v14, v14, 3, v4
	ds_read_b64 v[4:5], v14
.LBB95_102:                             ; =>This Inner Loop Header: Depth=1
	s_waitcnt lgkmcnt(0)
	v_add_f64 v[15:16], v[4:5], v[2:3]
	ds_cmpst_rtn_b64 v[15:16], v14, v[4:5], v[15:16]
	s_waitcnt lgkmcnt(0)
	v_cmp_eq_u64_e32 vcc, v[15:16], v[4:5]
	v_mov_b32_e32 v4, v15
	s_or_b64 s[2:3], vcc, s[2:3]
	v_mov_b32_e32 v5, v16
	s_andn2_b64 exec, exec, s[2:3]
	s_cbranch_execnz .LBB95_102
; %bb.103:
	s_or_b64 exec, exec, s[2:3]
.LBB95_104:
	s_or_b64 exec, exec, s[38:39]
	v_lshlrev_b64 v[2:3], 3, v[12:13]
	v_mov_b32_e32 v4, s23
	v_add_co_u32_e32 v2, vcc, s22, v2
	v_addc_co_u32_e32 v3, vcc, v4, v3, vcc
	global_load_dwordx2 v[2:3], v[2:3], off
	ds_read_b64 v[4:5], v18 offset:2048
	s_waitcnt vmcnt(0) lgkmcnt(0)
	v_mul_f64 v[12:13], v[2:3], v[4:5]
	v_add_co_u32_e32 v2, vcc, 0x200, v6
	v_mov_b32_e32 v4, s24
	v_addc_co_u32_e32 v3, vcc, 0, v7, vcc
	v_mov_b32_e32 v5, s25
	s_and_b64 vcc, exec, s[0:1]
	ds_write_b64 v18, v[12:13] offset:2048
	v_mov_b32_e32 v12, s20
	v_mov_b32_e32 v13, s21
	s_cbranch_vccnz .LBB95_108
; %bb.105:
	v_mov_b32_e32 v4, s24
	v_mov_b32_e32 v12, s20
	s_mov_b64 s[38:39], 0
	v_mov_b32_e32 v5, s25
	v_mov_b32_e32 v13, s21
	;; [unrolled: 1-line block ×3, first 2 shown]
.LBB95_106:                             ; =>This Inner Loop Header: Depth=1
	v_add_co_u32_e32 v7, vcc, v12, v4
	v_addc_co_u32_e32 v15, vcc, v13, v5, vcc
	v_lshrrev_b32_e32 v14, 31, v15
	v_add_co_u32_e32 v14, vcc, v7, v14
	v_addc_co_u32_e32 v15, vcc, 0, v15, vcc
	v_ashrrev_i64 v[14:15], 1, v[14:15]
	v_lshlrev_b64 v[16:17], 3, v[14:15]
	v_add_co_u32_e32 v16, vcc, s16, v16
	v_addc_co_u32_e32 v17, vcc, v6, v17, vcc
	global_load_dwordx2 v[16:17], v[16:17], off
	s_waitcnt vmcnt(0)
	v_subrev_co_u32_e32 v16, vcc, s30, v16
	v_subbrev_co_u32_e32 v17, vcc, 0, v17, vcc
	v_cmp_lt_i64_e32 vcc, v[2:3], v[16:17]
	v_cndmask_b32_e32 v12, v12, v14, vcc
	v_cndmask_b32_e32 v13, v13, v15, vcc
	;; [unrolled: 1-line block ×3, first 2 shown]
	v_add_co_u32_e64 v14, s[2:3], -1, v12
	v_cndmask_b32_e32 v5, v15, v5, vcc
	v_addc_co_u32_e64 v15, s[2:3], -1, v13, s[2:3]
	v_cmp_ge_i64_e32 vcc, v[4:5], v[12:13]
	v_cmp_eq_u64_e64 s[2:3], v[4:5], v[14:15]
	s_or_b64 s[2:3], vcc, s[2:3]
	s_and_b64 s[2:3], exec, s[2:3]
	s_or_b64 s[38:39], s[2:3], s[38:39]
	s_andn2_b64 exec, exec, s[38:39]
	s_cbranch_execnz .LBB95_106
; %bb.107:
	s_or_b64 exec, exec, s[38:39]
.LBB95_108:
	v_lshlrev_b64 v[6:7], 3, v[12:13]
	v_mov_b32_e32 v14, s17
	v_add_co_u32_e32 v6, vcc, s16, v6
	v_addc_co_u32_e32 v7, vcc, v14, v7, vcc
	global_load_dwordx2 v[14:15], v[6:7], off
	global_load_dword v16, v[10:11], off offset:2048
	s_waitcnt vmcnt(1)
	v_subrev_co_u32_e32 v14, vcc, s30, v14
	v_subbrev_co_u32_e32 v15, vcc, 0, v15, vcc
	v_cmp_lt_i64_e32 vcc, v[2:3], v[14:15]
	s_waitcnt vmcnt(0)
	v_subrev_u32_e32 v6, s30, v16
	v_cndmask_b32_e32 v5, v13, v5, vcc
	v_cndmask_b32_e32 v4, v12, v4, vcc
	v_ashrrev_i32_e32 v7, 31, v6
	v_cmp_ne_u64_e32 vcc, v[4:5], v[6:7]
	s_and_saveexec_b64 s[38:39], vcc
	s_cbranch_execz .LBB95_118
; %bb.109:
	s_load_dwordx2 s[2:3], s[18:19], 0x0
	s_waitcnt lgkmcnt(0)
	s_sub_u32 s2, s2, s30
	s_subb_u32 s3, s3, 0
	v_cmp_gt_i64_e32 vcc, s[2:3], v[2:3]
	s_and_b64 exec, exec, vcc
	s_cbranch_execz .LBB95_118
; %bb.110:
	v_cmp_gt_i64_e32 vcc, s[8:9], v[6:7]
	v_cmp_le_i64_e64 s[2:3], s[26:27], v[6:7]
	v_lshlrev_b64 v[2:3], 3, v[4:5]
	s_or_b64 s[2:3], vcc, s[2:3]
	s_and_saveexec_b64 s[40:41], s[2:3]
	s_xor_b64 s[2:3], exec, s[40:41]
	s_cbranch_execz .LBB95_114
; %bb.111:
	v_mov_b32_e32 v4, s23
	v_add_co_u32_e32 v2, vcc, s22, v2
	v_addc_co_u32_e32 v3, vcc, v4, v3, vcc
	global_load_dwordx2 v[2:3], v[2:3], off
	v_lshlrev_b64 v[4:5], 3, v[6:7]
	v_mov_b32_e32 v13, s15
	v_add_co_u32_e32 v12, vcc, s14, v4
	v_addc_co_u32_e32 v13, vcc, v13, v5, vcc
	global_load_dwordx2 v[4:5], v[12:13], off
	ds_read_b64 v[14:15], v18 offset:4096
	s_mov_b64 s[40:41], 0
	s_waitcnt vmcnt(1) lgkmcnt(0)
	v_mul_f64 v[14:15], v[14:15], v[2:3]
.LBB95_112:                             ; =>This Inner Loop Header: Depth=1
	s_waitcnt vmcnt(0)
	v_add_f64 v[2:3], v[4:5], v[14:15]
	global_atomic_cmpswap_x2 v[2:3], v[12:13], v[2:5], off glc
	s_waitcnt vmcnt(0)
	v_cmp_eq_u64_e32 vcc, v[2:3], v[4:5]
	v_mov_b32_e32 v5, v3
	s_or_b64 s[40:41], vcc, s[40:41]
	v_mov_b32_e32 v4, v2
	s_andn2_b64 exec, exec, s[40:41]
	s_cbranch_execnz .LBB95_112
; %bb.113:
	s_or_b64 exec, exec, s[40:41]
                                        ; implicit-def: $vgpr2_vgpr3
.LBB95_114:
	s_andn2_saveexec_b64 s[2:3], s[2:3]
	s_cbranch_execz .LBB95_118
; %bb.115:
	v_mov_b32_e32 v4, s23
	v_add_co_u32_e32 v2, vcc, s22, v2
	v_addc_co_u32_e32 v3, vcc, v4, v3, vcc
	global_load_dwordx2 v[2:3], v[2:3], off
	ds_read_b64 v[4:5], v18 offset:4096
	v_subrev_u32_e32 v12, s8, v6
	s_mov_b64 s[2:3], 0
	s_waitcnt vmcnt(0) lgkmcnt(0)
	v_mul_f64 v[2:3], v[4:5], v[2:3]
	v_mov_b32_e32 v4, 0x2000
	v_lshl_add_u32 v12, v12, 3, v4
	ds_read_b64 v[4:5], v12
.LBB95_116:                             ; =>This Inner Loop Header: Depth=1
	s_waitcnt lgkmcnt(0)
	v_add_f64 v[13:14], v[4:5], v[2:3]
	ds_cmpst_rtn_b64 v[13:14], v12, v[4:5], v[13:14]
	s_waitcnt lgkmcnt(0)
	v_cmp_eq_u64_e32 vcc, v[13:14], v[4:5]
	v_mov_b32_e32 v4, v13
	s_or_b64 s[2:3], vcc, s[2:3]
	v_mov_b32_e32 v5, v14
	s_andn2_b64 exec, exec, s[2:3]
	s_cbranch_execnz .LBB95_116
; %bb.117:
	s_or_b64 exec, exec, s[2:3]
.LBB95_118:
	s_or_b64 exec, exec, s[38:39]
	v_lshlrev_b64 v[2:3], 3, v[6:7]
	v_mov_b32_e32 v4, s23
	v_add_co_u32_e32 v2, vcc, s22, v2
	v_addc_co_u32_e32 v3, vcc, v4, v3, vcc
	global_load_dwordx2 v[2:3], v[2:3], off
	ds_read_b64 v[4:5], v18 offset:4096
	s_and_b64 vcc, exec, s[0:1]
	s_waitcnt vmcnt(0) lgkmcnt(0)
	v_mul_f64 v[4:5], v[2:3], v[4:5]
	v_mov_b32_e32 v2, s24
	v_mov_b32_e32 v3, s25
	ds_write_b64 v18, v[4:5] offset:4096
	v_mov_b32_e32 v4, s20
	v_mov_b32_e32 v5, s21
	s_cbranch_vccnz .LBB95_122
; %bb.119:
	v_mov_b32_e32 v2, s24
	v_mov_b32_e32 v4, s20
	s_mov_b64 s[2:3], 0
	v_mov_b32_e32 v3, s25
	v_mov_b32_e32 v5, s21
	v_mov_b32_e32 v6, s17
.LBB95_120:                             ; =>This Inner Loop Header: Depth=1
	v_add_co_u32_e32 v7, vcc, v4, v2
	v_addc_co_u32_e32 v13, vcc, v5, v3, vcc
	v_lshrrev_b32_e32 v12, 31, v13
	v_add_co_u32_e32 v12, vcc, v7, v12
	v_addc_co_u32_e32 v13, vcc, 0, v13, vcc
	v_ashrrev_i64 v[12:13], 1, v[12:13]
	v_lshlrev_b64 v[14:15], 3, v[12:13]
	v_add_co_u32_e32 v14, vcc, s16, v14
	v_addc_co_u32_e32 v15, vcc, v6, v15, vcc
	global_load_dwordx2 v[14:15], v[14:15], off
	s_waitcnt vmcnt(0)
	v_subrev_co_u32_e32 v14, vcc, s30, v14
	v_subbrev_co_u32_e32 v15, vcc, 0, v15, vcc
	v_cmp_lt_i64_e32 vcc, v[8:9], v[14:15]
	v_cndmask_b32_e32 v4, v4, v12, vcc
	v_cndmask_b32_e32 v5, v5, v13, vcc
	;; [unrolled: 1-line block ×3, first 2 shown]
	v_add_co_u32_e64 v12, s[0:1], -1, v4
	v_cndmask_b32_e32 v3, v13, v3, vcc
	v_addc_co_u32_e64 v13, s[0:1], -1, v5, s[0:1]
	v_cmp_ge_i64_e32 vcc, v[2:3], v[4:5]
	v_cmp_eq_u64_e64 s[0:1], v[2:3], v[12:13]
	s_or_b64 s[0:1], vcc, s[0:1]
	s_and_b64 s[0:1], exec, s[0:1]
	s_or_b64 s[2:3], s[0:1], s[2:3]
	s_andn2_b64 exec, exec, s[2:3]
	s_cbranch_execnz .LBB95_120
; %bb.121:
	s_or_b64 exec, exec, s[2:3]
.LBB95_122:
	v_lshlrev_b64 v[6:7], 3, v[4:5]
	v_mov_b32_e32 v12, s17
	v_add_co_u32_e32 v6, vcc, s16, v6
	v_addc_co_u32_e32 v7, vcc, v12, v7, vcc
	global_load_dword v13, v[10:11], off offset:3072
	s_nop 0
	global_load_dwordx2 v[10:11], v[6:7], off
	s_waitcnt vmcnt(1)
	v_subrev_u32_e32 v6, s30, v13
	v_ashrrev_i32_e32 v7, 31, v6
	s_waitcnt vmcnt(0)
	v_subrev_co_u32_e32 v10, vcc, s30, v10
	v_subbrev_co_u32_e32 v11, vcc, 0, v11, vcc
	v_cmp_lt_i64_e32 vcc, v[8:9], v[10:11]
	v_cndmask_b32_e32 v3, v5, v3, vcc
	v_cndmask_b32_e32 v2, v4, v2, vcc
	v_cmp_ne_u64_e32 vcc, v[2:3], v[6:7]
	s_and_saveexec_b64 s[2:3], vcc
	s_cbranch_execz .LBB95_132
; %bb.123:
	s_load_dwordx2 s[0:1], s[18:19], 0x0
	s_waitcnt lgkmcnt(0)
	s_sub_u32 s0, s0, s30
	s_subb_u32 s1, s1, 0
	v_cmp_gt_i64_e32 vcc, s[0:1], v[8:9]
	s_and_b64 exec, exec, vcc
	s_cbranch_execz .LBB95_132
; %bb.124:
	v_cmp_gt_i64_e32 vcc, s[8:9], v[6:7]
	v_cmp_le_i64_e64 s[0:1], s[26:27], v[6:7]
	v_lshlrev_b64 v[2:3], 3, v[2:3]
	s_or_b64 s[0:1], vcc, s[0:1]
	s_and_saveexec_b64 s[18:19], s[0:1]
	s_xor_b64 s[0:1], exec, s[18:19]
	s_cbranch_execz .LBB95_128
; %bb.125:
	v_mov_b32_e32 v4, s23
	v_add_co_u32_e32 v2, vcc, s22, v2
	v_addc_co_u32_e32 v3, vcc, v4, v3, vcc
	global_load_dwordx2 v[2:3], v[2:3], off
	v_lshlrev_b64 v[4:5], 3, v[6:7]
	v_mov_b32_e32 v9, s15
	v_add_co_u32_e32 v8, vcc, s14, v4
	v_addc_co_u32_e32 v9, vcc, v9, v5, vcc
	global_load_dwordx2 v[4:5], v[8:9], off
	ds_read_b64 v[10:11], v18 offset:6144
	s_mov_b64 s[18:19], 0
	s_waitcnt vmcnt(1) lgkmcnt(0)
	v_mul_f64 v[10:11], v[10:11], v[2:3]
.LBB95_126:                             ; =>This Inner Loop Header: Depth=1
	s_waitcnt vmcnt(0)
	v_add_f64 v[2:3], v[4:5], v[10:11]
	global_atomic_cmpswap_x2 v[2:3], v[8:9], v[2:5], off glc
	s_waitcnt vmcnt(0)
	v_cmp_eq_u64_e32 vcc, v[2:3], v[4:5]
	v_mov_b32_e32 v5, v3
	s_or_b64 s[18:19], vcc, s[18:19]
	v_mov_b32_e32 v4, v2
	s_andn2_b64 exec, exec, s[18:19]
	s_cbranch_execnz .LBB95_126
; %bb.127:
	s_or_b64 exec, exec, s[18:19]
                                        ; implicit-def: $vgpr2_vgpr3
.LBB95_128:
	s_andn2_saveexec_b64 s[0:1], s[0:1]
	s_cbranch_execz .LBB95_132
; %bb.129:
	v_mov_b32_e32 v4, s23
	v_add_co_u32_e32 v2, vcc, s22, v2
	v_addc_co_u32_e32 v3, vcc, v4, v3, vcc
	global_load_dwordx2 v[2:3], v[2:3], off
	ds_read_b64 v[4:5], v18 offset:6144
	v_subrev_u32_e32 v8, s8, v6
	s_mov_b64 s[0:1], 0
	s_waitcnt vmcnt(0) lgkmcnt(0)
	v_mul_f64 v[2:3], v[4:5], v[2:3]
	v_mov_b32_e32 v4, 0x2000
	v_lshl_add_u32 v8, v8, 3, v4
	ds_read_b64 v[4:5], v8
.LBB95_130:                             ; =>This Inner Loop Header: Depth=1
	s_waitcnt lgkmcnt(0)
	v_add_f64 v[9:10], v[4:5], v[2:3]
	ds_cmpst_rtn_b64 v[9:10], v8, v[4:5], v[9:10]
	s_waitcnt lgkmcnt(0)
	v_cmp_eq_u64_e32 vcc, v[9:10], v[4:5]
	v_mov_b32_e32 v4, v9
	s_or_b64 s[0:1], vcc, s[0:1]
	v_mov_b32_e32 v5, v10
	s_andn2_b64 exec, exec, s[0:1]
	s_cbranch_execnz .LBB95_130
; %bb.131:
	s_or_b64 exec, exec, s[0:1]
.LBB95_132:
	s_or_b64 exec, exec, s[2:3]
	v_lshlrev_b64 v[2:3], 3, v[6:7]
	v_mov_b32_e32 v4, s23
	v_add_co_u32_e32 v2, vcc, s22, v2
	v_addc_co_u32_e32 v3, vcc, v4, v3, vcc
	global_load_dwordx2 v[2:3], v[2:3], off
	ds_read_b64 v[4:5], v18 offset:6144
	s_waitcnt vmcnt(0) lgkmcnt(0)
	v_mul_f64 v[2:3], v[2:3], v[4:5]
	ds_write_b64 v18, v[2:3] offset:6144
.LBB95_133:
	s_or_b64 exec, exec, s[4:5]
	v_mov_b32_e32 v2, s10
	v_mov_b32_e32 v3, s11
	v_cmp_lt_i64_e32 vcc, s[26:27], v[2:3]
	s_waitcnt lgkmcnt(0)
	s_and_b64 s[0:1], vcc, exec
	s_cselect_b32 s10, s26, s10
	s_cselect_b32 s0, s27, s11
	s_sub_u32 s2, s10, s28
	s_subb_u32 s3, s0, s29
	v_cmp_gt_i64_e32 vcc, s[2:3], v[0:1]
	s_barrier
	s_and_saveexec_b64 s[0:1], vcc
	s_cbranch_execz .LBB95_138
; %bb.134:
	s_lshl_b64 s[4:5], s[8:9], 3
	s_add_u32 s11, s14, s4
	s_addc_u32 s8, s15, s5
	v_mov_b32_e32 v7, v1
	s_mov_b64 s[4:5], 0
	v_mov_b32_e32 v12, s8
	v_mov_b32_e32 v13, 0x2000
	;; [unrolled: 1-line block ×3, first 2 shown]
.LBB95_135:                             ; =>This Loop Header: Depth=1
                                        ;     Child Loop BB95_136 Depth 2
	v_lshlrev_b64 v[2:3], 3, v[6:7]
	s_mov_b64 s[8:9], 0
	v_add_co_u32_e32 v8, vcc, s11, v2
	v_addc_co_u32_e32 v9, vcc, v12, v3, vcc
	global_load_dwordx2 v[4:5], v[8:9], off
	v_lshl_add_u32 v2, v6, 3, v13
	ds_read_b64 v[10:11], v2
.LBB95_136:                             ;   Parent Loop BB95_135 Depth=1
                                        ; =>  This Inner Loop Header: Depth=2
	s_waitcnt vmcnt(0) lgkmcnt(0)
	v_add_f64 v[2:3], v[4:5], v[10:11]
	global_atomic_cmpswap_x2 v[2:3], v[8:9], v[2:5], off glc
	s_waitcnt vmcnt(0)
	v_cmp_eq_u64_e32 vcc, v[2:3], v[4:5]
	v_mov_b32_e32 v5, v3
	s_or_b64 s[8:9], vcc, s[8:9]
	v_mov_b32_e32 v4, v2
	s_andn2_b64 exec, exec, s[8:9]
	s_cbranch_execnz .LBB95_136
; %bb.137:                              ;   in Loop: Header=BB95_135 Depth=1
	s_or_b64 exec, exec, s[8:9]
	v_add_co_u32_e32 v6, vcc, 0x100, v6
	v_addc_co_u32_e32 v7, vcc, 0, v7, vcc
	v_cmp_le_i64_e32 vcc, s[2:3], v[6:7]
	s_or_b64 s[4:5], vcc, s[4:5]
	s_andn2_b64 exec, exec, s[4:5]
	s_cbranch_execnz .LBB95_135
.LBB95_138:
	s_or_b64 exec, exec, s[0:1]
	s_add_i32 s0, s36, -1
	s_ashr_i32 s1, s0, 1
	s_or_b32 s0, s1, s0
	s_ashr_i32 s1, s0, 2
	s_or_b32 s0, s1, s0
	;; [unrolled: 2-line block ×5, first 2 shown]
	s_add_i32 s0, s0, 1
	s_ashr_i32 s3, s0, 1
	v_mov_b32_e32 v2, s25
	v_add_co_u32_e32 v6, vcc, s24, v0
	v_addc_co_u32_e32 v7, vcc, 0, v2, vcc
	s_cmp_gt_i32 s3, 1
	s_mov_b64 s[0:1], -1
	s_barrier
	s_cbranch_scc1 .LBB95_149
; %bb.139:
	v_cmp_gt_i64_e32 vcc, s[26:27], v[6:7]
	s_and_saveexec_b64 s[0:1], vcc
	s_cbranch_execz .LBB95_148
; %bb.140:
	s_sub_i32 s4, s10, s26
	s_lshl_b32 s4, s4, 3
	s_add_i32 s13, s4, 0x2000
	s_lshl_b32 s4, s6, 3
	v_mov_b32_e32 v9, v7
	s_sub_i32 s18, 0, s4
	s_mov_b64 s[4:5], 0
	v_mov_b32_e32 v16, s17
	v_mov_b32_e32 v17, s15
	;; [unrolled: 1-line block ×3, first 2 shown]
.LBB95_141:                             ; =>This Loop Header: Depth=1
                                        ;     Child Loop BB95_143 Depth 2
                                        ;     Child Loop BB95_146 Depth 2
	v_lshlrev_b64 v[10:11], 3, v[8:9]
	v_mov_b32_e32 v12, 0
	v_add_co_u32_e32 v2, vcc, s16, v10
	v_addc_co_u32_e32 v3, vcc, v16, v11, vcc
	global_load_dwordx4 v[2:5], v[2:3], off
	v_mov_b32_e32 v13, 0
	s_waitcnt vmcnt(0)
	v_cmp_lt_i64_e32 vcc, v[2:3], v[4:5]
	s_and_saveexec_b64 s[8:9], vcc
	s_cbranch_execz .LBB95_145
; %bb.142:                              ;   in Loop: Header=BB95_141 Depth=1
	v_mov_b32_e32 v12, s7
	v_subrev_co_u32_e32 v4, vcc, s6, v4
	v_subb_co_u32_e32 v5, vcc, v5, v12, vcc
	v_subrev_co_u32_e32 v14, vcc, s6, v2
	v_subb_co_u32_e32 v15, vcc, v3, v12, vcc
	v_mov_b32_e32 v12, 0
	v_lshl_add_u32 v2, v2, 3, s18
	v_mov_b32_e32 v13, 0
	s_mov_b64 s[10:11], 0
.LBB95_143:                             ;   Parent Loop BB95_141 Depth=1
                                        ; =>  This Inner Loop Header: Depth=2
	ds_read_b64 v[19:20], v2
	v_add_co_u32_e32 v14, vcc, 1, v14
	v_addc_co_u32_e32 v15, vcc, 0, v15, vcc
	s_waitcnt lgkmcnt(0)
	v_add_f64 v[12:13], v[12:13], v[19:20]
	v_cmp_ge_i64_e32 vcc, v[14:15], v[4:5]
	v_add_u32_e32 v2, 8, v2
	s_or_b64 s[10:11], vcc, s[10:11]
	s_andn2_b64 exec, exec, s[10:11]
	s_cbranch_execnz .LBB95_143
; %bb.144:                              ;   in Loop: Header=BB95_141 Depth=1
	s_or_b64 exec, exec, s[10:11]
.LBB95_145:                             ;   in Loop: Header=BB95_141 Depth=1
	s_or_b64 exec, exec, s[8:9]
	v_add_co_u32_e32 v10, vcc, s14, v10
	v_addc_co_u32_e32 v11, vcc, v17, v11, vcc
	global_load_dwordx2 v[4:5], v[10:11], off
	v_lshl_add_u32 v2, v8, 3, s13
	ds_read_b64 v[2:3], v2
	s_mov_b64 s[8:9], 0
	s_waitcnt lgkmcnt(0)
	v_add_f64 v[12:13], v[12:13], v[2:3]
.LBB95_146:                             ;   Parent Loop BB95_141 Depth=1
                                        ; =>  This Inner Loop Header: Depth=2
	s_waitcnt vmcnt(0)
	v_add_f64 v[2:3], v[4:5], v[12:13]
	global_atomic_cmpswap_x2 v[2:3], v[10:11], v[2:5], off glc
	s_waitcnt vmcnt(0)
	v_cmp_eq_u64_e32 vcc, v[2:3], v[4:5]
	v_mov_b32_e32 v5, v3
	s_or_b64 s[8:9], vcc, s[8:9]
	v_mov_b32_e32 v4, v2
	s_andn2_b64 exec, exec, s[8:9]
	s_cbranch_execnz .LBB95_146
; %bb.147:                              ;   in Loop: Header=BB95_141 Depth=1
	s_or_b64 exec, exec, s[8:9]
	v_add_co_u32_e32 v8, vcc, s12, v8
	v_addc_co_u32_e32 v9, vcc, 0, v9, vcc
	v_cmp_le_i64_e32 vcc, s[26:27], v[8:9]
	s_or_b64 s[4:5], vcc, s[4:5]
	s_andn2_b64 exec, exec, s[4:5]
	s_cbranch_execnz .LBB95_141
.LBB95_148:
	s_or_b64 exec, exec, s[0:1]
	s_mov_b64 s[0:1], 0
.LBB95_149:
	s_andn2_b64 vcc, exec, s[0:1]
	s_cbranch_vccnz .LBB95_167
; %bb.150:
	v_cvt_f32_u32_e32 v2, s3
	s_sub_i32 s8, 0, s3
	v_mov_b32_e32 v5, 0
	v_mov_b32_e32 v8, s35
	v_rcp_iflag_f32_e32 v2, v2
	v_mov_b32_e32 v12, s7
	v_mul_f32_e32 v2, 0x4f7ffffe, v2
	v_cvt_u32_f32_e32 v2, v2
	v_mul_lo_u32 v3, s8, v2
	v_mul_hi_u32 v3, v2, v3
	v_add_u32_e32 v2, v2, v3
	v_mul_hi_u32 v2, v0, v2
	v_mul_lo_u32 v3, v2, s3
	v_add_u32_e32 v4, 1, v2
	v_sub_u32_e32 v3, v0, v3
	v_cmp_le_u32_e32 vcc, s3, v3
	v_cndmask_b32_e32 v2, v2, v4, vcc
	v_subrev_u32_e32 v4, s3, v3
	v_cndmask_b32_e32 v3, v3, v4, vcc
	v_add_u32_e32 v4, 1, v2
	v_cmp_le_u32_e32 vcc, s3, v3
	v_cndmask_b32_e32 v4, v2, v4, vcc
	v_lshlrev_b64 v[2:3], 3, v[4:5]
	v_add_co_u32_e32 v2, vcc, s34, v2
	v_addc_co_u32_e32 v3, vcc, v8, v3, vcc
	global_load_dwordx4 v[8:11], v[2:3], off
	v_mov_b32_e32 v3, s7
	s_waitcnt vmcnt(0)
	v_subrev_co_u32_e32 v2, vcc, s6, v8
	v_subb_co_u32_e32 v3, vcc, v9, v3, vcc
	v_subrev_co_u32_e32 v13, vcc, s6, v10
	v_subb_co_u32_e32 v14, vcc, v11, v12, vcc
	v_sub_co_u32_e32 v11, vcc, v13, v2
	v_subb_co_u32_e32 v10, vcc, v14, v3, vcc
	v_mov_b32_e32 v9, v5
	v_cmp_ne_u64_e32 vcc, 0, v[9:10]
                                        ; implicit-def: $vgpr8_vgpr9
	s_and_saveexec_b64 s[0:1], vcc
	s_xor_b64 s[4:5], exec, s[0:1]
	s_cbranch_execz .LBB95_152
; %bb.151:
	s_add_u32 s0, s3, 0
	s_addc_u32 s1, 0, 0
	s_xor_b64 s[6:7], s[0:1], 0
	v_cvt_f32_u32_e32 v8, s6
	v_cvt_f32_u32_e32 v9, s7
	s_sub_u32 s9, 0, s6
	s_subb_u32 s10, 0, s7
	v_ashrrev_i32_e32 v12, 31, v10
	v_madmk_f32 v8, v9, 0x4f800000, v8
	v_rcp_f32_e32 v8, v8
	v_mul_f32_e32 v8, 0x5f7ffffc, v8
	v_mul_f32_e32 v9, 0x2f800000, v8
	v_trunc_f32_e32 v9, v9
	v_madmk_f32 v8, v9, 0xcf800000, v8
	v_cvt_u32_f32_e32 v9, v9
	v_cvt_u32_f32_e32 v8, v8
	v_readfirstlane_b32 s11, v9
	v_readfirstlane_b32 s0, v8
	s_mul_i32 s1, s9, s11
	s_mul_hi_u32 s13, s9, s0
	s_mul_i32 s12, s10, s0
	s_add_i32 s1, s13, s1
	s_mul_i32 s16, s9, s0
	s_add_i32 s1, s1, s12
	s_mul_i32 s13, s0, s1
	s_mul_hi_u32 s17, s0, s16
	s_mul_hi_u32 s12, s0, s1
	s_add_u32 s13, s17, s13
	s_addc_u32 s12, 0, s12
	s_mul_hi_u32 s18, s11, s16
	s_mul_i32 s16, s11, s16
	s_add_u32 s13, s13, s16
	s_mul_hi_u32 s17, s11, s1
	s_addc_u32 s12, s12, s18
	s_addc_u32 s13, s17, 0
	s_mul_i32 s1, s11, s1
	s_add_u32 s1, s12, s1
	s_addc_u32 s12, 0, s13
	s_add_u32 s13, s0, s1
	s_cselect_b64 s[0:1], -1, 0
	s_cmp_lg_u64 s[0:1], 0
	s_addc_u32 s11, s11, s12
	s_mul_i32 s0, s9, s11
	s_mul_hi_u32 s1, s9, s13
	s_add_i32 s0, s1, s0
	s_mul_i32 s10, s10, s13
	s_add_i32 s0, s0, s10
	s_mul_i32 s9, s9, s13
	s_mul_hi_u32 s10, s11, s9
	s_mul_i32 s12, s11, s9
	s_mul_i32 s17, s13, s0
	s_mul_hi_u32 s9, s13, s9
	s_mul_hi_u32 s16, s13, s0
	s_add_u32 s9, s9, s17
	s_addc_u32 s16, 0, s16
	s_add_u32 s9, s9, s12
	s_mul_hi_u32 s1, s11, s0
	s_addc_u32 s9, s16, s10
	s_addc_u32 s1, s1, 0
	s_mul_i32 s0, s11, s0
	s_add_u32 s0, s9, s0
	s_addc_u32 s9, 0, s1
	s_add_u32 s10, s13, s0
	s_cselect_b64 s[0:1], -1, 0
	s_cmp_lg_u64 s[0:1], 0
	v_add_co_u32_e32 v8, vcc, v11, v12
	s_addc_u32 s9, s11, s9
	v_xor_b32_e32 v15, v8, v12
	v_mad_u64_u32 v[8:9], s[0:1], v15, s9, 0
	v_mul_hi_u32 v11, v15, s10
	v_addc_co_u32_e32 v10, vcc, v10, v12, vcc
	v_xor_b32_e32 v16, v10, v12
	v_add_co_u32_e32 v17, vcc, v11, v8
	v_addc_co_u32_e32 v19, vcc, 0, v9, vcc
	v_mad_u64_u32 v[8:9], s[0:1], v16, s10, 0
	v_mad_u64_u32 v[10:11], s[0:1], v16, s9, 0
	v_add_co_u32_e32 v8, vcc, v17, v8
	v_addc_co_u32_e32 v8, vcc, v19, v9, vcc
	v_addc_co_u32_e32 v9, vcc, 0, v11, vcc
	v_add_co_u32_e32 v10, vcc, v8, v10
	v_addc_co_u32_e32 v11, vcc, 0, v9, vcc
	v_mul_lo_u32 v17, s7, v10
	v_mul_lo_u32 v19, s6, v11
	v_mad_u64_u32 v[8:9], s[0:1], s6, v10, 0
	v_add3_u32 v9, v9, v19, v17
	v_sub_u32_e32 v17, v16, v9
	v_mov_b32_e32 v19, s7
	v_sub_co_u32_e32 v8, vcc, v15, v8
	v_subb_co_u32_e64 v15, s[0:1], v17, v19, vcc
	v_subrev_co_u32_e64 v17, s[0:1], s6, v8
	v_subbrev_co_u32_e64 v15, s[0:1], 0, v15, s[0:1]
	v_cmp_le_u32_e64 s[0:1], s7, v15
	v_cndmask_b32_e64 v19, 0, -1, s[0:1]
	v_cmp_le_u32_e64 s[0:1], s6, v17
	v_cndmask_b32_e64 v17, 0, -1, s[0:1]
	v_cmp_eq_u32_e64 s[0:1], s7, v15
	v_cndmask_b32_e64 v15, v19, v17, s[0:1]
	v_add_co_u32_e64 v17, s[0:1], 2, v10
	v_subb_co_u32_e32 v9, vcc, v16, v9, vcc
	v_addc_co_u32_e64 v19, s[0:1], 0, v11, s[0:1]
	v_cmp_le_u32_e32 vcc, s7, v9
	v_add_co_u32_e64 v20, s[0:1], 1, v10
	v_cndmask_b32_e64 v16, 0, -1, vcc
	v_cmp_le_u32_e32 vcc, s6, v8
	v_addc_co_u32_e64 v21, s[0:1], 0, v11, s[0:1]
	v_cndmask_b32_e64 v8, 0, -1, vcc
	v_cmp_eq_u32_e32 vcc, s7, v9
	v_cmp_ne_u32_e64 s[0:1], 0, v15
	v_cndmask_b32_e32 v8, v16, v8, vcc
	v_cndmask_b32_e64 v15, v21, v19, s[0:1]
	v_cmp_ne_u32_e32 vcc, 0, v8
	v_cndmask_b32_e64 v9, v20, v17, s[0:1]
	v_cndmask_b32_e32 v8, v11, v15, vcc
	v_cndmask_b32_e32 v9, v10, v9, vcc
	v_xor_b32_e32 v10, v8, v12
	v_xor_b32_e32 v8, v9, v12
	v_sub_co_u32_e32 v8, vcc, v8, v12
	v_subb_co_u32_e32 v9, vcc, v10, v12, vcc
                                        ; implicit-def: $vgpr11
.LBB95_152:
	s_andn2_saveexec_b64 s[0:1], s[4:5]
	s_cbranch_execz .LBB95_154
; %bb.153:
	v_cvt_f32_u32_e32 v8, s3
	v_rcp_iflag_f32_e32 v8, v8
	v_mul_f32_e32 v8, 0x4f7ffffe, v8
	v_cvt_u32_f32_e32 v8, v8
	v_mul_lo_u32 v9, s8, v8
	v_mul_hi_u32 v9, v8, v9
	v_add_u32_e32 v8, v8, v9
	v_mul_hi_u32 v8, v11, v8
	v_mul_lo_u32 v9, v8, s3
	v_add_u32_e32 v10, 1, v8
	v_sub_u32_e32 v9, v11, v9
	v_subrev_u32_e32 v11, s3, v9
	v_cmp_le_u32_e32 vcc, s3, v9
	v_cndmask_b32_e32 v9, v9, v11, vcc
	v_cndmask_b32_e32 v8, v8, v10, vcc
	v_add_u32_e32 v10, 1, v8
	v_cmp_le_u32_e32 vcc, s3, v9
	v_cndmask_b32_e32 v8, v8, v10, vcc
	v_mov_b32_e32 v9, 0
.LBB95_154:
	s_or_b64 exec, exec, s[0:1]
	v_cmp_gt_i64_e32 vcc, s[28:29], v[4:5]
	v_mov_b32_e32 v4, 0
	v_mov_b32_e32 v5, 0
	s_and_saveexec_b64 s[0:1], vcc
	s_cbranch_execz .LBB95_162
; %bb.155:
	s_add_i32 s4, s3, -1
	v_and_b32_e32 v10, s4, v0
	v_cmp_lt_i64_e32 vcc, 0, v[8:9]
	v_mov_b32_e32 v4, 0
	s_mov_b64 s[4:5], 0
	v_mov_b32_e32 v5, 0
	v_lshlrev_b32_e32 v15, 3, v10
	s_and_saveexec_b64 s[6:7], vcc
	s_cbranch_execz .LBB95_159
; %bb.156:
	v_mov_b32_e32 v4, 0
	v_mov_b32_e32 v12, v9
	v_lshl_add_u32 v16, v2, 3, v15
	s_lshl_b32 s8, s3, 3
	v_mov_b32_e32 v5, 0
	v_mov_b32_e32 v11, v8
.LBB95_157:                             ; =>This Inner Loop Header: Depth=1
	ds_read_b64 v[19:20], v16
	v_add_co_u32_e32 v11, vcc, -1, v11
	v_addc_co_u32_e32 v12, vcc, -1, v12, vcc
	s_waitcnt lgkmcnt(0)
	v_add_f64 v[4:5], v[4:5], v[19:20]
	v_cmp_eq_u64_e32 vcc, 0, v[11:12]
	v_add_u32_e32 v16, s8, v16
	s_or_b64 s[4:5], vcc, s[4:5]
	s_andn2_b64 exec, exec, s[4:5]
	s_cbranch_execnz .LBB95_157
; %bb.158:
	s_or_b64 exec, exec, s[4:5]
.LBB95_159:
	s_or_b64 exec, exec, s[6:7]
	v_mad_u64_u32 v[2:3], s[4:5], v8, s3, v[2:3]
	v_mov_b32_e32 v11, 0
	v_mad_u64_u32 v[8:9], s[4:5], v9, s3, v[3:4]
	v_sub_co_u32_e32 v12, vcc, v13, v2
	v_subb_co_u32_e32 v13, vcc, v14, v8, vcc
	v_cmp_gt_i64_e32 vcc, v[12:13], v[10:11]
	s_and_saveexec_b64 s[4:5], vcc
	s_cbranch_execz .LBB95_161
; %bb.160:
	v_lshl_add_u32 v2, v2, 3, v15
	ds_read_b64 v[2:3], v2
	s_waitcnt lgkmcnt(0)
	v_add_f64 v[4:5], v[4:5], v[2:3]
.LBB95_161:
	s_or_b64 exec, exec, s[4:5]
.LBB95_162:
	s_or_b64 exec, exec, s[0:1]
	v_cmp_gt_i64_e32 vcc, s[28:29], v[0:1]
	s_barrier
	ds_write_b64 v18, v[4:5]
	s_waitcnt lgkmcnt(0)
	s_barrier
	s_and_b64 exec, exec, vcc
	s_cbranch_execz .LBB95_167
; %bb.163:
	v_mul_lo_u32 v1, s3, v0
	v_mov_b32_e32 v4, 0
	v_mov_b32_e32 v5, 0
	v_lshlrev_b32_e32 v1, 3, v1
.LBB95_164:                             ; =>This Inner Loop Header: Depth=1
	ds_read_b64 v[2:3], v1
	s_add_i32 s3, s3, -1
	s_cmp_eq_u32 s3, 0
	v_add_u32_e32 v1, 8, v1
	s_waitcnt lgkmcnt(0)
	v_add_f64 v[4:5], v[4:5], v[2:3]
	s_cbranch_scc0 .LBB95_164
; %bb.165:
	v_lshlrev_b64 v[1:2], 3, v[6:7]
	v_mov_b32_e32 v3, s15
	v_add_co_u32_e32 v6, vcc, s14, v1
	v_addc_co_u32_e32 v7, vcc, v3, v2, vcc
	global_load_dwordx2 v[2:3], v[6:7], off
	s_lshl_b32 s0, s2, 3
	s_addk_i32 s0, 0x2000
	v_lshl_add_u32 v0, v0, 3, s0
	ds_read_b64 v[0:1], v0
	s_mov_b64 s[0:1], 0
	s_waitcnt lgkmcnt(0)
	v_add_f64 v[4:5], v[4:5], v[0:1]
.LBB95_166:                             ; =>This Inner Loop Header: Depth=1
	s_waitcnt vmcnt(0)
	v_add_f64 v[0:1], v[2:3], v[4:5]
	global_atomic_cmpswap_x2 v[0:1], v[6:7], v[0:3], off glc
	s_waitcnt vmcnt(0)
	v_cmp_eq_u64_e32 vcc, v[0:1], v[2:3]
	v_mov_b32_e32 v3, v1
	s_or_b64 s[0:1], vcc, s[0:1]
	v_mov_b32_e32 v2, v0
	s_andn2_b64 exec, exec, s[0:1]
	s_cbranch_execnz .LBB95_166
.LBB95_167:
	s_endpgm
	.section	.rodata,"a",@progbits
	.p2align	6, 0x0
	.amdhsa_kernel _ZN9rocsparseL27csrmvn_symm_adaptive_kernelIlifdddEEvbT_S1_PKS1_NS_24const_host_device_scalarIT4_EES3_PKT0_PKT1_PKT2_S6_PT3_21rocsparse_index_base_b
		.amdhsa_group_segment_fixed_size 8192
		.amdhsa_private_segment_fixed_size 0
		.amdhsa_kernarg_size 352
		.amdhsa_user_sgpr_count 6
		.amdhsa_user_sgpr_private_segment_buffer 1
		.amdhsa_user_sgpr_dispatch_ptr 0
		.amdhsa_user_sgpr_queue_ptr 0
		.amdhsa_user_sgpr_kernarg_segment_ptr 1
		.amdhsa_user_sgpr_dispatch_id 0
		.amdhsa_user_sgpr_flat_scratch_init 0
		.amdhsa_user_sgpr_private_segment_size 0
		.amdhsa_uses_dynamic_stack 0
		.amdhsa_system_sgpr_private_segment_wavefront_offset 0
		.amdhsa_system_sgpr_workgroup_id_x 1
		.amdhsa_system_sgpr_workgroup_id_y 0
		.amdhsa_system_sgpr_workgroup_id_z 0
		.amdhsa_system_sgpr_workgroup_info 0
		.amdhsa_system_vgpr_workitem_id 0
		.amdhsa_next_free_vgpr 29
		.amdhsa_next_free_sgpr 61
		.amdhsa_reserve_vcc 1
		.amdhsa_reserve_flat_scratch 0
		.amdhsa_float_round_mode_32 0
		.amdhsa_float_round_mode_16_64 0
		.amdhsa_float_denorm_mode_32 3
		.amdhsa_float_denorm_mode_16_64 3
		.amdhsa_dx10_clamp 1
		.amdhsa_ieee_mode 1
		.amdhsa_fp16_overflow 0
		.amdhsa_exception_fp_ieee_invalid_op 0
		.amdhsa_exception_fp_denorm_src 0
		.amdhsa_exception_fp_ieee_div_zero 0
		.amdhsa_exception_fp_ieee_overflow 0
		.amdhsa_exception_fp_ieee_underflow 0
		.amdhsa_exception_fp_ieee_inexact 0
		.amdhsa_exception_int_div_zero 0
	.end_amdhsa_kernel
	.section	.text._ZN9rocsparseL27csrmvn_symm_adaptive_kernelIlifdddEEvbT_S1_PKS1_NS_24const_host_device_scalarIT4_EES3_PKT0_PKT1_PKT2_S6_PT3_21rocsparse_index_base_b,"axG",@progbits,_ZN9rocsparseL27csrmvn_symm_adaptive_kernelIlifdddEEvbT_S1_PKS1_NS_24const_host_device_scalarIT4_EES3_PKT0_PKT1_PKT2_S6_PT3_21rocsparse_index_base_b,comdat
.Lfunc_end95:
	.size	_ZN9rocsparseL27csrmvn_symm_adaptive_kernelIlifdddEEvbT_S1_PKS1_NS_24const_host_device_scalarIT4_EES3_PKT0_PKT1_PKT2_S6_PT3_21rocsparse_index_base_b, .Lfunc_end95-_ZN9rocsparseL27csrmvn_symm_adaptive_kernelIlifdddEEvbT_S1_PKS1_NS_24const_host_device_scalarIT4_EES3_PKT0_PKT1_PKT2_S6_PT3_21rocsparse_index_base_b
                                        ; -- End function
	.set _ZN9rocsparseL27csrmvn_symm_adaptive_kernelIlifdddEEvbT_S1_PKS1_NS_24const_host_device_scalarIT4_EES3_PKT0_PKT1_PKT2_S6_PT3_21rocsparse_index_base_b.num_vgpr, 23
	.set _ZN9rocsparseL27csrmvn_symm_adaptive_kernelIlifdddEEvbT_S1_PKS1_NS_24const_host_device_scalarIT4_EES3_PKT0_PKT1_PKT2_S6_PT3_21rocsparse_index_base_b.num_agpr, 0
	.set _ZN9rocsparseL27csrmvn_symm_adaptive_kernelIlifdddEEvbT_S1_PKS1_NS_24const_host_device_scalarIT4_EES3_PKT0_PKT1_PKT2_S6_PT3_21rocsparse_index_base_b.numbered_sgpr, 52
	.set _ZN9rocsparseL27csrmvn_symm_adaptive_kernelIlifdddEEvbT_S1_PKS1_NS_24const_host_device_scalarIT4_EES3_PKT0_PKT1_PKT2_S6_PT3_21rocsparse_index_base_b.num_named_barrier, 0
	.set _ZN9rocsparseL27csrmvn_symm_adaptive_kernelIlifdddEEvbT_S1_PKS1_NS_24const_host_device_scalarIT4_EES3_PKT0_PKT1_PKT2_S6_PT3_21rocsparse_index_base_b.private_seg_size, 0
	.set _ZN9rocsparseL27csrmvn_symm_adaptive_kernelIlifdddEEvbT_S1_PKS1_NS_24const_host_device_scalarIT4_EES3_PKT0_PKT1_PKT2_S6_PT3_21rocsparse_index_base_b.uses_vcc, 1
	.set _ZN9rocsparseL27csrmvn_symm_adaptive_kernelIlifdddEEvbT_S1_PKS1_NS_24const_host_device_scalarIT4_EES3_PKT0_PKT1_PKT2_S6_PT3_21rocsparse_index_base_b.uses_flat_scratch, 0
	.set _ZN9rocsparseL27csrmvn_symm_adaptive_kernelIlifdddEEvbT_S1_PKS1_NS_24const_host_device_scalarIT4_EES3_PKT0_PKT1_PKT2_S6_PT3_21rocsparse_index_base_b.has_dyn_sized_stack, 0
	.set _ZN9rocsparseL27csrmvn_symm_adaptive_kernelIlifdddEEvbT_S1_PKS1_NS_24const_host_device_scalarIT4_EES3_PKT0_PKT1_PKT2_S6_PT3_21rocsparse_index_base_b.has_recursion, 0
	.set _ZN9rocsparseL27csrmvn_symm_adaptive_kernelIlifdddEEvbT_S1_PKS1_NS_24const_host_device_scalarIT4_EES3_PKT0_PKT1_PKT2_S6_PT3_21rocsparse_index_base_b.has_indirect_call, 0
	.section	.AMDGPU.csdata,"",@progbits
; Kernel info:
; codeLenInByte = 8088
; TotalNumSgprs: 56
; NumVgprs: 23
; ScratchSize: 0
; MemoryBound: 0
; FloatMode: 240
; IeeeMode: 1
; LDSByteSize: 8192 bytes/workgroup (compile time only)
; SGPRBlocks: 8
; VGPRBlocks: 7
; NumSGPRsForWavesPerEU: 65
; NumVGPRsForWavesPerEU: 29
; Occupancy: 8
; WaveLimiterHint : 1
; COMPUTE_PGM_RSRC2:SCRATCH_EN: 0
; COMPUTE_PGM_RSRC2:USER_SGPR: 6
; COMPUTE_PGM_RSRC2:TRAP_HANDLER: 0
; COMPUTE_PGM_RSRC2:TGID_X_EN: 1
; COMPUTE_PGM_RSRC2:TGID_Y_EN: 0
; COMPUTE_PGM_RSRC2:TGID_Z_EN: 0
; COMPUTE_PGM_RSRC2:TIDIG_COMP_CNT: 0
	.section	.text._ZL33csrmvn_symm_large_adaptive_kernelIlifdddEvbT_PKS0_N9rocsparse24const_host_device_scalarIT4_EES2_PKT0_PKT1_PKT2_S6_PT3_21rocsparse_index_base_b,"axG",@progbits,_ZL33csrmvn_symm_large_adaptive_kernelIlifdddEvbT_PKS0_N9rocsparse24const_host_device_scalarIT4_EES2_PKT0_PKT1_PKT2_S6_PT3_21rocsparse_index_base_b,comdat
	.globl	_ZL33csrmvn_symm_large_adaptive_kernelIlifdddEvbT_PKS0_N9rocsparse24const_host_device_scalarIT4_EES2_PKT0_PKT1_PKT2_S6_PT3_21rocsparse_index_base_b ; -- Begin function _ZL33csrmvn_symm_large_adaptive_kernelIlifdddEvbT_PKS0_N9rocsparse24const_host_device_scalarIT4_EES2_PKT0_PKT1_PKT2_S6_PT3_21rocsparse_index_base_b
	.p2align	8
	.type	_ZL33csrmvn_symm_large_adaptive_kernelIlifdddEvbT_PKS0_N9rocsparse24const_host_device_scalarIT4_EES2_PKT0_PKT1_PKT2_S6_PT3_21rocsparse_index_base_b,@function
_ZL33csrmvn_symm_large_adaptive_kernelIlifdddEvbT_PKS0_N9rocsparse24const_host_device_scalarIT4_EES2_PKT0_PKT1_PKT2_S6_PT3_21rocsparse_index_base_b: ; @_ZL33csrmvn_symm_large_adaptive_kernelIlifdddEvbT_PKS0_N9rocsparse24const_host_device_scalarIT4_EES2_PKT0_PKT1_PKT2_S6_PT3_21rocsparse_index_base_b
; %bb.0:
	s_load_dwordx2 s[10:11], s[4:5], 0x50
	s_load_dwordx2 s[8:9], s[4:5], 0x18
	;; [unrolled: 1-line block ×3, first 2 shown]
	s_waitcnt lgkmcnt(0)
	s_bitcmp1_b32 s11, 0
	s_cselect_b64 s[12:13], -1, 0
	v_mov_b32_e32 v4, s8
	s_xor_b64 s[2:3], s[12:13], -1
	s_and_b64 vcc, exec, s[12:13]
	v_mov_b32_e32 v5, s9
	s_cbranch_vccnz .LBB96_2
; %bb.1:
	v_mov_b32_e32 v1, s8
	v_mov_b32_e32 v2, s9
	flat_load_dwordx2 v[4:5], v[1:2]
.LBB96_2:
	v_mov_b32_e32 v2, s1
	s_andn2_b64 vcc, exec, s[2:3]
	v_mov_b32_e32 v1, s0
	s_cbranch_vccnz .LBB96_4
; %bb.3:
	v_mov_b32_e32 v2, s1
	v_mov_b32_e32 v1, s0
	flat_load_dwordx2 v[1:2], v[1:2]
.LBB96_4:
	s_waitcnt vmcnt(0) lgkmcnt(0)
	v_cmp_neq_f64_e32 vcc, 0, v[4:5]
	v_cmp_neq_f64_e64 s[0:1], 1.0, v[1:2]
	s_or_b64 s[0:1], vcc, s[0:1]
	s_and_saveexec_b64 s[2:3], s[0:1]
	s_cbranch_execz .LBB96_37
; %bb.5:
	s_load_dwordx2 s[0:1], s[4:5], 0x10
	s_mov_b32 s2, 0
	s_mov_b32 s3, s2
	v_mov_b32_e32 v1, s2
	s_ashr_i32 s7, s6, 31
	v_mov_b32_e32 v2, s3
	s_lshl_b64 s[2:3], s[6:7], 3
	s_waitcnt lgkmcnt(0)
	s_add_u32 s0, s0, s2
	v_lshlrev_b32_e32 v12, 3, v0
	s_addc_u32 s1, s1, s3
	ds_write2st64_b64 v12, v[1:2], v[1:2] offset1:4
	ds_write2st64_b64 v12, v[1:2], v[1:2] offset0:8 offset1:12
	s_waitcnt lgkmcnt(0)
	s_barrier
	s_load_dwordx4 s[20:23], s[0:1], 0x0
	s_load_dwordx8 s[12:19], s[4:5], 0x20
	s_load_dwordx2 s[24:25], s[4:5], 0x48
	v_subrev_co_u32_e64 v13, s[0:1], s10, v0
	s_waitcnt lgkmcnt(0)
	v_mov_b32_e32 v1, s22
	v_mov_b32_e32 v2, s23
	v_cmp_ge_i64_e32 vcc, s[20:21], v[1:2]
	v_mov_b32_e32 v15, 0
	v_subb_co_u32_e64 v14, s[0:1], 0, 0, s[0:1]
	s_cbranch_vccnz .LBB96_27
; %bb.6:
	v_mov_b32_e32 v6, s22
	v_cmp_gt_u32_e64 s[0:1], 64, v0
	v_cmp_gt_u32_e64 s[2:3], 16, v0
	;; [unrolled: 1-line block ×3, first 2 shown]
	v_cmp_eq_u32_e64 s[6:7], 0, v0
	v_mov_b32_e32 v7, s23
	s_movk_i32 s11, 0x100
	s_mov_b64 s[26:27], s[20:21]
	s_branch .LBB96_8
.LBB96_7:                               ;   in Loop: Header=BB96_8 Depth=1
	s_or_b64 exec, exec, s[8:9]
	s_add_u32 s26, s26, 1
	s_addc_u32 s27, s27, 0
	v_cmp_ge_i64_e32 vcc, s[26:27], v[6:7]
	s_cbranch_vccnz .LBB96_27
.LBB96_8:                               ; =>This Loop Header: Depth=1
                                        ;     Child Loop BB96_10 Depth 2
                                        ;     Child Loop BB96_22 Depth 2
	;; [unrolled: 1-line block ×3, first 2 shown]
	s_lshl_b64 s[28:29], s[26:27], 3
	s_add_u32 s8, s12, s28
	s_addc_u32 s9, s13, s29
	s_load_dwordx4 s[36:39], s[8:9], 0x0
	v_mov_b32_e32 v2, 0
	v_mov_b32_e32 v3, 0
	s_waitcnt lgkmcnt(0)
	s_sub_u32 s30, s38, s10
	v_mov_b32_e32 v1, s37
	v_add_co_u32_e32 v0, vcc, s36, v13
	s_subb_u32 s31, s39, 0
	v_addc_co_u32_e32 v1, vcc, v1, v14, vcc
	v_cmp_gt_i64_e32 vcc, s[30:31], v[0:1]
	s_and_saveexec_b64 s[34:35], vcc
	s_cbranch_execz .LBB96_12
; %bb.9:                                ;   in Loop: Header=BB96_8 Depth=1
	v_lshlrev_b64 v[2:3], 2, v[0:1]
	v_mov_b32_e32 v9, s15
	v_add_co_u32_e32 v8, vcc, s14, v2
	v_addc_co_u32_e32 v9, vcc, v9, v3, vcc
	v_mov_b32_e32 v11, s17
	v_add_co_u32_e32 v10, vcc, s16, v2
	v_addc_co_u32_e32 v11, vcc, v11, v3, vcc
	v_mov_b32_e32 v2, 0
	v_mov_b32_e32 v3, 0
	s_mov_b64 s[36:37], 0
.LBB96_10:                              ;   Parent Loop BB96_8 Depth=1
                                        ; =>  This Inner Loop Header: Depth=2
	global_load_dword v16, v[8:9], off
	global_load_dword v18, v[10:11], off
	v_mov_b32_e32 v19, s19
	s_waitcnt vmcnt(1)
	v_subrev_u32_e32 v16, s10, v16
	v_ashrrev_i32_e32 v17, 31, v16
	v_lshlrev_b64 v[16:17], 3, v[16:17]
	v_add_co_u32_e32 v16, vcc, s18, v16
	v_addc_co_u32_e32 v17, vcc, v19, v17, vcc
	global_load_dwordx2 v[16:17], v[16:17], off
	s_waitcnt vmcnt(1)
	v_cvt_f64_f32_e32 v[18:19], v18
	v_add_co_u32_e32 v0, vcc, s11, v0
	v_addc_co_u32_e32 v1, vcc, 0, v1, vcc
	v_add_co_u32_e32 v8, vcc, 0x400, v8
	v_addc_co_u32_e32 v9, vcc, 0, v9, vcc
	v_cmp_le_i64_e64 s[8:9], s[30:31], v[0:1]
	v_add_co_u32_e32 v10, vcc, 0x400, v10
	s_or_b64 s[36:37], s[8:9], s[36:37]
	v_addc_co_u32_e32 v11, vcc, 0, v11, vcc
	s_waitcnt vmcnt(0)
	v_fma_f64 v[2:3], v[18:19], v[16:17], v[2:3]
	s_andn2_b64 exec, exec, s[36:37]
	s_cbranch_execnz .LBB96_10
; %bb.11:                               ;   in Loop: Header=BB96_8 Depth=1
	s_or_b64 exec, exec, s[36:37]
.LBB96_12:                              ;   in Loop: Header=BB96_8 Depth=1
	s_or_b64 exec, exec, s[34:35]
	ds_write_b64 v12, v[2:3]
	s_waitcnt lgkmcnt(0)
	s_barrier
	ds_read2st64_b64 v[0:3], v12 offset1:4
	ds_read2st64_b64 v[8:11], v12 offset0:8 offset1:12
	s_waitcnt lgkmcnt(0)
	v_add_f64 v[2:3], v[2:3], v[8:9]
	v_add_f64 v[2:3], v[2:3], v[10:11]
	;; [unrolled: 1-line block ×3, first 2 shown]
	ds_write_b64 v12, v[0:1]
	s_waitcnt lgkmcnt(0)
	s_barrier
	s_and_saveexec_b64 s[8:9], s[0:1]
	s_cbranch_execz .LBB96_14
; %bb.13:                               ;   in Loop: Header=BB96_8 Depth=1
	ds_read2st64_b64 v[0:3], v12 offset1:1
	ds_read2st64_b64 v[8:11], v12 offset0:2 offset1:3
	s_waitcnt lgkmcnt(0)
	v_add_f64 v[2:3], v[2:3], v[8:9]
	v_add_f64 v[2:3], v[2:3], v[10:11]
	;; [unrolled: 1-line block ×3, first 2 shown]
	ds_write_b64 v12, v[0:1]
.LBB96_14:                              ;   in Loop: Header=BB96_8 Depth=1
	s_or_b64 exec, exec, s[8:9]
	s_waitcnt lgkmcnt(0)
	s_barrier
	s_and_saveexec_b64 s[8:9], s[2:3]
	s_cbranch_execz .LBB96_16
; %bb.15:                               ;   in Loop: Header=BB96_8 Depth=1
	ds_read2_b64 v[0:3], v12 offset1:16
	ds_read2_b64 v[8:11], v12 offset0:32 offset1:48
	s_waitcnt lgkmcnt(0)
	v_add_f64 v[2:3], v[2:3], v[8:9]
	v_add_f64 v[2:3], v[2:3], v[10:11]
	v_add_f64 v[0:1], v[0:1], v[2:3]
	ds_write_b64 v12, v[0:1]
.LBB96_16:                              ;   in Loop: Header=BB96_8 Depth=1
	s_or_b64 exec, exec, s[8:9]
	s_waitcnt lgkmcnt(0)
	s_barrier
	s_and_saveexec_b64 s[8:9], s[4:5]
	s_cbranch_execz .LBB96_18
; %bb.17:                               ;   in Loop: Header=BB96_8 Depth=1
	ds_read2_b64 v[0:3], v12 offset1:4
	ds_read2_b64 v[8:11], v12 offset0:8 offset1:12
	s_waitcnt lgkmcnt(0)
	v_add_f64 v[2:3], v[2:3], v[8:9]
	v_add_f64 v[2:3], v[2:3], v[10:11]
	;; [unrolled: 1-line block ×3, first 2 shown]
	ds_write_b64 v12, v[0:1]
.LBB96_18:                              ;   in Loop: Header=BB96_8 Depth=1
	s_or_b64 exec, exec, s[8:9]
	s_waitcnt lgkmcnt(0)
	s_barrier
	s_and_saveexec_b64 s[8:9], s[6:7]
	s_cbranch_execz .LBB96_20
; %bb.19:                               ;   in Loop: Header=BB96_8 Depth=1
	ds_read2_b64 v[0:3], v15 offset0:1 offset1:2
	ds_read_b64 v[8:9], v12
	s_waitcnt lgkmcnt(1)
	v_add_f64 v[0:1], v[0:1], v[2:3]
	ds_read_b64 v[2:3], v15 offset:24
	s_waitcnt lgkmcnt(0)
	v_add_f64 v[0:1], v[0:1], v[2:3]
	v_add_f64 v[0:1], v[8:9], v[0:1]
	ds_write_b64 v12, v[0:1]
.LBB96_20:                              ;   in Loop: Header=BB96_8 Depth=1
	s_or_b64 exec, exec, s[8:9]
	s_waitcnt lgkmcnt(0)
	s_barrier
	s_and_saveexec_b64 s[8:9], s[6:7]
	s_cbranch_execz .LBB96_7
; %bb.21:                               ;   in Loop: Header=BB96_8 Depth=1
	ds_read_b64 v[0:1], v15
	v_mov_b32_e32 v8, 0
	s_mov_b64 s[30:31], exec
	v_bfrev_b32_e32 v9, 1
	s_waitcnt lgkmcnt(0)
	v_mul_f64 v[0:1], v[4:5], v[0:1]
.LBB96_22:                              ;   Parent Loop BB96_8 Depth=1
                                        ; =>  This Inner Loop Header: Depth=2
	s_ff1_i32_b64 s33, s[30:31]
	v_readlane_b32 s35, v1, s33
	v_readlane_b32 s34, v0, s33
	v_add_f64 v[8:9], v[8:9], s[34:35]
	s_lshl_b64 s[34:35], 1, s33
	s_andn2_b64 s[30:31], s[30:31], s[34:35]
	s_cmp_lg_u64 s[30:31], 0
	s_cbranch_scc1 .LBB96_22
; %bb.23:                               ;   in Loop: Header=BB96_8 Depth=1
	v_mbcnt_lo_u32_b32 v0, exec_lo, 0
	v_mbcnt_hi_u32_b32 v0, exec_hi, v0
	v_cmp_eq_u32_e32 vcc, 0, v0
	s_and_saveexec_b64 s[30:31], vcc
	s_xor_b64 s[30:31], exec, s[30:31]
	s_cbranch_execz .LBB96_7
; %bb.24:                               ;   in Loop: Header=BB96_8 Depth=1
	s_add_u32 s28, s24, s28
	s_addc_u32 s29, s25, s29
	global_load_dwordx2 v[2:3], v15, s[28:29]
	s_mov_b64 s[30:31], 0
.LBB96_25:                              ;   Parent Loop BB96_8 Depth=1
                                        ; =>  This Inner Loop Header: Depth=2
	s_waitcnt vmcnt(0)
	v_add_f64 v[0:1], v[2:3], v[8:9]
	global_atomic_cmpswap_x2 v[0:1], v15, v[0:3], s[28:29] glc
	s_waitcnt vmcnt(0)
	v_cmp_eq_u64_e32 vcc, v[0:1], v[2:3]
	v_mov_b32_e32 v3, v1
	s_or_b64 s[30:31], vcc, s[30:31]
	v_mov_b32_e32 v2, v0
	s_andn2_b64 exec, exec, s[30:31]
	s_cbranch_execnz .LBB96_25
; %bb.26:                               ;   in Loop: Header=BB96_8 Depth=1
	s_or_b64 exec, exec, s[30:31]
	s_branch .LBB96_7
.LBB96_27:
	s_lshl_b64 s[0:1], s[20:21], 3
	s_add_u32 s0, s12, s0
	s_addc_u32 s1, s13, s1
	s_lshl_b64 s[2:3], s[22:23], 3
	s_add_u32 s2, s12, s2
	s_addc_u32 s3, s13, s3
	s_load_dwordx2 s[6:7], s[0:1], 0x0
	s_load_dwordx2 s[4:5], s[2:3], 0x0
	s_waitcnt lgkmcnt(0)
	v_mov_b32_e32 v0, s7
	s_sub_u32 s4, s4, s10
	v_add_co_u32_e32 v6, vcc, s6, v13
	s_subb_u32 s5, s5, 0
	v_addc_co_u32_e32 v7, vcc, v0, v14, vcc
	v_cmp_gt_i64_e32 vcc, s[4:5], v[6:7]
	s_and_b64 exec, exec, vcc
	s_cbranch_execz .LBB96_37
; %bb.28:
	s_add_u32 s6, s22, -1
	s_addc_u32 s7, s23, -1
	v_mov_b32_e32 v0, s6
	s_add_u32 s0, s22, -2
	v_mov_b32_e32 v1, s7
	s_addc_u32 s1, s23, -1
	v_cmp_lt_i64_e32 vcc, s[20:21], v[0:1]
	s_cmp_lg_u64 s[20:21], s[0:1]
	s_cselect_b64 s[0:1], -1, 0
	s_and_b64 s[0:1], vcc, s[0:1]
	v_cndmask_b32_e64 v0, 0, 1, s[0:1]
	s_mov_b64 s[8:9], 0
	v_cmp_ne_u32_e64 s[0:1], 1, v0
	v_mov_b32_e32 v12, s13
	v_mov_b32_e32 v13, s15
	s_branch .LBB96_30
.LBB96_29:                              ;   in Loop: Header=BB96_30 Depth=1
	s_or_b64 exec, exec, s[2:3]
	v_add_co_u32_e32 v6, vcc, 0x100, v6
	v_addc_co_u32_e32 v7, vcc, 0, v7, vcc
	v_cmp_le_i64_e32 vcc, s[4:5], v[6:7]
	s_or_b64 s[8:9], vcc, s[8:9]
	s_andn2_b64 exec, exec, s[8:9]
	s_cbranch_execz .LBB96_37
.LBB96_30:                              ; =>This Loop Header: Depth=1
                                        ;     Child Loop BB96_32 Depth 2
                                        ;     Child Loop BB96_36 Depth 2
	v_mov_b32_e32 v0, s20
	v_mov_b32_e32 v2, s6
	s_and_b64 vcc, exec, s[0:1]
	v_mov_b32_e32 v1, s21
	v_mov_b32_e32 v3, s7
	s_cbranch_vccnz .LBB96_34
; %bb.31:                               ;   in Loop: Header=BB96_30 Depth=1
	v_mov_b32_e32 v0, s20
	v_mov_b32_e32 v2, s6
	s_mov_b64 s[22:23], 0
	v_mov_b32_e32 v1, s21
	v_mov_b32_e32 v3, s7
.LBB96_32:                              ;   Parent Loop BB96_30 Depth=1
                                        ; =>  This Inner Loop Header: Depth=2
	v_add_co_u32_e32 v8, vcc, v2, v0
	v_addc_co_u32_e32 v9, vcc, v3, v1, vcc
	v_lshrrev_b32_e32 v10, 31, v9
	v_add_co_u32_e32 v8, vcc, v8, v10
	v_addc_co_u32_e32 v9, vcc, 0, v9, vcc
	v_ashrrev_i64 v[8:9], 1, v[8:9]
	v_mov_b32_e32 v14, s13
	v_lshlrev_b64 v[10:11], 3, v[8:9]
	v_add_co_u32_e32 v10, vcc, s12, v10
	v_addc_co_u32_e32 v11, vcc, v14, v11, vcc
	global_load_dwordx2 v[10:11], v[10:11], off
	s_waitcnt vmcnt(0)
	v_subrev_co_u32_e32 v10, vcc, s10, v10
	v_subbrev_co_u32_e32 v11, vcc, 0, v11, vcc
	v_cmp_lt_i64_e32 vcc, v[6:7], v[10:11]
	v_cndmask_b32_e32 v2, v2, v8, vcc
	v_cndmask_b32_e32 v3, v3, v9, vcc
	v_cndmask_b32_e32 v0, v8, v0, vcc
	v_add_co_u32_e64 v8, s[2:3], -1, v2
	v_cndmask_b32_e32 v1, v9, v1, vcc
	v_addc_co_u32_e64 v9, s[2:3], -1, v3, s[2:3]
	v_cmp_ge_i64_e32 vcc, v[0:1], v[2:3]
	v_cmp_eq_u64_e64 s[2:3], v[0:1], v[8:9]
	s_or_b64 s[2:3], vcc, s[2:3]
	s_and_b64 s[2:3], exec, s[2:3]
	s_or_b64 s[22:23], s[2:3], s[22:23]
	s_andn2_b64 exec, exec, s[22:23]
	s_cbranch_execnz .LBB96_32
; %bb.33:                               ;   in Loop: Header=BB96_30 Depth=1
	s_or_b64 exec, exec, s[22:23]
.LBB96_34:                              ;   in Loop: Header=BB96_30 Depth=1
	v_lshlrev_b64 v[8:9], 3, v[2:3]
	v_lshlrev_b64 v[10:11], 2, v[6:7]
	v_add_co_u32_e32 v8, vcc, s12, v8
	v_addc_co_u32_e32 v9, vcc, v12, v9, vcc
	global_load_dwordx2 v[8:9], v[8:9], off
	v_add_co_u32_e32 v14, vcc, s14, v10
	v_addc_co_u32_e32 v15, vcc, v13, v11, vcc
	global_load_dword v16, v[14:15], off
	s_waitcnt vmcnt(1)
	v_subrev_co_u32_e32 v14, vcc, s10, v8
	v_subbrev_co_u32_e32 v15, vcc, 0, v9, vcc
	v_cmp_lt_i64_e32 vcc, v[6:7], v[14:15]
	s_waitcnt vmcnt(0)
	v_subrev_u32_e32 v8, s10, v16
	v_cndmask_b32_e32 v1, v3, v1, vcc
	v_cndmask_b32_e32 v0, v2, v0, vcc
	v_ashrrev_i32_e32 v9, 31, v8
	v_cmp_ne_u64_e32 vcc, v[0:1], v[8:9]
	s_and_saveexec_b64 s[2:3], vcc
	s_cbranch_execz .LBB96_29
; %bb.35:                               ;   in Loop: Header=BB96_30 Depth=1
	v_mov_b32_e32 v3, s17
	v_add_co_u32_e32 v2, vcc, s16, v10
	v_addc_co_u32_e32 v3, vcc, v3, v11, vcc
	global_load_dword v10, v[2:3], off
	v_lshlrev_b64 v[0:1], 3, v[0:1]
	v_mov_b32_e32 v2, s19
	v_add_co_u32_e32 v0, vcc, s18, v0
	v_addc_co_u32_e32 v1, vcc, v2, v1, vcc
	global_load_dwordx2 v[0:1], v[0:1], off
	v_lshlrev_b64 v[2:3], 3, v[8:9]
	v_mov_b32_e32 v9, s25
	v_add_co_u32_e32 v8, vcc, s24, v2
	v_addc_co_u32_e32 v9, vcc, v9, v3, vcc
	global_load_dwordx2 v[2:3], v[8:9], off
	s_mov_b64 s[22:23], 0
	s_waitcnt vmcnt(2)
	v_cvt_f64_f32_e32 v[10:11], v10
	v_mul_f64 v[10:11], v[4:5], v[10:11]
	s_waitcnt vmcnt(1)
	v_mul_f64 v[10:11], v[0:1], v[10:11]
.LBB96_36:                              ;   Parent Loop BB96_30 Depth=1
                                        ; =>  This Inner Loop Header: Depth=2
	s_waitcnt vmcnt(0)
	v_add_f64 v[0:1], v[2:3], v[10:11]
	global_atomic_cmpswap_x2 v[0:1], v[8:9], v[0:3], off glc
	s_waitcnt vmcnt(0)
	v_cmp_eq_u64_e32 vcc, v[0:1], v[2:3]
	v_mov_b32_e32 v3, v1
	s_or_b64 s[22:23], vcc, s[22:23]
	v_mov_b32_e32 v2, v0
	s_andn2_b64 exec, exec, s[22:23]
	s_cbranch_execnz .LBB96_36
	s_branch .LBB96_29
.LBB96_37:
	s_endpgm
	.section	.rodata,"a",@progbits
	.p2align	6, 0x0
	.amdhsa_kernel _ZL33csrmvn_symm_large_adaptive_kernelIlifdddEvbT_PKS0_N9rocsparse24const_host_device_scalarIT4_EES2_PKT0_PKT1_PKT2_S6_PT3_21rocsparse_index_base_b
		.amdhsa_group_segment_fixed_size 8192
		.amdhsa_private_segment_fixed_size 0
		.amdhsa_kernarg_size 88
		.amdhsa_user_sgpr_count 6
		.amdhsa_user_sgpr_private_segment_buffer 1
		.amdhsa_user_sgpr_dispatch_ptr 0
		.amdhsa_user_sgpr_queue_ptr 0
		.amdhsa_user_sgpr_kernarg_segment_ptr 1
		.amdhsa_user_sgpr_dispatch_id 0
		.amdhsa_user_sgpr_flat_scratch_init 0
		.amdhsa_user_sgpr_private_segment_size 0
		.amdhsa_uses_dynamic_stack 0
		.amdhsa_system_sgpr_private_segment_wavefront_offset 0
		.amdhsa_system_sgpr_workgroup_id_x 1
		.amdhsa_system_sgpr_workgroup_id_y 0
		.amdhsa_system_sgpr_workgroup_id_z 0
		.amdhsa_system_sgpr_workgroup_info 0
		.amdhsa_system_vgpr_workitem_id 0
		.amdhsa_next_free_vgpr 29
		.amdhsa_next_free_sgpr 61
		.amdhsa_reserve_vcc 1
		.amdhsa_reserve_flat_scratch 0
		.amdhsa_float_round_mode_32 0
		.amdhsa_float_round_mode_16_64 0
		.amdhsa_float_denorm_mode_32 3
		.amdhsa_float_denorm_mode_16_64 3
		.amdhsa_dx10_clamp 1
		.amdhsa_ieee_mode 1
		.amdhsa_fp16_overflow 0
		.amdhsa_exception_fp_ieee_invalid_op 0
		.amdhsa_exception_fp_denorm_src 0
		.amdhsa_exception_fp_ieee_div_zero 0
		.amdhsa_exception_fp_ieee_overflow 0
		.amdhsa_exception_fp_ieee_underflow 0
		.amdhsa_exception_fp_ieee_inexact 0
		.amdhsa_exception_int_div_zero 0
	.end_amdhsa_kernel
	.section	.text._ZL33csrmvn_symm_large_adaptive_kernelIlifdddEvbT_PKS0_N9rocsparse24const_host_device_scalarIT4_EES2_PKT0_PKT1_PKT2_S6_PT3_21rocsparse_index_base_b,"axG",@progbits,_ZL33csrmvn_symm_large_adaptive_kernelIlifdddEvbT_PKS0_N9rocsparse24const_host_device_scalarIT4_EES2_PKT0_PKT1_PKT2_S6_PT3_21rocsparse_index_base_b,comdat
.Lfunc_end96:
	.size	_ZL33csrmvn_symm_large_adaptive_kernelIlifdddEvbT_PKS0_N9rocsparse24const_host_device_scalarIT4_EES2_PKT0_PKT1_PKT2_S6_PT3_21rocsparse_index_base_b, .Lfunc_end96-_ZL33csrmvn_symm_large_adaptive_kernelIlifdddEvbT_PKS0_N9rocsparse24const_host_device_scalarIT4_EES2_PKT0_PKT1_PKT2_S6_PT3_21rocsparse_index_base_b
                                        ; -- End function
	.set _ZL33csrmvn_symm_large_adaptive_kernelIlifdddEvbT_PKS0_N9rocsparse24const_host_device_scalarIT4_EES2_PKT0_PKT1_PKT2_S6_PT3_21rocsparse_index_base_b.num_vgpr, 20
	.set _ZL33csrmvn_symm_large_adaptive_kernelIlifdddEvbT_PKS0_N9rocsparse24const_host_device_scalarIT4_EES2_PKT0_PKT1_PKT2_S6_PT3_21rocsparse_index_base_b.num_agpr, 0
	.set _ZL33csrmvn_symm_large_adaptive_kernelIlifdddEvbT_PKS0_N9rocsparse24const_host_device_scalarIT4_EES2_PKT0_PKT1_PKT2_S6_PT3_21rocsparse_index_base_b.numbered_sgpr, 40
	.set _ZL33csrmvn_symm_large_adaptive_kernelIlifdddEvbT_PKS0_N9rocsparse24const_host_device_scalarIT4_EES2_PKT0_PKT1_PKT2_S6_PT3_21rocsparse_index_base_b.num_named_barrier, 0
	.set _ZL33csrmvn_symm_large_adaptive_kernelIlifdddEvbT_PKS0_N9rocsparse24const_host_device_scalarIT4_EES2_PKT0_PKT1_PKT2_S6_PT3_21rocsparse_index_base_b.private_seg_size, 0
	.set _ZL33csrmvn_symm_large_adaptive_kernelIlifdddEvbT_PKS0_N9rocsparse24const_host_device_scalarIT4_EES2_PKT0_PKT1_PKT2_S6_PT3_21rocsparse_index_base_b.uses_vcc, 1
	.set _ZL33csrmvn_symm_large_adaptive_kernelIlifdddEvbT_PKS0_N9rocsparse24const_host_device_scalarIT4_EES2_PKT0_PKT1_PKT2_S6_PT3_21rocsparse_index_base_b.uses_flat_scratch, 0
	.set _ZL33csrmvn_symm_large_adaptive_kernelIlifdddEvbT_PKS0_N9rocsparse24const_host_device_scalarIT4_EES2_PKT0_PKT1_PKT2_S6_PT3_21rocsparse_index_base_b.has_dyn_sized_stack, 0
	.set _ZL33csrmvn_symm_large_adaptive_kernelIlifdddEvbT_PKS0_N9rocsparse24const_host_device_scalarIT4_EES2_PKT0_PKT1_PKT2_S6_PT3_21rocsparse_index_base_b.has_recursion, 0
	.set _ZL33csrmvn_symm_large_adaptive_kernelIlifdddEvbT_PKS0_N9rocsparse24const_host_device_scalarIT4_EES2_PKT0_PKT1_PKT2_S6_PT3_21rocsparse_index_base_b.has_indirect_call, 0
	.section	.AMDGPU.csdata,"",@progbits
; Kernel info:
; codeLenInByte = 1776
; TotalNumSgprs: 44
; NumVgprs: 20
; ScratchSize: 0
; MemoryBound: 0
; FloatMode: 240
; IeeeMode: 1
; LDSByteSize: 8192 bytes/workgroup (compile time only)
; SGPRBlocks: 8
; VGPRBlocks: 7
; NumSGPRsForWavesPerEU: 65
; NumVGPRsForWavesPerEU: 29
; Occupancy: 8
; WaveLimiterHint : 1
; COMPUTE_PGM_RSRC2:SCRATCH_EN: 0
; COMPUTE_PGM_RSRC2:USER_SGPR: 6
; COMPUTE_PGM_RSRC2:TRAP_HANDLER: 0
; COMPUTE_PGM_RSRC2:TGID_X_EN: 1
; COMPUTE_PGM_RSRC2:TGID_Y_EN: 0
; COMPUTE_PGM_RSRC2:TGID_Z_EN: 0
; COMPUTE_PGM_RSRC2:TIDIG_COMP_CNT: 0
	.section	.text._ZN9rocsparseL22csrmvn_adaptive_kernelIllfdddEEvbT_PKS1_PjPKT0_NS_24const_host_device_scalarIT4_EES3_S7_PKT1_PKT2_SA_PT3_21rocsparse_index_base_b,"axG",@progbits,_ZN9rocsparseL22csrmvn_adaptive_kernelIllfdddEEvbT_PKS1_PjPKT0_NS_24const_host_device_scalarIT4_EES3_S7_PKT1_PKT2_SA_PT3_21rocsparse_index_base_b,comdat
	.globl	_ZN9rocsparseL22csrmvn_adaptive_kernelIllfdddEEvbT_PKS1_PjPKT0_NS_24const_host_device_scalarIT4_EES3_S7_PKT1_PKT2_SA_PT3_21rocsparse_index_base_b ; -- Begin function _ZN9rocsparseL22csrmvn_adaptive_kernelIllfdddEEvbT_PKS1_PjPKT0_NS_24const_host_device_scalarIT4_EES3_S7_PKT1_PKT2_SA_PT3_21rocsparse_index_base_b
	.p2align	8
	.type	_ZN9rocsparseL22csrmvn_adaptive_kernelIllfdddEEvbT_PKS1_PjPKT0_NS_24const_host_device_scalarIT4_EES3_S7_PKT1_PKT2_SA_PT3_21rocsparse_index_base_b,@function
_ZN9rocsparseL22csrmvn_adaptive_kernelIllfdddEEvbT_PKS1_PjPKT0_NS_24const_host_device_scalarIT4_EES3_S7_PKT1_PKT2_SA_PT3_21rocsparse_index_base_b: ; @_ZN9rocsparseL22csrmvn_adaptive_kernelIllfdddEEvbT_PKS1_PjPKT0_NS_24const_host_device_scalarIT4_EES3_S7_PKT1_PKT2_SA_PT3_21rocsparse_index_base_b
; %bb.0:
	s_load_dwordx2 s[46:47], s[4:5], 0x60
	s_load_dwordx2 s[8:9], s[4:5], 0x28
	;; [unrolled: 1-line block ×3, first 2 shown]
	s_waitcnt lgkmcnt(0)
	s_bitcmp1_b32 s47, 0
	s_cselect_b64 s[10:11], -1, 0
	v_mov_b32_e32 v7, s8
	s_xor_b64 s[2:3], s[10:11], -1
	s_and_b64 vcc, exec, s[10:11]
	v_mov_b32_e32 v8, s9
	s_cbranch_vccnz .LBB97_2
; %bb.1:
	v_mov_b32_e32 v1, s8
	v_mov_b32_e32 v2, s9
	flat_load_dwordx2 v[7:8], v[1:2]
.LBB97_2:
	v_mov_b32_e32 v6, s1
	s_andn2_b64 vcc, exec, s[2:3]
	v_mov_b32_e32 v5, s0
	s_cbranch_vccnz .LBB97_4
; %bb.3:
	v_mov_b32_e32 v2, s1
	v_mov_b32_e32 v1, s0
	flat_load_dwordx2 v[5:6], v[1:2]
.LBB97_4:
	s_waitcnt vmcnt(0) lgkmcnt(0)
	v_cmp_neq_f64_e32 vcc, 0, v[7:8]
	v_cmp_neq_f64_e64 s[0:1], 1.0, v[5:6]
	s_or_b64 s[0:1], vcc, s[0:1]
	s_and_saveexec_b64 s[2:3], s[0:1]
	s_cbranch_execz .LBB97_115
; %bb.5:
	s_load_dwordx2 s[0:1], s[4:5], 0x10
	s_load_dwordx2 s[2:3], s[4:5], 0x20
	s_ashr_i32 s7, s6, 31
	s_lshl_b64 s[8:9], s[6:7], 3
	s_waitcnt lgkmcnt(0)
	s_add_u32 s0, s0, s8
	s_addc_u32 s1, s1, s9
	s_load_dwordx4 s[36:39], s[0:1], 0x0
	s_load_dwordx2 s[34:35], s[4:5], 0x58
	s_load_dwordx8 s[24:31], s[4:5], 0x30
	s_waitcnt lgkmcnt(0)
	s_sub_u32 s0, s38, s36
	s_subb_u32 s1, s39, s37
	s_add_u32 s2, s2, s8
	s_addc_u32 s3, s3, s9
	s_lshl_b64 s[48:49], s[36:37], 3
	s_add_u32 s44, s24, s48
	s_addc_u32 s45, s25, s49
	s_load_dwordx2 s[40:41], s[2:3], 0x0
	s_load_dwordx2 s[42:43], s[44:45], 0x0
	v_cmp_lt_i64_e64 s[8:9], s[0:1], 2
	s_mov_b64 s[2:3], -1
	s_and_b64 vcc, exec, s[8:9]
	s_cbranch_vccz .LBB97_71
; %bb.6:
	s_cmp_lg_u64 s[0:1], 1
	s_cselect_b64 s[0:1], -1, 0
	s_waitcnt lgkmcnt(0)
	s_cmp_lg_u64 s[40:41], 0
	s_cselect_b64 s[2:3], -1, 0
	s_or_b64 s[0:1], s[0:1], s[2:3]
	s_mov_b64 s[18:19], -1
	s_and_b64 vcc, exec, s[0:1]
	v_cmp_gt_u32_e64 s[0:1], 64, v0
	v_cmp_gt_u32_e64 s[2:3], 32, v0
	v_cmp_gt_u32_e64 s[8:9], 16, v0
	v_cmp_gt_u32_e64 s[10:11], 8, v0
	v_cmp_gt_u32_e64 s[12:13], 4, v0
	v_cmp_gt_u32_e64 s[14:15], 2, v0
	v_cmp_eq_u32_e64 s[16:17], 0, v0
	s_cbranch_vccnz .LBB97_34
; %bb.7:
	v_cmp_neq_f64_e64 s[18:19], 0, v[5:6]
	v_subrev_co_u32_e32 v16, vcc, s46, v0
	v_subb_co_u32_e64 v17, s[20:21], 0, 0, vcc
	s_movk_i32 s20, 0x80
	v_mov_b32_e32 v1, s38
	v_mov_b32_e32 v15, 0
	v_lshlrev_b32_e32 v18, 3, v0
	v_cmp_gt_u32_e64 s[20:21], s20, v0
	v_mov_b32_e32 v2, s39
	s_movk_i32 s33, 0x100
	s_mov_b64 s[50:51], s[36:37]
	s_branch .LBB97_10
.LBB97_8:                               ;   in Loop: Header=BB97_10 Depth=1
	s_or_b64 exec, exec, s[54:55]
	s_add_u32 s52, s34, s52
	s_addc_u32 s53, s35, s53
	s_waitcnt lgkmcnt(0)
	global_store_dwordx2 v15, v[3:4], s[52:53]
.LBB97_9:                               ;   in Loop: Header=BB97_10 Depth=1
	s_or_b64 exec, exec, s[22:23]
	s_add_u32 s50, s50, 1
	s_addc_u32 s51, s51, 0
	v_cmp_ge_i64_e32 vcc, s[50:51], v[1:2]
	s_cbranch_vccnz .LBB97_33
.LBB97_10:                              ; =>This Loop Header: Depth=1
                                        ;     Child Loop BB97_12 Depth 2
	s_lshl_b64 s[52:53], s[50:51], 3
	s_add_u32 s22, s24, s52
	s_addc_u32 s23, s25, s53
	s_load_dwordx4 s[56:59], s[22:23], 0x0
	v_mov_b32_e32 v9, 0
	v_mov_b32_e32 v10, 0
	s_waitcnt lgkmcnt(0)
	s_sub_u32 s54, s58, s46
	v_mov_b32_e32 v4, s57
	v_add_co_u32_e32 v3, vcc, s56, v16
	s_subb_u32 s55, s59, 0
	v_addc_co_u32_e32 v4, vcc, v4, v17, vcc
	v_cmp_gt_i64_e32 vcc, s[54:55], v[3:4]
	s_and_saveexec_b64 s[56:57], vcc
	s_cbranch_execz .LBB97_14
; %bb.11:                               ;   in Loop: Header=BB97_10 Depth=1
	v_lshlrev_b64 v[9:10], 2, v[3:4]
	v_mov_b32_e32 v12, s29
	v_add_co_u32_e32 v11, vcc, s28, v9
	v_addc_co_u32_e32 v12, vcc, v12, v10, vcc
	v_lshlrev_b64 v[9:10], 3, v[3:4]
	v_mov_b32_e32 v14, s27
	v_add_co_u32_e32 v13, vcc, s26, v9
	v_addc_co_u32_e32 v14, vcc, v14, v10, vcc
	v_mov_b32_e32 v9, 0
	v_mov_b32_e32 v10, 0
	s_mov_b64 s[58:59], 0
.LBB97_12:                              ;   Parent Loop BB97_10 Depth=1
                                        ; =>  This Inner Loop Header: Depth=2
	global_load_dwordx2 v[19:20], v[13:14], off
	global_load_dword v21, v[11:12], off
	v_mov_b32_e32 v22, s31
	s_waitcnt vmcnt(1)
	v_subrev_co_u32_e32 v19, vcc, s46, v19
	v_subbrev_co_u32_e32 v20, vcc, 0, v20, vcc
	v_lshlrev_b64 v[19:20], 3, v[19:20]
	v_add_co_u32_e32 v19, vcc, s30, v19
	v_addc_co_u32_e32 v20, vcc, v22, v20, vcc
	global_load_dwordx2 v[19:20], v[19:20], off
	s_waitcnt vmcnt(1)
	v_cvt_f64_f32_e32 v[21:22], v21
	v_add_co_u32_e32 v3, vcc, s33, v3
	v_addc_co_u32_e32 v4, vcc, 0, v4, vcc
	v_mul_f64 v[21:22], v[7:8], v[21:22]
	v_add_co_u32_e32 v11, vcc, 0x400, v11
	v_addc_co_u32_e32 v12, vcc, 0, v12, vcc
	v_cmp_le_i64_e64 s[22:23], s[54:55], v[3:4]
	v_add_co_u32_e32 v13, vcc, 0x800, v13
	s_or_b64 s[58:59], s[22:23], s[58:59]
	v_addc_co_u32_e32 v14, vcc, 0, v14, vcc
	s_waitcnt vmcnt(0)
	v_fma_f64 v[9:10], v[21:22], v[19:20], v[9:10]
	s_andn2_b64 exec, exec, s[58:59]
	s_cbranch_execnz .LBB97_12
; %bb.13:                               ;   in Loop: Header=BB97_10 Depth=1
	s_or_b64 exec, exec, s[58:59]
.LBB97_14:                              ;   in Loop: Header=BB97_10 Depth=1
	s_or_b64 exec, exec, s[56:57]
	ds_write_b64 v18, v[9:10]
	s_waitcnt vmcnt(0) lgkmcnt(0)
	s_barrier
	s_and_saveexec_b64 s[22:23], s[20:21]
	s_cbranch_execz .LBB97_16
; %bb.15:                               ;   in Loop: Header=BB97_10 Depth=1
	ds_read2st64_b64 v[9:12], v18 offset1:2
	s_waitcnt lgkmcnt(0)
	v_add_f64 v[3:4], v[9:10], v[11:12]
	ds_write_b64 v18, v[3:4]
.LBB97_16:                              ;   in Loop: Header=BB97_10 Depth=1
	s_or_b64 exec, exec, s[22:23]
	s_waitcnt lgkmcnt(0)
	s_barrier
	s_and_saveexec_b64 s[22:23], s[0:1]
	s_cbranch_execz .LBB97_18
; %bb.17:                               ;   in Loop: Header=BB97_10 Depth=1
	ds_read2st64_b64 v[9:12], v18 offset1:1
	s_waitcnt lgkmcnt(0)
	v_add_f64 v[3:4], v[9:10], v[11:12]
	ds_write_b64 v18, v[3:4]
.LBB97_18:                              ;   in Loop: Header=BB97_10 Depth=1
	s_or_b64 exec, exec, s[22:23]
	s_waitcnt lgkmcnt(0)
	s_barrier
	s_and_saveexec_b64 s[22:23], s[2:3]
	s_cbranch_execz .LBB97_20
; %bb.19:                               ;   in Loop: Header=BB97_10 Depth=1
	ds_read2_b64 v[9:12], v18 offset1:32
	s_waitcnt lgkmcnt(0)
	v_add_f64 v[3:4], v[9:10], v[11:12]
	ds_write_b64 v18, v[3:4]
.LBB97_20:                              ;   in Loop: Header=BB97_10 Depth=1
	s_or_b64 exec, exec, s[22:23]
	s_waitcnt lgkmcnt(0)
	s_barrier
	s_and_saveexec_b64 s[22:23], s[8:9]
	s_cbranch_execz .LBB97_22
; %bb.21:                               ;   in Loop: Header=BB97_10 Depth=1
	ds_read2_b64 v[9:12], v18 offset1:16
	s_waitcnt lgkmcnt(0)
	v_add_f64 v[3:4], v[9:10], v[11:12]
	ds_write_b64 v18, v[3:4]
.LBB97_22:                              ;   in Loop: Header=BB97_10 Depth=1
	;; [unrolled: 11-line block ×5, first 2 shown]
	s_or_b64 exec, exec, s[22:23]
	s_waitcnt lgkmcnt(0)
	s_barrier
	s_and_saveexec_b64 s[22:23], s[16:17]
	s_cbranch_execz .LBB97_30
; %bb.29:                               ;   in Loop: Header=BB97_10 Depth=1
	ds_read_b128 v[9:12], v15
	s_waitcnt lgkmcnt(0)
	v_add_f64 v[3:4], v[9:10], v[11:12]
	ds_write_b64 v15, v[3:4]
.LBB97_30:                              ;   in Loop: Header=BB97_10 Depth=1
	s_or_b64 exec, exec, s[22:23]
	s_waitcnt lgkmcnt(0)
	s_barrier
	s_and_saveexec_b64 s[22:23], s[16:17]
	s_cbranch_execz .LBB97_9
; %bb.31:                               ;   in Loop: Header=BB97_10 Depth=1
	ds_read_b64 v[3:4], v15
	s_and_saveexec_b64 s[54:55], s[18:19]
	s_cbranch_execz .LBB97_8
; %bb.32:                               ;   in Loop: Header=BB97_10 Depth=1
	s_add_u32 s56, s34, s52
	s_addc_u32 s57, s35, s53
	global_load_dwordx2 v[9:10], v15, s[56:57]
	s_waitcnt vmcnt(0) lgkmcnt(0)
	v_fma_f64 v[3:4], v[5:6], v[9:10], v[3:4]
	s_branch .LBB97_8
.LBB97_33:
	s_mov_b64 s[18:19], 0
.LBB97_34:
	s_and_b64 vcc, exec, s[18:19]
	s_cbranch_vccz .LBB97_70
; %bb.35:
	s_load_dwordx2 s[8:9], s[4:5], 0x18
	s_sub_u32 s10, s6, s40
	s_subb_u32 s11, s7, s41
	s_lshl_b64 s[0:1], s[6:7], 2
	v_mov_b32_e32 v3, 0
	s_waitcnt lgkmcnt(0)
	s_add_u32 s6, s8, s0
	s_addc_u32 s7, s9, s1
	global_load_dword v13, v3, s[6:7]
	s_cmp_lg_u64 s[40:41], 0
	s_cselect_b64 s[12:13], -1, 0
	s_cmp_eq_u64 s[40:41], 0
	s_cselect_b64 s[2:3], -1, 0
	v_cmp_eq_u32_e64 s[0:1], 0, v0
	v_mov_b32_e32 v1, 0
	v_mov_b32_e32 v2, 0
	s_and_b64 s[14:15], s[0:1], s[2:3]
	s_and_saveexec_b64 s[2:3], s[14:15]
	s_cbranch_execz .LBB97_39
; %bb.36:
	s_add_u32 s16, s34, s48
	s_addc_u32 s17, s35, s49
	global_load_dwordx2 v[1:2], v3, s[16:17]
	v_add_f64 v[3:4], v[5:6], -1.0
	s_mov_b64 s[14:15], exec
	v_mbcnt_lo_u32_b32 v9, s14, 0
	v_mbcnt_hi_u32_b32 v9, s15, v9
	v_cmp_eq_u32_e32 vcc, 0, v9
	s_waitcnt vmcnt(0) expcnt(0) lgkmcnt(0)
	s_and_saveexec_b64 s[16:17], vcc
	s_cbranch_execz .LBB97_38
; %bb.37:
	s_lshl_b64 s[18:19], s[10:11], 2
	s_add_u32 s18, s8, s18
	s_addc_u32 s19, s9, s19
	s_bcnt1_i32_b64 s14, s[14:15]
	s_and_b32 s14, s14, 1
	v_mov_b32_e32 v9, 0
	v_mov_b32_e32 v10, s14
	global_atomic_xor v9, v10, s[18:19]
.LBB97_38:
	s_or_b64 exec, exec, s[16:17]
	v_mul_f64 v[1:2], v[3:4], v[1:2]
.LBB97_39:
	s_or_b64 exec, exec, s[2:3]
	s_mul_i32 s2, s41, 0xc00
	s_mul_hi_u32 s3, s40, 0xc00
	s_add_i32 s14, s3, s2
	s_load_dwordx2 s[2:3], s[44:45], 0x8
	s_sub_u32 s16, s42, s46
	s_mul_i32 s15, s40, 0xc00
	s_subb_u32 s17, s43, 0
	s_add_u32 s16, s16, s15
	s_addc_u32 s17, s17, s14
	s_waitcnt lgkmcnt(0)
	s_sub_u32 s2, s2, s46
	v_mov_b32_e32 v4, s17
	v_add_co_u32_e32 v3, vcc, s16, v0
	s_subb_u32 s3, s3, 0
	v_addc_co_u32_e32 v4, vcc, 0, v4, vcc
	v_cmp_gt_i64_e32 vcc, s[2:3], v[3:4]
	s_and_saveexec_b64 s[14:15], vcc
	s_cbranch_execz .LBB97_43
; %bb.40:
	s_add_u32 s16, s16, 0xc00
	v_mov_b32_e32 v10, s3
	s_addc_u32 s17, s17, 0
	v_mov_b32_e32 v9, s2
	v_cmp_lt_i64_e32 vcc, s[16:17], v[9:10]
	v_lshlrev_b64 v[9:10], 2, v[3:4]
	s_and_b64 s[18:19], vcc, exec
	v_mov_b32_e32 v11, s29
	v_add_co_u32_e32 v9, vcc, s28, v9
	v_addc_co_u32_e32 v10, vcc, v11, v10, vcc
	v_lshlrev_b64 v[11:12], 3, v[3:4]
	v_mov_b32_e32 v14, s27
	v_add_co_u32_e32 v11, vcc, s26, v11
	s_cselect_b32 s17, s17, s3
	s_cselect_b32 s16, s16, s2
	v_addc_co_u32_e32 v12, vcc, v14, v12, vcc
	s_mov_b64 s[18:19], 0
	v_mov_b32_e32 v14, s31
	s_movk_i32 s20, 0x100
.LBB97_41:                              ; =>This Inner Loop Header: Depth=1
	global_load_dwordx2 v[15:16], v[11:12], off
	global_load_dword v17, v[9:10], off
	s_waitcnt vmcnt(1)
	v_subrev_co_u32_e32 v15, vcc, s46, v15
	v_subbrev_co_u32_e32 v16, vcc, 0, v16, vcc
	v_lshlrev_b64 v[15:16], 3, v[15:16]
	s_waitcnt vmcnt(0)
	v_cvt_f64_f32_e32 v[17:18], v17
	v_add_co_u32_e32 v15, vcc, s30, v15
	v_addc_co_u32_e32 v16, vcc, v14, v16, vcc
	global_load_dwordx2 v[15:16], v[15:16], off
	v_mul_f64 v[17:18], v[7:8], v[17:18]
	v_add_co_u32_e32 v3, vcc, s20, v3
	v_addc_co_u32_e32 v4, vcc, 0, v4, vcc
	v_add_co_u32_e32 v9, vcc, 0x400, v9
	v_addc_co_u32_e32 v10, vcc, 0, v10, vcc
	v_cmp_le_i64_e64 s[2:3], s[16:17], v[3:4]
	v_add_co_u32_e32 v11, vcc, 0x800, v11
	s_or_b64 s[18:19], s[2:3], s[18:19]
	v_addc_co_u32_e32 v12, vcc, 0, v12, vcc
	s_waitcnt vmcnt(0)
	v_fma_f64 v[1:2], v[17:18], v[15:16], v[1:2]
	s_andn2_b64 exec, exec, s[18:19]
	s_cbranch_execnz .LBB97_41
; %bb.42:
	s_or_b64 exec, exec, s[18:19]
.LBB97_43:
	s_or_b64 exec, exec, s[14:15]
	s_movk_i32 s2, 0x80
	v_lshlrev_b32_e32 v3, 3, v0
	v_cmp_gt_u32_e32 vcc, s2, v0
	ds_write_b64 v3, v[1:2]
	s_waitcnt vmcnt(0) lgkmcnt(0)
	s_barrier
	s_and_saveexec_b64 s[2:3], vcc
	s_cbranch_execz .LBB97_45
; %bb.44:
	ds_read2st64_b64 v[9:12], v3 offset1:2
	s_waitcnt lgkmcnt(0)
	v_add_f64 v[1:2], v[9:10], v[11:12]
	ds_write_b64 v3, v[1:2]
.LBB97_45:
	s_or_b64 exec, exec, s[2:3]
	v_cmp_gt_u32_e32 vcc, 64, v0
	s_waitcnt lgkmcnt(0)
	s_barrier
	s_and_saveexec_b64 s[2:3], vcc
	s_cbranch_execz .LBB97_47
; %bb.46:
	ds_read2st64_b64 v[9:12], v3 offset1:1
	s_waitcnt lgkmcnt(0)
	v_add_f64 v[1:2], v[9:10], v[11:12]
	ds_write_b64 v3, v[1:2]
.LBB97_47:
	s_or_b64 exec, exec, s[2:3]
	v_cmp_gt_u32_e32 vcc, 32, v0
	s_waitcnt lgkmcnt(0)
	s_barrier
	s_and_saveexec_b64 s[2:3], vcc
	s_cbranch_execz .LBB97_49
; %bb.48:
	ds_read2_b64 v[9:12], v3 offset1:32
	s_waitcnt lgkmcnt(0)
	v_add_f64 v[1:2], v[9:10], v[11:12]
	ds_write_b64 v3, v[1:2]
.LBB97_49:
	s_or_b64 exec, exec, s[2:3]
	v_cmp_gt_u32_e32 vcc, 16, v0
	s_waitcnt lgkmcnt(0)
	s_barrier
	s_and_saveexec_b64 s[2:3], vcc
	s_cbranch_execz .LBB97_51
; %bb.50:
	ds_read2_b64 v[9:12], v3 offset1:16
	s_waitcnt lgkmcnt(0)
	v_add_f64 v[1:2], v[9:10], v[11:12]
	ds_write_b64 v3, v[1:2]
.LBB97_51:
	;; [unrolled: 12-line block ×5, first 2 shown]
	s_or_b64 exec, exec, s[2:3]
	s_waitcnt lgkmcnt(0)
	s_barrier
	s_and_saveexec_b64 s[2:3], s[0:1]
	s_cbranch_execz .LBB97_59
; %bb.58:
	v_mov_b32_e32 v9, 0
	ds_read_b128 v[1:4], v9
	s_waitcnt lgkmcnt(0)
	v_add_f64 v[1:2], v[1:2], v[3:4]
	ds_write_b64 v9, v[1:2]
.LBB97_59:
	s_or_b64 exec, exec, s[2:3]
	s_waitcnt lgkmcnt(0)
	s_barrier
	s_and_saveexec_b64 s[2:3], s[0:1]
	s_cbranch_execz .LBB97_69
; %bb.60:
	s_andn2_b64 vcc, exec, s[12:13]
	s_cbranch_vccnz .LBB97_66
; %bb.61:
	s_lshl_b64 s[0:1], s[10:11], 2
	s_add_u32 s0, s8, s0
	s_addc_u32 s1, s9, s1
	v_mov_b32_e32 v1, 0
	s_branch .LBB97_63
.LBB97_62:                              ;   in Loop: Header=BB97_63 Depth=1
	s_or_b64 exec, exec, s[8:9]
	s_waitcnt vmcnt(0)
	v_readfirstlane_b32 s8, v2
	v_cmp_eq_u32_e32 vcc, s8, v13
	s_cbranch_vccz .LBB97_65
.LBB97_63:                              ; =>This Inner Loop Header: Depth=1
	v_mbcnt_lo_u32_b32 v2, exec_lo, 0
	v_mbcnt_hi_u32_b32 v2, exec_hi, v2
	v_cmp_eq_u32_e32 vcc, 0, v2
                                        ; implicit-def: $vgpr2
	s_and_saveexec_b64 s[8:9], vcc
	s_cbranch_execz .LBB97_62
; %bb.64:                               ;   in Loop: Header=BB97_63 Depth=1
	global_load_dword v2, v1, s[0:1] glc
	s_branch .LBB97_62
.LBB97_65:
	v_mov_b32_e32 v1, 0
	global_load_ushort v2, v1, s[6:7]
	s_waitcnt vmcnt(0)
	v_xor_b32_e32 v2, 1, v2
	global_store_short v1, v2, s[6:7]
.LBB97_66:
	s_mov_b64 s[6:7], exec
	v_mbcnt_lo_u32_b32 v1, s6, 0
	v_mbcnt_hi_u32_b32 v1, s7, v1
	v_cmp_eq_u32_e32 vcc, 0, v1
	s_and_b64 s[0:1], exec, vcc
	s_mov_b64 exec, s[0:1]
	s_cbranch_execz .LBB97_69
; %bb.67:
	s_add_u32 s0, s34, s48
	s_addc_u32 s1, s35, s49
	v_mov_b32_e32 v11, 0
	global_load_dwordx2 v[3:4], v11, s[0:1]
	ds_read_b64 v[1:2], v11
	s_bcnt1_i32_b64 s6, s[6:7]
	v_cvt_f64_u32_e32 v[9:10], s6
	s_mov_b64 s[6:7], 0
	s_waitcnt lgkmcnt(0)
	v_mul_f64 v[9:10], v[1:2], v[9:10]
.LBB97_68:                              ; =>This Inner Loop Header: Depth=1
	s_waitcnt vmcnt(0)
	v_add_f64 v[1:2], v[3:4], v[9:10]
	global_atomic_cmpswap_x2 v[1:2], v11, v[1:4], s[0:1] glc
	s_waitcnt vmcnt(0)
	v_cmp_eq_u64_e32 vcc, v[1:2], v[3:4]
	v_mov_b32_e32 v4, v2
	s_or_b64 s[6:7], vcc, s[6:7]
	v_mov_b32_e32 v3, v1
	s_andn2_b64 exec, exec, s[6:7]
	s_cbranch_execnz .LBB97_68
.LBB97_69:
	s_or_b64 exec, exec, s[2:3]
.LBB97_70:
	s_mov_b64 s[2:3], 0
.LBB97_71:
	s_andn2_b64 vcc, exec, s[2:3]
	s_cbranch_vccnz .LBB97_115
; %bb.72:
	s_load_dwordx2 s[0:1], s[4:5], 0x8
	v_subrev_co_u32_e32 v1, vcc, s46, v0
	v_subb_co_u32_e64 v2, s[2:3], 0, 0, vcc
	s_waitcnt lgkmcnt(0)
	v_mov_b32_e32 v3, s43
	v_add_co_u32_e32 v1, vcc, s42, v1
	v_addc_co_u32_e32 v2, vcc, v3, v2, vcc
	v_add_co_u32_e32 v3, vcc, 0x300, v1
	v_addc_co_u32_e32 v4, vcc, 0, v2, vcc
	v_cmp_le_i64_e32 vcc, s[0:1], v[3:4]
	s_and_saveexec_b64 s[0:1], vcc
	s_xor_b64 s[2:3], exec, s[0:1]
	s_cbranch_execz .LBB97_77
; %bb.73:
	s_lshl_b64 s[0:1], s[38:39], 3
	s_add_u32 s0, s24, s0
	s_addc_u32 s1, s25, s1
	s_load_dwordx2 s[0:1], s[0:1], 0x0
	s_waitcnt lgkmcnt(0)
	s_sub_u32 s4, s0, s46
	s_subb_u32 s5, s1, 0
	v_cmp_gt_i64_e32 vcc, s[4:5], v[1:2]
	s_and_saveexec_b64 s[6:7], vcc
	s_cbranch_execz .LBB97_76
; %bb.74:
	v_lshlrev_b64 v[3:4], 2, v[1:2]
	v_mov_b32_e32 v9, s29
	v_add_co_u32_e32 v3, vcc, s28, v3
	v_addc_co_u32_e32 v4, vcc, v9, v4, vcc
	v_lshlrev_b64 v[9:10], 3, v[1:2]
	v_mov_b32_e32 v12, s27
	v_add_co_u32_e32 v9, vcc, s26, v9
	v_lshlrev_b32_e32 v11, 3, v0
	v_addc_co_u32_e32 v10, vcc, v12, v10, vcc
	s_mov_b64 s[8:9], 0
	v_mov_b32_e32 v12, s31
	s_movk_i32 s10, 0x100
.LBB97_75:                              ; =>This Inner Loop Header: Depth=1
	global_load_dwordx2 v[13:14], v[9:10], off
	global_load_dword v15, v[3:4], off
	s_waitcnt vmcnt(1)
	v_subrev_co_u32_e32 v13, vcc, s46, v13
	v_subbrev_co_u32_e32 v14, vcc, 0, v14, vcc
	v_lshlrev_b64 v[13:14], 3, v[13:14]
	s_waitcnt vmcnt(0)
	v_cvt_f64_f32_e32 v[15:16], v15
	v_add_co_u32_e32 v13, vcc, s30, v13
	v_addc_co_u32_e32 v14, vcc, v12, v14, vcc
	global_load_dwordx2 v[13:14], v[13:14], off
	v_mul_f64 v[15:16], v[7:8], v[15:16]
	v_add_co_u32_e32 v1, vcc, s10, v1
	v_addc_co_u32_e32 v2, vcc, 0, v2, vcc
	v_add_co_u32_e32 v3, vcc, 0x400, v3
	v_addc_co_u32_e32 v4, vcc, 0, v4, vcc
	v_cmp_le_i64_e64 s[0:1], s[4:5], v[1:2]
	v_add_co_u32_e32 v9, vcc, 0x800, v9
	v_addc_co_u32_e32 v10, vcc, 0, v10, vcc
	s_or_b64 s[8:9], s[0:1], s[8:9]
	s_waitcnt vmcnt(0)
	v_mul_f64 v[13:14], v[15:16], v[13:14]
	ds_write_b64 v11, v[13:14]
	v_add_u32_e32 v11, 0x800, v11
	s_andn2_b64 exec, exec, s[8:9]
	s_cbranch_execnz .LBB97_75
.LBB97_76:
	s_or_b64 exec, exec, s[6:7]
                                        ; implicit-def: $vgpr1_vgpr2
                                        ; implicit-def: $vgpr7_vgpr8
.LBB97_77:
	s_or_saveexec_b64 s[0:1], s[2:3]
	v_lshlrev_b32_e32 v15, 3, v0
	s_xor_b64 exec, exec, s[0:1]
	s_cbranch_execz .LBB97_79
; %bb.78:
	v_lshlrev_b64 v[3:4], 3, v[1:2]
	v_mov_b32_e32 v9, s27
	v_add_co_u32_e32 v3, vcc, s26, v3
	v_addc_co_u32_e32 v4, vcc, v9, v4, vcc
	global_load_dwordx2 v[9:10], v[3:4], off
	global_load_dwordx2 v[11:12], v[3:4], off offset:2048
	s_movk_i32 s2, 0x1000
	v_add_co_u32_e32 v3, vcc, s2, v3
	v_addc_co_u32_e32 v4, vcc, 0, v4, vcc
	global_load_dwordx2 v[13:14], v[3:4], off
	global_load_dwordx2 v[16:17], v[3:4], off offset:2048
	v_lshlrev_b64 v[1:2], 2, v[1:2]
	v_mov_b32_e32 v3, s29
	v_add_co_u32_e32 v1, vcc, s28, v1
	v_addc_co_u32_e32 v2, vcc, v3, v2, vcc
	global_load_dword v22, v[1:2], off
	global_load_dword v23, v[1:2], off offset:1024
	global_load_dword v24, v[1:2], off offset:2048
	global_load_dword v25, v[1:2], off offset:3072
	v_mov_b32_e32 v18, s31
	v_mov_b32_e32 v19, s31
	;; [unrolled: 1-line block ×4, first 2 shown]
	s_waitcnt vmcnt(7)
	v_subrev_co_u32_e32 v1, vcc, s46, v9
	v_subbrev_co_u32_e32 v2, vcc, 0, v10, vcc
	s_waitcnt vmcnt(6)
	v_subrev_co_u32_e32 v3, vcc, s46, v11
	v_subbrev_co_u32_e32 v4, vcc, 0, v12, vcc
	;; [unrolled: 3-line block ×3, first 2 shown]
	v_lshlrev_b64 v[1:2], 3, v[1:2]
	s_waitcnt vmcnt(4)
	v_subrev_co_u32_e32 v11, vcc, s46, v16
	v_subbrev_co_u32_e32 v12, vcc, 0, v17, vcc
	v_lshlrev_b64 v[3:4], 3, v[3:4]
	v_add_co_u32_e32 v1, vcc, s30, v1
	v_addc_co_u32_e32 v2, vcc, v18, v2, vcc
	v_lshlrev_b64 v[9:10], 3, v[9:10]
	v_add_co_u32_e32 v3, vcc, s30, v3
	v_addc_co_u32_e32 v4, vcc, v19, v4, vcc
	v_lshlrev_b64 v[11:12], 3, v[11:12]
	global_load_dwordx2 v[13:14], v[1:2], off
	global_load_dwordx2 v[16:17], v[3:4], off
	v_add_co_u32_e32 v1, vcc, s30, v9
	v_addc_co_u32_e32 v2, vcc, v20, v10, vcc
	v_add_co_u32_e32 v3, vcc, s30, v11
	v_addc_co_u32_e32 v4, vcc, v21, v12, vcc
	global_load_dwordx2 v[9:10], v[1:2], off
	global_load_dwordx2 v[11:12], v[3:4], off
	s_waitcnt vmcnt(7)
	v_cvt_f64_f32_e32 v[1:2], v22
	s_waitcnt vmcnt(6)
	v_cvt_f64_f32_e32 v[3:4], v23
	;; [unrolled: 2-line block ×4, first 2 shown]
	v_mul_f64 v[1:2], v[7:8], v[1:2]
	v_mul_f64 v[3:4], v[7:8], v[3:4]
	v_mul_f64 v[18:19], v[7:8], v[18:19]
	v_mul_f64 v[7:8], v[7:8], v[20:21]
	s_waitcnt vmcnt(3)
	v_mul_f64 v[1:2], v[1:2], v[13:14]
	s_waitcnt vmcnt(2)
	v_mul_f64 v[3:4], v[3:4], v[16:17]
	;; [unrolled: 2-line block ×4, first 2 shown]
	ds_write2st64_b64 v15, v[1:2], v[3:4] offset1:4
	ds_write2st64_b64 v15, v[9:10], v[7:8] offset0:8 offset1:12
.LBB97_79:
	s_or_b64 exec, exec, s[0:1]
	v_cmp_lt_i64_e64 s[2:3], s[40:41], 2
	s_mov_b64 s[0:1], -1
	s_and_b64 vcc, exec, s[2:3]
	s_waitcnt vmcnt(0) lgkmcnt(0)
	s_barrier
	s_cbranch_vccz .LBB97_90
; %bb.80:
	v_mov_b32_e32 v1, s37
	v_add_co_u32_e32 v7, vcc, s36, v0
	v_addc_co_u32_e32 v8, vcc, 0, v1, vcc
	v_cmp_gt_i64_e32 vcc, s[38:39], v[7:8]
	s_and_saveexec_b64 s[4:5], vcc
	s_cbranch_execz .LBB97_89
; %bb.81:
	v_cmp_neq_f64_e64 s[0:1], 0, v[5:6]
	s_lshl_b32 s2, s42, 3
	s_mov_b64 s[6:7], 0
	s_sub_i32 s10, 0, s2
	v_mov_b32_e32 v16, s25
	v_mov_b32_e32 v17, s35
	s_branch .LBB97_83
.LBB97_82:                              ;   in Loop: Header=BB97_83 Depth=1
	s_or_b64 exec, exec, s[2:3]
	v_add_co_u32_e32 v7, vcc, 0x100, v7
	v_addc_co_u32_e32 v8, vcc, 0, v8, vcc
	v_cmp_le_i64_e32 vcc, s[38:39], v[7:8]
	v_add_co_u32_e64 v1, s[2:3], s34, v9
	v_addc_co_u32_e64 v2, s[2:3], v17, v10, s[2:3]
	s_or_b64 s[6:7], vcc, s[6:7]
	global_store_dwordx2 v[1:2], v[11:12], off
	s_andn2_b64 exec, exec, s[6:7]
	s_cbranch_execz .LBB97_89
.LBB97_83:                              ; =>This Loop Header: Depth=1
                                        ;     Child Loop BB97_85 Depth 2
	v_lshlrev_b64 v[9:10], 3, v[7:8]
	v_mov_b32_e32 v11, 0
	v_add_co_u32_e32 v1, vcc, s24, v9
	v_addc_co_u32_e32 v2, vcc, v16, v10, vcc
	global_load_dwordx4 v[1:4], v[1:2], off
	v_mov_b32_e32 v12, 0
	s_waitcnt vmcnt(0)
	v_cmp_lt_i64_e32 vcc, v[1:2], v[3:4]
	s_and_saveexec_b64 s[2:3], vcc
	s_cbranch_execz .LBB97_87
; %bb.84:                               ;   in Loop: Header=BB97_83 Depth=1
	v_mov_b32_e32 v11, s43
	v_subrev_co_u32_e32 v3, vcc, s42, v3
	v_subb_co_u32_e32 v4, vcc, v4, v11, vcc
	v_subrev_co_u32_e32 v13, vcc, s42, v1
	v_subb_co_u32_e32 v14, vcc, v2, v11, vcc
	v_mov_b32_e32 v11, 0
	v_lshl_add_u32 v1, v1, 3, s10
	v_mov_b32_e32 v12, 0
	s_mov_b64 s[8:9], 0
.LBB97_85:                              ;   Parent Loop BB97_83 Depth=1
                                        ; =>  This Inner Loop Header: Depth=2
	ds_read_b64 v[18:19], v1
	v_add_co_u32_e32 v13, vcc, 1, v13
	v_addc_co_u32_e32 v14, vcc, 0, v14, vcc
	s_waitcnt lgkmcnt(0)
	v_add_f64 v[11:12], v[11:12], v[18:19]
	v_cmp_ge_i64_e32 vcc, v[13:14], v[3:4]
	v_add_u32_e32 v1, 8, v1
	s_or_b64 s[8:9], vcc, s[8:9]
	s_andn2_b64 exec, exec, s[8:9]
	s_cbranch_execnz .LBB97_85
; %bb.86:                               ;   in Loop: Header=BB97_83 Depth=1
	s_or_b64 exec, exec, s[8:9]
.LBB97_87:                              ;   in Loop: Header=BB97_83 Depth=1
	s_or_b64 exec, exec, s[2:3]
	s_and_saveexec_b64 s[2:3], s[0:1]
	s_cbranch_execz .LBB97_82
; %bb.88:                               ;   in Loop: Header=BB97_83 Depth=1
	v_mov_b32_e32 v2, s35
	v_add_co_u32_e32 v1, vcc, s34, v9
	v_addc_co_u32_e32 v2, vcc, v2, v10, vcc
	global_load_dwordx2 v[1:2], v[1:2], off
	s_waitcnt vmcnt(0)
	v_fma_f64 v[11:12], v[5:6], v[1:2], v[11:12]
	s_branch .LBB97_82
.LBB97_89:
	s_or_b64 exec, exec, s[4:5]
	s_mov_b64 s[0:1], 0
.LBB97_90:
	s_andn2_b64 vcc, exec, s[0:1]
	s_cbranch_vccnz .LBB97_115
; %bb.91:
	s_flbit_i32_b32 s0, s40
	s_min_u32 s0, s0, 32
	s_sub_i32 s0, 31, s0
	v_lshrrev_b32_e32 v9, s0, v0
	v_mov_b32_e32 v2, s37
	v_add_co_u32_e32 v1, vcc, s36, v9
	v_addc_co_u32_e32 v2, vcc, 0, v2, vcc
	s_add_i32 s2, s40, -1
	v_cmp_le_i64_e64 s[0:1], s[38:39], v[1:2]
	v_cmp_gt_i64_e32 vcc, s[38:39], v[1:2]
	v_mov_b32_e32 v7, 0
	v_mov_b32_e32 v4, 0
	;; [unrolled: 1-line block ×3, first 2 shown]
	v_and_b32_e32 v3, s2, v0
	s_and_saveexec_b64 s[2:3], vcc
	s_cbranch_execz .LBB97_97
; %bb.92:
	v_lshlrev_b32_e32 v0, 3, v9
	global_load_dwordx4 v[7:10], v0, s[44:45]
	v_mov_b32_e32 v11, s43
	v_subrev_co_u32_e32 v12, vcc, s42, v3
	v_subb_co_u32_e32 v13, vcc, 0, v11, vcc
	v_mov_b32_e32 v0, s43
	s_waitcnt vmcnt(0)
	v_subrev_co_u32_e32 v9, vcc, s42, v9
	v_subb_co_u32_e32 v10, vcc, v10, v0, vcc
	v_add_co_u32_e32 v11, vcc, v7, v12
	v_addc_co_u32_e32 v12, vcc, v8, v13, vcc
	v_cmp_lt_i64_e32 vcc, v[11:12], v[9:10]
	v_mov_b32_e32 v7, 0
	v_mov_b32_e32 v8, 0
	s_and_saveexec_b64 s[4:5], vcc
	s_cbranch_execz .LBB97_96
; %bb.93:
	v_mov_b32_e32 v7, 0
	v_lshlrev_b32_e32 v0, 3, v11
	s_lshl_b32 s8, s40, 3
	v_mov_b32_e32 v8, 0
	s_mov_b64 s[6:7], 0
	v_mov_b32_e32 v13, s41
.LBB97_94:                              ; =>This Inner Loop Header: Depth=1
	ds_read_b64 v[16:17], v0
	v_add_co_u32_e32 v11, vcc, s40, v11
	v_addc_co_u32_e32 v12, vcc, v12, v13, vcc
	s_waitcnt lgkmcnt(0)
	v_add_f64 v[7:8], v[7:8], v[16:17]
	v_cmp_ge_i64_e32 vcc, v[11:12], v[9:10]
	v_add_u32_e32 v0, s8, v0
	s_or_b64 s[6:7], vcc, s[6:7]
	s_andn2_b64 exec, exec, s[6:7]
	s_cbranch_execnz .LBB97_94
; %bb.95:
	s_or_b64 exec, exec, s[6:7]
.LBB97_96:
	s_or_b64 exec, exec, s[4:5]
.LBB97_97:
	s_or_b64 exec, exec, s[2:3]
	v_mov_b32_e32 v9, 0x81
	v_mov_b32_e32 v10, 0
	v_cmp_lt_u64_e32 vcc, s[40:41], v[9:10]
	s_and_b64 vcc, exec, vcc
	s_waitcnt vmcnt(0)
	s_barrier
	ds_write_b64 v15, v[7:8]
	s_waitcnt lgkmcnt(0)
	s_barrier
	s_cbranch_vccnz .LBB97_99
; %bb.98:
	ds_read_b64 v[9:10], v15 offset:1024
	s_waitcnt lgkmcnt(0)
	s_barrier
	v_add_f64 v[7:8], v[7:8], v[9:10]
	ds_write_b64 v15, v[7:8]
.LBB97_99:
	v_mov_b32_e32 v9, 0x41
	v_mov_b32_e32 v10, 0
	v_cmp_lt_u64_e32 vcc, s[40:41], v[9:10]
	s_waitcnt lgkmcnt(0)
	s_barrier
	s_cbranch_vccnz .LBB97_101
; %bb.100:
	ds_read_b64 v[9:10], v15 offset:512
	s_waitcnt lgkmcnt(0)
	s_barrier
	v_add_f64 v[7:8], v[7:8], v[9:10]
	ds_write_b64 v15, v[7:8]
.LBB97_101:
	v_cmp_lt_u64_e64 s[2:3], s[40:41], 33
	s_waitcnt lgkmcnt(0)
	s_and_b64 vcc, exec, s[2:3]
	s_barrier
	s_cbranch_vccnz .LBB97_103
; %bb.102:
	ds_read_b64 v[9:10], v15 offset:256
	s_waitcnt lgkmcnt(0)
	s_barrier
	v_add_f64 v[7:8], v[7:8], v[9:10]
	ds_write_b64 v15, v[7:8]
.LBB97_103:
	v_cmp_lt_u64_e64 s[2:3], s[40:41], 17
	s_waitcnt lgkmcnt(0)
	s_and_b64 vcc, exec, s[2:3]
	;; [unrolled: 12-line block ×4, first 2 shown]
	s_barrier
	s_cbranch_vccnz .LBB97_109
; %bb.108:
	ds_read_b64 v[9:10], v15 offset:32
	s_waitcnt lgkmcnt(0)
	s_barrier
	v_add_f64 v[7:8], v[7:8], v[9:10]
	ds_write_b64 v15, v[7:8]
.LBB97_109:
	s_cmp_eq_u64 s[40:41], 2
	s_waitcnt lgkmcnt(0)
	s_barrier
	s_cbranch_scc1 .LBB97_111
; %bb.110:
	ds_read_b64 v[9:10], v15 offset:16
	s_waitcnt lgkmcnt(0)
	s_barrier
	v_add_f64 v[7:8], v[7:8], v[9:10]
	ds_write_b64 v15, v[7:8]
.LBB97_111:
	s_waitcnt lgkmcnt(0)
	s_barrier
	ds_read_b64 v[9:10], v15 offset:8
	v_cmp_eq_u64_e32 vcc, 0, v[3:4]
	s_xor_b64 s[0:1], s[0:1], -1
	s_and_b64 s[0:1], vcc, s[0:1]
	s_waitcnt lgkmcnt(0)
	v_add_f64 v[7:8], v[7:8], v[9:10]
	s_barrier
	ds_write_b64 v15, v[7:8]
	s_and_b64 exec, exec, s[0:1]
	s_cbranch_execz .LBB97_115
; %bb.112:
	v_cmp_neq_f64_e32 vcc, 0, v[5:6]
	v_lshlrev_b64 v[0:1], 3, v[1:2]
	s_and_saveexec_b64 s[0:1], vcc
	s_cbranch_execz .LBB97_114
; %bb.113:
	v_mov_b32_e32 v3, s35
	v_add_co_u32_e32 v2, vcc, s34, v0
	v_addc_co_u32_e32 v3, vcc, v3, v1, vcc
	global_load_dwordx2 v[2:3], v[2:3], off
	s_waitcnt vmcnt(0)
	v_fma_f64 v[7:8], v[5:6], v[2:3], v[7:8]
.LBB97_114:
	s_or_b64 exec, exec, s[0:1]
	v_mov_b32_e32 v2, s35
	v_add_co_u32_e32 v0, vcc, s34, v0
	v_addc_co_u32_e32 v1, vcc, v2, v1, vcc
	global_store_dwordx2 v[0:1], v[7:8], off
.LBB97_115:
	s_endpgm
	.section	.rodata,"a",@progbits
	.p2align	6, 0x0
	.amdhsa_kernel _ZN9rocsparseL22csrmvn_adaptive_kernelIllfdddEEvbT_PKS1_PjPKT0_NS_24const_host_device_scalarIT4_EES3_S7_PKT1_PKT2_SA_PT3_21rocsparse_index_base_b
		.amdhsa_group_segment_fixed_size 8192
		.amdhsa_private_segment_fixed_size 0
		.amdhsa_kernarg_size 104
		.amdhsa_user_sgpr_count 6
		.amdhsa_user_sgpr_private_segment_buffer 1
		.amdhsa_user_sgpr_dispatch_ptr 0
		.amdhsa_user_sgpr_queue_ptr 0
		.amdhsa_user_sgpr_kernarg_segment_ptr 1
		.amdhsa_user_sgpr_dispatch_id 0
		.amdhsa_user_sgpr_flat_scratch_init 0
		.amdhsa_user_sgpr_private_segment_size 0
		.amdhsa_uses_dynamic_stack 0
		.amdhsa_system_sgpr_private_segment_wavefront_offset 0
		.amdhsa_system_sgpr_workgroup_id_x 1
		.amdhsa_system_sgpr_workgroup_id_y 0
		.amdhsa_system_sgpr_workgroup_id_z 0
		.amdhsa_system_sgpr_workgroup_info 0
		.amdhsa_system_vgpr_workitem_id 0
		.amdhsa_next_free_vgpr 29
		.amdhsa_next_free_sgpr 61
		.amdhsa_reserve_vcc 1
		.amdhsa_reserve_flat_scratch 0
		.amdhsa_float_round_mode_32 0
		.amdhsa_float_round_mode_16_64 0
		.amdhsa_float_denorm_mode_32 3
		.amdhsa_float_denorm_mode_16_64 3
		.amdhsa_dx10_clamp 1
		.amdhsa_ieee_mode 1
		.amdhsa_fp16_overflow 0
		.amdhsa_exception_fp_ieee_invalid_op 0
		.amdhsa_exception_fp_denorm_src 0
		.amdhsa_exception_fp_ieee_div_zero 0
		.amdhsa_exception_fp_ieee_overflow 0
		.amdhsa_exception_fp_ieee_underflow 0
		.amdhsa_exception_fp_ieee_inexact 0
		.amdhsa_exception_int_div_zero 0
	.end_amdhsa_kernel
	.section	.text._ZN9rocsparseL22csrmvn_adaptive_kernelIllfdddEEvbT_PKS1_PjPKT0_NS_24const_host_device_scalarIT4_EES3_S7_PKT1_PKT2_SA_PT3_21rocsparse_index_base_b,"axG",@progbits,_ZN9rocsparseL22csrmvn_adaptive_kernelIllfdddEEvbT_PKS1_PjPKT0_NS_24const_host_device_scalarIT4_EES3_S7_PKT1_PKT2_SA_PT3_21rocsparse_index_base_b,comdat
.Lfunc_end97:
	.size	_ZN9rocsparseL22csrmvn_adaptive_kernelIllfdddEEvbT_PKS1_PjPKT0_NS_24const_host_device_scalarIT4_EES3_S7_PKT1_PKT2_SA_PT3_21rocsparse_index_base_b, .Lfunc_end97-_ZN9rocsparseL22csrmvn_adaptive_kernelIllfdddEEvbT_PKS1_PjPKT0_NS_24const_host_device_scalarIT4_EES3_S7_PKT1_PKT2_SA_PT3_21rocsparse_index_base_b
                                        ; -- End function
	.set _ZN9rocsparseL22csrmvn_adaptive_kernelIllfdddEEvbT_PKS1_PjPKT0_NS_24const_host_device_scalarIT4_EES3_S7_PKT1_PKT2_SA_PT3_21rocsparse_index_base_b.num_vgpr, 26
	.set _ZN9rocsparseL22csrmvn_adaptive_kernelIllfdddEEvbT_PKS1_PjPKT0_NS_24const_host_device_scalarIT4_EES3_S7_PKT1_PKT2_SA_PT3_21rocsparse_index_base_b.num_agpr, 0
	.set _ZN9rocsparseL22csrmvn_adaptive_kernelIllfdddEEvbT_PKS1_PjPKT0_NS_24const_host_device_scalarIT4_EES3_S7_PKT1_PKT2_SA_PT3_21rocsparse_index_base_b.numbered_sgpr, 60
	.set _ZN9rocsparseL22csrmvn_adaptive_kernelIllfdddEEvbT_PKS1_PjPKT0_NS_24const_host_device_scalarIT4_EES3_S7_PKT1_PKT2_SA_PT3_21rocsparse_index_base_b.num_named_barrier, 0
	.set _ZN9rocsparseL22csrmvn_adaptive_kernelIllfdddEEvbT_PKS1_PjPKT0_NS_24const_host_device_scalarIT4_EES3_S7_PKT1_PKT2_SA_PT3_21rocsparse_index_base_b.private_seg_size, 0
	.set _ZN9rocsparseL22csrmvn_adaptive_kernelIllfdddEEvbT_PKS1_PjPKT0_NS_24const_host_device_scalarIT4_EES3_S7_PKT1_PKT2_SA_PT3_21rocsparse_index_base_b.uses_vcc, 1
	.set _ZN9rocsparseL22csrmvn_adaptive_kernelIllfdddEEvbT_PKS1_PjPKT0_NS_24const_host_device_scalarIT4_EES3_S7_PKT1_PKT2_SA_PT3_21rocsparse_index_base_b.uses_flat_scratch, 0
	.set _ZN9rocsparseL22csrmvn_adaptive_kernelIllfdddEEvbT_PKS1_PjPKT0_NS_24const_host_device_scalarIT4_EES3_S7_PKT1_PKT2_SA_PT3_21rocsparse_index_base_b.has_dyn_sized_stack, 0
	.set _ZN9rocsparseL22csrmvn_adaptive_kernelIllfdddEEvbT_PKS1_PjPKT0_NS_24const_host_device_scalarIT4_EES3_S7_PKT1_PKT2_SA_PT3_21rocsparse_index_base_b.has_recursion, 0
	.set _ZN9rocsparseL22csrmvn_adaptive_kernelIllfdddEEvbT_PKS1_PjPKT0_NS_24const_host_device_scalarIT4_EES3_S7_PKT1_PKT2_SA_PT3_21rocsparse_index_base_b.has_indirect_call, 0
	.section	.AMDGPU.csdata,"",@progbits
; Kernel info:
; codeLenInByte = 4272
; TotalNumSgprs: 64
; NumVgprs: 26
; ScratchSize: 0
; MemoryBound: 0
; FloatMode: 240
; IeeeMode: 1
; LDSByteSize: 8192 bytes/workgroup (compile time only)
; SGPRBlocks: 8
; VGPRBlocks: 7
; NumSGPRsForWavesPerEU: 65
; NumVGPRsForWavesPerEU: 29
; Occupancy: 8
; WaveLimiterHint : 1
; COMPUTE_PGM_RSRC2:SCRATCH_EN: 0
; COMPUTE_PGM_RSRC2:USER_SGPR: 6
; COMPUTE_PGM_RSRC2:TRAP_HANDLER: 0
; COMPUTE_PGM_RSRC2:TGID_X_EN: 1
; COMPUTE_PGM_RSRC2:TGID_Y_EN: 0
; COMPUTE_PGM_RSRC2:TGID_Z_EN: 0
; COMPUTE_PGM_RSRC2:TIDIG_COMP_CNT: 0
	.section	.text._ZN9rocsparseL27csrmvn_symm_adaptive_kernelIllfdddEEvbT_S1_PKS1_NS_24const_host_device_scalarIT4_EES3_PKT0_PKT1_PKT2_S6_PT3_21rocsparse_index_base_b,"axG",@progbits,_ZN9rocsparseL27csrmvn_symm_adaptive_kernelIllfdddEEvbT_S1_PKS1_NS_24const_host_device_scalarIT4_EES3_PKT0_PKT1_PKT2_S6_PT3_21rocsparse_index_base_b,comdat
	.globl	_ZN9rocsparseL27csrmvn_symm_adaptive_kernelIllfdddEEvbT_S1_PKS1_NS_24const_host_device_scalarIT4_EES3_PKT0_PKT1_PKT2_S6_PT3_21rocsparse_index_base_b ; -- Begin function _ZN9rocsparseL27csrmvn_symm_adaptive_kernelIllfdddEEvbT_S1_PKS1_NS_24const_host_device_scalarIT4_EES3_PKT0_PKT1_PKT2_S6_PT3_21rocsparse_index_base_b
	.p2align	8
	.type	_ZN9rocsparseL27csrmvn_symm_adaptive_kernelIllfdddEEvbT_S1_PKS1_NS_24const_host_device_scalarIT4_EES3_PKT0_PKT1_PKT2_S6_PT3_21rocsparse_index_base_b,@function
_ZN9rocsparseL27csrmvn_symm_adaptive_kernelIllfdddEEvbT_S1_PKS1_NS_24const_host_device_scalarIT4_EES3_PKT0_PKT1_PKT2_S6_PT3_21rocsparse_index_base_b: ; @_ZN9rocsparseL27csrmvn_symm_adaptive_kernelIllfdddEEvbT_S1_PKS1_NS_24const_host_device_scalarIT4_EES3_PKT0_PKT1_PKT2_S6_PT3_21rocsparse_index_base_b
; %bb.0:
	s_load_dwordx2 s[30:31], s[4:5], 0x58
	s_load_dwordx2 s[8:9], s[4:5], 0x20
	;; [unrolled: 1-line block ×3, first 2 shown]
	s_waitcnt lgkmcnt(0)
	s_bitcmp1_b32 s31, 0
	s_cselect_b64 s[10:11], -1, 0
	v_mov_b32_e32 v11, s9
	s_xor_b64 s[2:3], s[10:11], -1
	s_and_b64 vcc, exec, s[10:11]
	v_mov_b32_e32 v10, s8
	s_cbranch_vccnz .LBB98_2
; %bb.1:
	v_mov_b32_e32 v1, s8
	v_mov_b32_e32 v2, s9
	flat_load_dwordx2 v[10:11], v[1:2]
.LBB98_2:
	v_mov_b32_e32 v2, s1
	s_andn2_b64 vcc, exec, s[2:3]
	v_mov_b32_e32 v1, s0
	s_cbranch_vccnz .LBB98_4
; %bb.3:
	v_mov_b32_e32 v2, s1
	v_mov_b32_e32 v1, s0
	flat_load_dwordx2 v[1:2], v[1:2]
.LBB98_4:
	s_waitcnt vmcnt(0) lgkmcnt(0)
	v_cmp_neq_f64_e32 vcc, 0, v[10:11]
	v_cmp_neq_f64_e64 s[0:1], 1.0, v[1:2]
	s_or_b64 s[0:1], vcc, s[0:1]
	s_and_saveexec_b64 s[2:3], s[0:1]
	s_cbranch_execz .LBB98_167
; %bb.5:
	s_load_dwordx2 s[0:1], s[4:5], 0x18
	s_mov_b32 s2, 0
	s_mov_b32 s3, s2
	v_mov_b32_e32 v1, s2
	s_ashr_i32 s7, s6, 31
	v_mov_b32_e32 v2, s3
	s_lshl_b64 s[2:3], s[6:7], 3
	s_waitcnt lgkmcnt(0)
	s_add_u32 s0, s0, s2
	v_lshlrev_b32_e32 v18, 3, v0
	s_addc_u32 s1, s1, s3
	ds_write2st64_b64 v18, v[1:2], v[1:2] offset1:4
	ds_write2st64_b64 v18, v[1:2], v[1:2] offset0:8 offset1:12
	s_waitcnt lgkmcnt(0)
	s_barrier
	s_load_dwordx4 s[24:27], s[0:1], 0x0
	s_load_dwordx8 s[16:23], s[4:5], 0x28
	s_load_dwordx2 s[14:15], s[4:5], 0x50
	s_mov_b64 s[0:1], -1
	s_waitcnt lgkmcnt(0)
	s_sub_u32 s28, s26, s24
	s_subb_u32 s29, s27, s25
	v_cmp_gt_i64_e64 s[2:3], s[28:29], 2
	s_and_b64 vcc, exec, s[2:3]
	s_cbranch_vccnz .LBB98_41
; %bb.6:
	v_mov_b32_e32 v1, s24
	v_mov_b32_e32 v2, s25
	v_cmp_le_i64_e32 vcc, s[26:27], v[1:2]
	v_subrev_co_u32_e64 v9, s[0:1], s30, v0
	v_mov_b32_e32 v15, 0
	v_subb_co_u32_e64 v14, s[0:1], 0, 0, s[0:1]
	s_cbranch_vccnz .LBB98_30
; %bb.7:
	s_movk_i32 s31, 0x100
	v_mov_b32_e32 v5, s26
	v_cmp_gt_u32_e64 s[0:1], s31, v0
	v_cmp_gt_u32_e64 s[2:3], 64, v0
	;; [unrolled: 1-line block ×4, first 2 shown]
	v_cmp_eq_u32_e64 s[10:11], 0, v0
	v_mov_b32_e32 v6, s27
	s_mov_b64 s[34:35], s[24:25]
	s_branch .LBB98_9
.LBB98_8:                               ;   in Loop: Header=BB98_9 Depth=1
	s_or_b64 exec, exec, s[12:13]
	s_add_u32 s34, s34, 1
	s_addc_u32 s35, s35, 0
	v_cmp_ge_i64_e32 vcc, s[34:35], v[5:6]
	s_cbranch_vccnz .LBB98_30
.LBB98_9:                               ; =>This Loop Header: Depth=1
                                        ;     Child Loop BB98_11 Depth 2
                                        ;     Child Loop BB98_25 Depth 2
	;; [unrolled: 1-line block ×3, first 2 shown]
	s_lshl_b64 s[36:37], s[34:35], 3
	s_add_u32 s12, s16, s36
	s_addc_u32 s13, s17, s37
	s_load_dwordx4 s[40:43], s[12:13], 0x0
	v_mov_b32_e32 v3, 0
	v_mov_b32_e32 v4, 0
	s_waitcnt lgkmcnt(0)
	s_sub_u32 s38, s42, s30
	v_mov_b32_e32 v2, s41
	v_add_co_u32_e32 v1, vcc, s40, v9
	s_subb_u32 s39, s43, 0
	v_addc_co_u32_e32 v2, vcc, v2, v14, vcc
	v_cmp_gt_i64_e32 vcc, s[38:39], v[1:2]
	s_and_saveexec_b64 s[40:41], vcc
	s_cbranch_execz .LBB98_13
; %bb.10:                               ;   in Loop: Header=BB98_9 Depth=1
	v_lshlrev_b64 v[3:4], 3, v[1:2]
	v_mov_b32_e32 v8, s19
	v_add_co_u32_e32 v7, vcc, s18, v3
	v_addc_co_u32_e32 v8, vcc, v8, v4, vcc
	v_lshlrev_b64 v[3:4], 2, v[1:2]
	v_mov_b32_e32 v13, s21
	v_add_co_u32_e32 v12, vcc, s20, v3
	v_addc_co_u32_e32 v13, vcc, v13, v4, vcc
	v_mov_b32_e32 v3, 0
	v_mov_b32_e32 v4, 0
	s_mov_b64 s[42:43], 0
.LBB98_11:                              ;   Parent Loop BB98_9 Depth=1
                                        ; =>  This Inner Loop Header: Depth=2
	global_load_dwordx2 v[16:17], v[7:8], off
	global_load_dword v19, v[12:13], off
	v_mov_b32_e32 v20, s23
	s_waitcnt vmcnt(1)
	v_subrev_co_u32_e32 v16, vcc, s30, v16
	v_subbrev_co_u32_e32 v17, vcc, 0, v17, vcc
	v_lshlrev_b64 v[16:17], 3, v[16:17]
	v_add_co_u32_e32 v16, vcc, s22, v16
	v_addc_co_u32_e32 v17, vcc, v20, v17, vcc
	global_load_dwordx2 v[16:17], v[16:17], off
	s_waitcnt vmcnt(1)
	v_cvt_f64_f32_e32 v[19:20], v19
	v_add_co_u32_e32 v1, vcc, s31, v1
	v_addc_co_u32_e32 v2, vcc, 0, v2, vcc
	v_add_co_u32_e32 v7, vcc, 0x800, v7
	v_addc_co_u32_e32 v8, vcc, 0, v8, vcc
	v_cmp_le_i64_e64 s[12:13], s[38:39], v[1:2]
	v_add_co_u32_e32 v12, vcc, 0x400, v12
	s_or_b64 s[42:43], s[12:13], s[42:43]
	v_addc_co_u32_e32 v13, vcc, 0, v13, vcc
	s_waitcnt vmcnt(0)
	v_fma_f64 v[3:4], v[19:20], v[16:17], v[3:4]
	s_andn2_b64 exec, exec, s[42:43]
	s_cbranch_execnz .LBB98_11
; %bb.12:                               ;   in Loop: Header=BB98_9 Depth=1
	s_or_b64 exec, exec, s[42:43]
.LBB98_13:                              ;   in Loop: Header=BB98_9 Depth=1
	s_or_b64 exec, exec, s[40:41]
	ds_write_b64 v18, v[3:4]
	s_waitcnt lgkmcnt(0)
	s_barrier
	s_and_saveexec_b64 s[12:13], s[0:1]
	s_cbranch_execz .LBB98_15
; %bb.14:                               ;   in Loop: Header=BB98_9 Depth=1
	ds_read2st64_b64 v[1:4], v18 offset1:4
	ds_read2st64_b64 v[19:22], v18 offset0:8 offset1:12
	s_waitcnt lgkmcnt(0)
	v_add_f64 v[3:4], v[3:4], v[19:20]
	v_add_f64 v[3:4], v[3:4], v[21:22]
	;; [unrolled: 1-line block ×3, first 2 shown]
	ds_write_b64 v18, v[1:2]
.LBB98_15:                              ;   in Loop: Header=BB98_9 Depth=1
	s_or_b64 exec, exec, s[12:13]
	s_waitcnt lgkmcnt(0)
	s_barrier
	s_and_saveexec_b64 s[12:13], s[2:3]
	s_cbranch_execz .LBB98_17
; %bb.16:                               ;   in Loop: Header=BB98_9 Depth=1
	ds_read2st64_b64 v[1:4], v18 offset1:1
	ds_read2st64_b64 v[19:22], v18 offset0:2 offset1:3
	s_waitcnt lgkmcnt(0)
	v_add_f64 v[3:4], v[3:4], v[19:20]
	v_add_f64 v[3:4], v[3:4], v[21:22]
	;; [unrolled: 1-line block ×3, first 2 shown]
	ds_write_b64 v18, v[1:2]
.LBB98_17:                              ;   in Loop: Header=BB98_9 Depth=1
	s_or_b64 exec, exec, s[12:13]
	s_waitcnt lgkmcnt(0)
	s_barrier
	s_and_saveexec_b64 s[12:13], s[6:7]
	s_cbranch_execz .LBB98_19
; %bb.18:                               ;   in Loop: Header=BB98_9 Depth=1
	ds_read2_b64 v[1:4], v18 offset1:16
	ds_read2_b64 v[19:22], v18 offset0:32 offset1:48
	s_waitcnt lgkmcnt(0)
	v_add_f64 v[3:4], v[3:4], v[19:20]
	v_add_f64 v[3:4], v[3:4], v[21:22]
	;; [unrolled: 1-line block ×3, first 2 shown]
	ds_write_b64 v18, v[1:2]
.LBB98_19:                              ;   in Loop: Header=BB98_9 Depth=1
	s_or_b64 exec, exec, s[12:13]
	s_waitcnt lgkmcnt(0)
	s_barrier
	s_and_saveexec_b64 s[12:13], s[8:9]
	s_cbranch_execz .LBB98_21
; %bb.20:                               ;   in Loop: Header=BB98_9 Depth=1
	ds_read2_b64 v[1:4], v18 offset1:4
	ds_read2_b64 v[19:22], v18 offset0:8 offset1:12
	s_waitcnt lgkmcnt(0)
	v_add_f64 v[3:4], v[3:4], v[19:20]
	v_add_f64 v[3:4], v[3:4], v[21:22]
	;; [unrolled: 1-line block ×3, first 2 shown]
	ds_write_b64 v18, v[1:2]
.LBB98_21:                              ;   in Loop: Header=BB98_9 Depth=1
	s_or_b64 exec, exec, s[12:13]
	s_waitcnt lgkmcnt(0)
	s_barrier
	s_and_saveexec_b64 s[12:13], s[10:11]
	s_cbranch_execz .LBB98_23
; %bb.22:                               ;   in Loop: Header=BB98_9 Depth=1
	ds_read2_b64 v[1:4], v15 offset0:1 offset1:2
	ds_read_b64 v[7:8], v18
	s_waitcnt lgkmcnt(1)
	v_add_f64 v[1:2], v[1:2], v[3:4]
	ds_read_b64 v[3:4], v15 offset:24
	s_waitcnt lgkmcnt(0)
	v_add_f64 v[1:2], v[1:2], v[3:4]
	v_add_f64 v[1:2], v[7:8], v[1:2]
	ds_write_b64 v18, v[1:2]
.LBB98_23:                              ;   in Loop: Header=BB98_9 Depth=1
	s_or_b64 exec, exec, s[12:13]
	s_waitcnt lgkmcnt(0)
	s_barrier
	s_and_saveexec_b64 s[12:13], s[10:11]
	s_cbranch_execz .LBB98_8
; %bb.24:                               ;   in Loop: Header=BB98_9 Depth=1
	ds_read_b64 v[1:2], v15
	v_mov_b32_e32 v7, 0
	s_mov_b64 s[38:39], exec
	v_bfrev_b32_e32 v8, 1
	s_waitcnt lgkmcnt(0)
	v_mul_f64 v[1:2], v[10:11], v[1:2]
.LBB98_25:                              ;   Parent Loop BB98_9 Depth=1
                                        ; =>  This Inner Loop Header: Depth=2
	s_ff1_i32_b64 s33, s[38:39]
	v_readlane_b32 s41, v2, s33
	v_readlane_b32 s40, v1, s33
	v_add_f64 v[7:8], v[7:8], s[40:41]
	s_lshl_b64 s[40:41], 1, s33
	s_andn2_b64 s[38:39], s[38:39], s[40:41]
	s_cmp_lg_u64 s[38:39], 0
	s_cbranch_scc1 .LBB98_25
; %bb.26:                               ;   in Loop: Header=BB98_9 Depth=1
	v_mbcnt_lo_u32_b32 v1, exec_lo, 0
	v_mbcnt_hi_u32_b32 v1, exec_hi, v1
	v_cmp_eq_u32_e32 vcc, 0, v1
	s_and_saveexec_b64 s[38:39], vcc
	s_xor_b64 s[38:39], exec, s[38:39]
	s_cbranch_execz .LBB98_8
; %bb.27:                               ;   in Loop: Header=BB98_9 Depth=1
	s_add_u32 s36, s14, s36
	s_addc_u32 s37, s15, s37
	global_load_dwordx2 v[3:4], v15, s[36:37]
	s_mov_b64 s[38:39], 0
.LBB98_28:                              ;   Parent Loop BB98_9 Depth=1
                                        ; =>  This Inner Loop Header: Depth=2
	s_waitcnt vmcnt(0)
	v_add_f64 v[1:2], v[3:4], v[7:8]
	global_atomic_cmpswap_x2 v[1:2], v15, v[1:4], s[36:37] glc
	s_waitcnt vmcnt(0)
	v_cmp_eq_u64_e32 vcc, v[1:2], v[3:4]
	v_mov_b32_e32 v4, v2
	s_or_b64 s[38:39], vcc, s[38:39]
	v_mov_b32_e32 v3, v1
	s_andn2_b64 exec, exec, s[38:39]
	s_cbranch_execnz .LBB98_28
; %bb.29:                               ;   in Loop: Header=BB98_9 Depth=1
	s_or_b64 exec, exec, s[38:39]
	s_branch .LBB98_8
.LBB98_30:
	s_lshl_b64 s[0:1], s[24:25], 3
	s_add_u32 s0, s16, s0
	s_addc_u32 s1, s17, s1
	s_lshl_b64 s[2:3], s[26:27], 3
	s_add_u32 s2, s16, s2
	s_addc_u32 s3, s17, s3
	s_load_dwordx2 s[8:9], s[0:1], 0x0
	s_load_dwordx2 s[6:7], s[2:3], 0x0
	s_waitcnt lgkmcnt(0)
	v_mov_b32_e32 v1, s9
	s_sub_u32 s6, s6, s30
	v_add_co_u32_e32 v5, vcc, s8, v9
	s_subb_u32 s7, s7, 0
	v_addc_co_u32_e32 v6, vcc, v1, v14, vcc
	v_cmp_gt_i64_e32 vcc, s[6:7], v[5:6]
	s_and_saveexec_b64 s[8:9], vcc
	s_cbranch_execz .LBB98_40
; %bb.31:
	s_add_u32 s10, s26, -1
	s_addc_u32 s11, s27, -1
	v_mov_b32_e32 v1, s10
	s_add_u32 s0, s26, -2
	v_mov_b32_e32 v2, s11
	s_addc_u32 s1, s27, -1
	v_cmp_lt_i64_e32 vcc, s[24:25], v[1:2]
	s_cmp_lg_u64 s[24:25], s[0:1]
	s_cselect_b64 s[0:1], -1, 0
	s_and_b64 s[0:1], vcc, s[0:1]
	v_cndmask_b32_e64 v1, 0, 1, s[0:1]
	s_mov_b64 s[12:13], 0
	v_cmp_ne_u32_e64 s[0:1], 1, v1
	v_mov_b32_e32 v9, s17
	v_mov_b32_e32 v14, s19
	s_branch .LBB98_33
.LBB98_32:                              ;   in Loop: Header=BB98_33 Depth=1
	s_or_b64 exec, exec, s[2:3]
	v_add_co_u32_e32 v5, vcc, 0x100, v5
	v_addc_co_u32_e32 v6, vcc, 0, v6, vcc
	v_cmp_le_i64_e32 vcc, s[6:7], v[5:6]
	s_or_b64 s[12:13], vcc, s[12:13]
	s_andn2_b64 exec, exec, s[12:13]
	s_cbranch_execz .LBB98_40
.LBB98_33:                              ; =>This Loop Header: Depth=1
                                        ;     Child Loop BB98_35 Depth 2
                                        ;     Child Loop BB98_39 Depth 2
	v_mov_b32_e32 v1, s24
	v_mov_b32_e32 v3, s10
	s_and_b64 vcc, exec, s[0:1]
	v_mov_b32_e32 v2, s25
	v_mov_b32_e32 v4, s11
	s_cbranch_vccnz .LBB98_37
; %bb.34:                               ;   in Loop: Header=BB98_33 Depth=1
	v_mov_b32_e32 v1, s24
	v_mov_b32_e32 v3, s10
	s_mov_b64 s[34:35], 0
	v_mov_b32_e32 v2, s25
	v_mov_b32_e32 v4, s11
.LBB98_35:                              ;   Parent Loop BB98_33 Depth=1
                                        ; =>  This Inner Loop Header: Depth=2
	v_add_co_u32_e32 v7, vcc, v3, v1
	v_addc_co_u32_e32 v8, vcc, v4, v2, vcc
	v_lshrrev_b32_e32 v12, 31, v8
	v_add_co_u32_e32 v7, vcc, v7, v12
	v_addc_co_u32_e32 v8, vcc, 0, v8, vcc
	v_ashrrev_i64 v[7:8], 1, v[7:8]
	v_mov_b32_e32 v15, s17
	v_lshlrev_b64 v[12:13], 3, v[7:8]
	v_add_co_u32_e32 v12, vcc, s16, v12
	v_addc_co_u32_e32 v13, vcc, v15, v13, vcc
	global_load_dwordx2 v[12:13], v[12:13], off
	s_waitcnt vmcnt(0)
	v_subrev_co_u32_e32 v12, vcc, s30, v12
	v_subbrev_co_u32_e32 v13, vcc, 0, v13, vcc
	v_cmp_lt_i64_e32 vcc, v[5:6], v[12:13]
	v_cndmask_b32_e32 v3, v3, v7, vcc
	v_cndmask_b32_e32 v4, v4, v8, vcc
	;; [unrolled: 1-line block ×3, first 2 shown]
	v_add_co_u32_e64 v7, s[2:3], -1, v3
	v_cndmask_b32_e32 v2, v8, v2, vcc
	v_addc_co_u32_e64 v8, s[2:3], -1, v4, s[2:3]
	v_cmp_ge_i64_e32 vcc, v[1:2], v[3:4]
	v_cmp_eq_u64_e64 s[2:3], v[1:2], v[7:8]
	s_or_b64 s[2:3], vcc, s[2:3]
	s_and_b64 s[2:3], exec, s[2:3]
	s_or_b64 s[34:35], s[2:3], s[34:35]
	s_andn2_b64 exec, exec, s[34:35]
	s_cbranch_execnz .LBB98_35
; %bb.36:                               ;   in Loop: Header=BB98_33 Depth=1
	s_or_b64 exec, exec, s[34:35]
.LBB98_37:                              ;   in Loop: Header=BB98_33 Depth=1
	v_lshlrev_b64 v[7:8], 3, v[3:4]
	v_lshlrev_b64 v[12:13], 3, v[5:6]
	v_add_co_u32_e32 v7, vcc, s16, v7
	v_addc_co_u32_e32 v8, vcc, v9, v8, vcc
	global_load_dwordx2 v[7:8], v[7:8], off
	v_add_co_u32_e32 v12, vcc, s18, v12
	v_addc_co_u32_e32 v13, vcc, v14, v13, vcc
	global_load_dwordx2 v[12:13], v[12:13], off
	s_waitcnt vmcnt(1)
	v_subrev_co_u32_e32 v7, vcc, s30, v7
	v_subbrev_co_u32_e32 v8, vcc, 0, v8, vcc
	v_cmp_lt_i64_e32 vcc, v[5:6], v[7:8]
	v_cndmask_b32_e32 v4, v4, v2, vcc
	v_cndmask_b32_e32 v3, v3, v1, vcc
	s_waitcnt vmcnt(0)
	v_subrev_co_u32_e32 v1, vcc, s30, v12
	v_subbrev_co_u32_e32 v2, vcc, 0, v13, vcc
	v_cmp_ne_u64_e32 vcc, v[1:2], v[3:4]
	s_and_saveexec_b64 s[2:3], vcc
	s_cbranch_execz .LBB98_32
; %bb.38:                               ;   in Loop: Header=BB98_33 Depth=1
	v_lshlrev_b64 v[7:8], 2, v[5:6]
	v_mov_b32_e32 v12, s21
	v_add_co_u32_e32 v7, vcc, s20, v7
	v_addc_co_u32_e32 v8, vcc, v12, v8, vcc
	global_load_dword v15, v[7:8], off
	v_lshlrev_b64 v[3:4], 3, v[3:4]
	v_mov_b32_e32 v7, s23
	v_add_co_u32_e32 v3, vcc, s22, v3
	v_addc_co_u32_e32 v4, vcc, v7, v4, vcc
	global_load_dwordx2 v[12:13], v[3:4], off
	v_lshlrev_b64 v[1:2], 3, v[1:2]
	v_mov_b32_e32 v3, s15
	v_add_co_u32_e32 v7, vcc, s14, v1
	v_addc_co_u32_e32 v8, vcc, v3, v2, vcc
	global_load_dwordx2 v[3:4], v[7:8], off
	s_mov_b64 s[34:35], 0
	s_waitcnt vmcnt(2)
	v_cvt_f64_f32_e32 v[1:2], v15
	v_mul_f64 v[1:2], v[10:11], v[1:2]
	s_waitcnt vmcnt(1)
	v_mul_f64 v[12:13], v[12:13], v[1:2]
.LBB98_39:                              ;   Parent Loop BB98_33 Depth=1
                                        ; =>  This Inner Loop Header: Depth=2
	s_waitcnt vmcnt(0)
	v_add_f64 v[1:2], v[3:4], v[12:13]
	global_atomic_cmpswap_x2 v[1:2], v[7:8], v[1:4], off glc
	s_waitcnt vmcnt(0)
	v_cmp_eq_u64_e32 vcc, v[1:2], v[3:4]
	v_mov_b32_e32 v4, v2
	s_or_b64 s[34:35], vcc, s[34:35]
	v_mov_b32_e32 v3, v1
	s_andn2_b64 exec, exec, s[34:35]
	s_cbranch_execnz .LBB98_39
	s_branch .LBB98_32
.LBB98_40:
	s_or_b64 exec, exec, s[8:9]
	s_mov_b64 s[0:1], 0
.LBB98_41:
	s_and_b64 vcc, exec, s[0:1]
	s_cbranch_vccz .LBB98_167
; %bb.42:
	s_load_dword s0, s[4:5], 0x6c
	v_mov_b32_e32 v1, s28
	s_mov_b32 s13, 0
	v_mov_b32_e32 v2, s29
	s_mov_b64 s[36:37], 0
	s_waitcnt lgkmcnt(0)
	s_and_b32 s12, s0, 0xffff
	v_cmp_lt_u64_e32 vcc, s[12:13], v[1:2]
	s_cbranch_vccnz .LBB98_44
; %bb.43:
	v_cvt_f32_u32_e32 v1, s28
	s_sub_i32 s0, 0, s28
	v_rcp_iflag_f32_e32 v1, v1
	v_mul_f32_e32 v1, 0x4f7ffffe, v1
	v_cvt_u32_f32_e32 v1, v1
	v_readfirstlane_b32 s1, v1
	s_mul_i32 s0, s0, s1
	s_mul_hi_u32 s0, s1, s0
	s_add_i32 s1, s1, s0
	s_mul_hi_u32 s0, s12, s1
	s_mul_i32 s2, s0, s28
	s_sub_i32 s2, s12, s2
	s_add_i32 s1, s0, 1
	s_sub_i32 s3, s2, s28
	s_cmp_ge_u32 s2, s28
	s_cselect_b32 s0, s1, s0
	s_cselect_b32 s2, s3, s2
	s_add_i32 s1, s0, 1
	s_cmp_ge_u32 s2, s28
	s_cselect_b32 s36, s1, s0
.LBB98_44:
	s_lshl_b64 s[0:1], s[24:25], 3
	s_add_u32 s34, s16, s0
	s_addc_u32 s35, s17, s1
	s_load_dwordx2 s[6:7], s[34:35], 0x0
	s_load_dwordx4 s[8:11], s[4:5], 0x8
	v_subrev_co_u32_e32 v1, vcc, s30, v0
	v_subb_co_u32_e64 v2, s[0:1], 0, 0, vcc
	s_waitcnt lgkmcnt(0)
	v_mov_b32_e32 v3, s7
	v_add_co_u32_e32 v6, vcc, s6, v1
	v_addc_co_u32_e32 v7, vcc, v3, v2, vcc
	v_add_co_u32_e32 v8, vcc, 0x300, v6
	v_addc_co_u32_e32 v9, vcc, 0, v7, vcc
	v_cmp_le_i64_e64 s[0:1], s[8:9], v[8:9]
	v_mov_b32_e32 v1, 0
	s_and_saveexec_b64 s[2:3], s[0:1]
	s_xor_b64 s[2:3], exec, s[2:3]
	s_cbranch_execnz .LBB98_47
; %bb.45:
	s_andn2_saveexec_b64 s[2:3], s[2:3]
	s_cbranch_execnz .LBB98_51
.LBB98_46:
	s_or_b64 exec, exec, s[2:3]
	v_cmp_gt_i64_e32 vcc, s[10:11], v[0:1]
	s_and_saveexec_b64 s[2:3], vcc
	s_cbranch_execnz .LBB98_52
	s_branch .LBB98_54
.LBB98_47:
	s_lshl_b64 s[4:5], s[26:27], 3
	s_add_u32 s4, s16, s4
	s_addc_u32 s5, s17, s5
	s_load_dwordx2 s[4:5], s[4:5], 0x0
	s_waitcnt lgkmcnt(0)
	s_sub_u32 s4, s4, s6
	s_subb_u32 s5, s5, s7
	v_cmp_gt_i64_e32 vcc, s[4:5], v[0:1]
	s_and_saveexec_b64 s[8:9], vcc
	s_cbranch_execz .LBB98_50
; %bb.48:
	v_lshlrev_b64 v[2:3], 2, v[6:7]
	v_mov_b32_e32 v4, s21
	v_add_co_u32_e32 v2, vcc, s20, v2
	v_addc_co_u32_e32 v3, vcc, v4, v3, vcc
	v_mov_b32_e32 v5, v1
	s_mov_b64 s[38:39], 0
	v_mov_b32_e32 v12, v18
	v_mov_b32_e32 v4, v0
.LBB98_49:                              ; =>This Inner Loop Header: Depth=1
	global_load_dword v13, v[2:3], off
	v_add_co_u32_e32 v2, vcc, 0x400, v2
	v_addc_co_u32_e32 v3, vcc, 0, v3, vcc
	v_add_co_u32_e32 v4, vcc, 0x100, v4
	v_addc_co_u32_e32 v5, vcc, 0, v5, vcc
	v_cmp_le_i64_e32 vcc, s[4:5], v[4:5]
	s_or_b64 s[38:39], vcc, s[38:39]
	s_waitcnt vmcnt(0)
	v_cvt_f64_f32_e32 v[13:14], v13
	v_mul_f64 v[13:14], v[10:11], v[13:14]
	ds_write_b64 v12, v[13:14]
	v_add_u32_e32 v12, 0x800, v12
	s_andn2_b64 exec, exec, s[38:39]
	s_cbranch_execnz .LBB98_49
.LBB98_50:
	s_or_b64 exec, exec, s[8:9]
                                        ; implicit-def: $vgpr10_vgpr11
	s_andn2_saveexec_b64 s[2:3], s[2:3]
	s_cbranch_execz .LBB98_46
.LBB98_51:
	v_lshlrev_b64 v[2:3], 2, v[6:7]
	v_mov_b32_e32 v4, s21
	v_add_co_u32_e32 v2, vcc, s20, v2
	v_addc_co_u32_e32 v3, vcc, v4, v3, vcc
	global_load_dword v4, v[2:3], off
	global_load_dword v5, v[2:3], off offset:1024
	global_load_dword v12, v[2:3], off offset:2048
	;; [unrolled: 1-line block ×3, first 2 shown]
	s_waitcnt vmcnt(3)
	v_cvt_f64_f32_e32 v[2:3], v4
	s_waitcnt vmcnt(2)
	v_cvt_f64_f32_e32 v[4:5], v5
	;; [unrolled: 2-line block ×4, first 2 shown]
	v_mul_f64 v[2:3], v[10:11], v[2:3]
	v_mul_f64 v[4:5], v[10:11], v[4:5]
	;; [unrolled: 1-line block ×4, first 2 shown]
	ds_write2st64_b64 v18, v[2:3], v[4:5] offset1:4
	ds_write2st64_b64 v18, v[12:13], v[10:11] offset0:8 offset1:12
	s_or_b64 exec, exec, s[2:3]
	v_cmp_gt_i64_e32 vcc, s[10:11], v[0:1]
	s_and_saveexec_b64 s[2:3], vcc
	s_cbranch_execz .LBB98_54
.LBB98_52:
	v_mov_b32_e32 v2, 0x2000
	v_lshl_add_u32 v10, v0, 3, v2
	v_mov_b32_e32 v2, 0
	v_mov_b32_e32 v5, v1
	s_mov_b64 s[4:5], 0
	v_mov_b32_e32 v3, v2
	v_mov_b32_e32 v4, v0
.LBB98_53:                              ; =>This Inner Loop Header: Depth=1
	v_add_co_u32_e32 v4, vcc, 0x100, v4
	v_addc_co_u32_e32 v5, vcc, 0, v5, vcc
	v_cmp_le_i64_e32 vcc, s[10:11], v[4:5]
	ds_write_b64 v10, v[2:3]
	s_or_b64 s[4:5], vcc, s[4:5]
	v_add_u32_e32 v10, 0x800, v10
	s_andn2_b64 exec, exec, s[4:5]
	s_cbranch_execnz .LBB98_53
.LBB98_54:
	s_or_b64 exec, exec, s[2:3]
	v_mov_b32_e32 v2, s10
	v_mov_b32_e32 v3, s11
	s_sub_u32 s4, s26, s10
	v_cmp_ge_i64_e32 vcc, s[26:27], v[2:3]
	s_subb_u32 s5, s27, s11
	s_and_b64 s[2:3], vcc, exec
	s_cselect_b32 s9, s5, 0
	s_cselect_b32 s8, s4, 0
	s_waitcnt lgkmcnt(0)
	s_barrier
	s_and_saveexec_b64 s[2:3], s[0:1]
	s_xor_b64 s[20:21], exec, s[2:3]
	s_cbranch_execz .LBB98_75
; %bb.55:
	s_lshl_b64 s[0:1], s[26:27], 3
	s_add_u32 s0, s16, s0
	s_addc_u32 s1, s17, s1
	s_load_dwordx2 s[0:1], s[0:1], 0x0
	s_waitcnt lgkmcnt(0)
	s_sub_u32 s38, s0, s6
	s_subb_u32 s39, s1, s7
	v_cmp_gt_i64_e32 vcc, s[38:39], v[0:1]
	s_and_saveexec_b64 s[40:41], vcc
	s_cbranch_execz .LBB98_74
; %bb.56:
	s_add_u32 s42, s26, -1
	s_addc_u32 s43, s27, -1
	s_add_u32 s2, s26, -2
	s_addc_u32 s3, s27, -1
	s_cmp_lg_u64 s[24:25], s[2:3]
	s_cselect_b64 s[2:3], -1, 0
	s_sub_u32 s44, s0, s30
	v_cndmask_b32_e64 v2, 0, 1, s[2:3]
	s_subb_u32 s45, s1, 0
	s_mov_b64 s[46:47], 0
	v_cmp_ne_u32_e64 s[0:1], 1, v2
	v_mov_b32_e32 v16, s17
	v_mov_b32_e32 v17, s19
	;; [unrolled: 1-line block ×4, first 2 shown]
	s_mov_b64 s[48:49], 0
	s_branch .LBB98_59
.LBB98_57:                              ;   in Loop: Header=BB98_59 Depth=1
	s_or_b64 exec, exec, s[2:3]
.LBB98_58:                              ;   in Loop: Header=BB98_59 Depth=1
	s_or_b64 exec, exec, s[4:5]
	v_lshlrev_b64 v[2:3], 3, v[8:9]
	s_add_u32 s48, s48, 0x100
	v_add_co_u32_e32 v2, vcc, s22, v2
	v_addc_co_u32_e32 v3, vcc, v19, v3, vcc
	global_load_dwordx2 v[2:3], v[2:3], off
	s_addc_u32 s49, s49, 0
	v_mov_b32_e32 v5, s49
	v_add_co_u32_e32 v4, vcc, s48, v0
	v_addc_co_u32_e32 v5, vcc, 0, v5, vcc
	v_cmp_le_i64_e32 vcc, s[38:39], v[4:5]
	v_lshlrev_b32_e32 v4, 3, v21
	s_or_b64 s[46:47], vcc, s[46:47]
	s_waitcnt vmcnt(0) lgkmcnt(0)
	v_mul_f64 v[2:3], v[2:3], v[10:11]
	ds_write_b64 v4, v[2:3]
	s_andn2_b64 exec, exec, s[46:47]
	s_cbranch_execz .LBB98_74
.LBB98_59:                              ; =>This Loop Header: Depth=1
                                        ;     Child Loop BB98_61 Depth 2
                                        ;     Child Loop BB98_68 Depth 2
	;; [unrolled: 1-line block ×3, first 2 shown]
	v_mov_b32_e32 v3, s49
	v_add_co_u32_e32 v2, vcc, s48, v6
	v_addc_co_u32_e32 v3, vcc, v3, v7, vcc
	v_mov_b32_e32 v4, s24
	v_mov_b32_e32 v10, s42
	s_and_b64 vcc, exec, s[0:1]
	v_mov_b32_e32 v5, s25
	v_mov_b32_e32 v11, s43
	s_cbranch_vccnz .LBB98_63
; %bb.60:                               ;   in Loop: Header=BB98_59 Depth=1
	v_mov_b32_e32 v4, s24
	v_mov_b32_e32 v10, s42
	s_mov_b64 s[4:5], 0
	v_mov_b32_e32 v5, s25
	v_mov_b32_e32 v11, s43
.LBB98_61:                              ;   Parent Loop BB98_59 Depth=1
                                        ; =>  This Inner Loop Header: Depth=2
	v_add_co_u32_e32 v8, vcc, v10, v4
	v_addc_co_u32_e32 v9, vcc, v11, v5, vcc
	v_lshrrev_b32_e32 v12, 31, v9
	v_add_co_u32_e32 v8, vcc, v8, v12
	v_addc_co_u32_e32 v9, vcc, 0, v9, vcc
	v_ashrrev_i64 v[8:9], 1, v[8:9]
	v_mov_b32_e32 v14, s17
	v_lshlrev_b64 v[12:13], 3, v[8:9]
	v_add_co_u32_e32 v12, vcc, s16, v12
	v_addc_co_u32_e32 v13, vcc, v14, v13, vcc
	global_load_dwordx2 v[12:13], v[12:13], off
	s_waitcnt vmcnt(0)
	v_subrev_co_u32_e32 v12, vcc, s30, v12
	v_subbrev_co_u32_e32 v13, vcc, 0, v13, vcc
	v_cmp_lt_i64_e32 vcc, v[2:3], v[12:13]
	v_cndmask_b32_e32 v10, v10, v8, vcc
	v_cndmask_b32_e32 v11, v11, v9, vcc
	;; [unrolled: 1-line block ×3, first 2 shown]
	v_add_co_u32_e64 v8, s[2:3], -1, v10
	v_cndmask_b32_e32 v5, v9, v5, vcc
	v_addc_co_u32_e64 v9, s[2:3], -1, v11, s[2:3]
	v_cmp_ge_i64_e32 vcc, v[4:5], v[10:11]
	v_cmp_eq_u64_e64 s[2:3], v[4:5], v[8:9]
	s_or_b64 s[2:3], vcc, s[2:3]
	s_and_b64 s[2:3], exec, s[2:3]
	s_or_b64 s[4:5], s[2:3], s[4:5]
	s_andn2_b64 exec, exec, s[4:5]
	s_cbranch_execnz .LBB98_61
; %bb.62:                               ;   in Loop: Header=BB98_59 Depth=1
	s_or_b64 exec, exec, s[4:5]
.LBB98_63:                              ;   in Loop: Header=BB98_59 Depth=1
	v_lshlrev_b64 v[8:9], 3, v[10:11]
	v_lshlrev_b64 v[12:13], 3, v[2:3]
	v_add_co_u32_e32 v8, vcc, s16, v8
	v_addc_co_u32_e32 v9, vcc, v16, v9, vcc
	global_load_dwordx2 v[8:9], v[8:9], off
	v_add_co_u32_e32 v12, vcc, s18, v12
	v_addc_co_u32_e32 v13, vcc, v17, v13, vcc
	global_load_dwordx2 v[12:13], v[12:13], off
	v_cmp_le_i64_e32 vcc, s[44:45], v[2:3]
	v_add_co_u32_e64 v21, s[4:5], s48, v0
	s_waitcnt vmcnt(1)
	v_subrev_co_u32_e64 v14, s[2:3], s30, v8
	v_subbrev_co_u32_e64 v15, s[2:3], 0, v9, s[2:3]
	s_waitcnt vmcnt(0)
	v_subrev_co_u32_e64 v8, s[2:3], s30, v12
	v_subbrev_co_u32_e64 v9, s[2:3], 0, v13, s[2:3]
	v_cmp_lt_i64_e64 s[2:3], v[2:3], v[14:15]
	v_lshlrev_b32_e32 v14, 3, v21
	v_cndmask_b32_e64 v3, v11, v5, s[2:3]
	v_cndmask_b32_e64 v2, v10, v4, s[2:3]
	v_cmp_eq_u64_e64 s[2:3], v[8:9], v[2:3]
                                        ; implicit-def: $vgpr10_vgpr11
	s_or_b64 s[2:3], s[2:3], vcc
	s_and_saveexec_b64 s[4:5], s[2:3]
	s_xor_b64 s[2:3], exec, s[4:5]
; %bb.64:                               ;   in Loop: Header=BB98_59 Depth=1
	ds_read_b64 v[10:11], v14
                                        ; implicit-def: $vgpr2_vgpr3
                                        ; implicit-def: $vgpr14
; %bb.65:                               ;   in Loop: Header=BB98_59 Depth=1
	s_andn2_saveexec_b64 s[4:5], s[2:3]
	s_cbranch_execz .LBB98_58
; %bb.66:                               ;   in Loop: Header=BB98_59 Depth=1
	v_cmp_gt_i64_e32 vcc, s[8:9], v[8:9]
	v_cmp_le_i64_e64 s[2:3], s[26:27], v[8:9]
	v_lshlrev_b64 v[2:3], 3, v[2:3]
	s_or_b64 s[2:3], vcc, s[2:3]
                                        ; implicit-def: $vgpr10_vgpr11
	s_and_saveexec_b64 s[50:51], s[2:3]
	s_xor_b64 s[2:3], exec, s[50:51]
	s_cbranch_execz .LBB98_70
; %bb.67:                               ;   in Loop: Header=BB98_59 Depth=1
	v_mov_b32_e32 v4, s23
	v_add_co_u32_e32 v2, vcc, s22, v2
	v_addc_co_u32_e32 v3, vcc, v4, v3, vcc
	global_load_dwordx2 v[2:3], v[2:3], off
	v_lshlrev_b64 v[4:5], 3, v[8:9]
	s_waitcnt lgkmcnt(0)
	v_mov_b32_e32 v10, s15
	v_add_co_u32_e32 v12, vcc, s14, v4
	v_addc_co_u32_e32 v13, vcc, v10, v5, vcc
	global_load_dwordx2 v[4:5], v[12:13], off
	ds_read_b64 v[10:11], v14
	s_mov_b64 s[50:51], 0
	s_waitcnt vmcnt(1) lgkmcnt(0)
	v_mul_f64 v[14:15], v[10:11], v[2:3]
.LBB98_68:                              ;   Parent Loop BB98_59 Depth=1
                                        ; =>  This Inner Loop Header: Depth=2
	s_waitcnt vmcnt(0)
	v_add_f64 v[2:3], v[4:5], v[14:15]
	global_atomic_cmpswap_x2 v[2:3], v[12:13], v[2:5], off glc
	s_waitcnt vmcnt(0)
	v_cmp_eq_u64_e32 vcc, v[2:3], v[4:5]
	v_mov_b32_e32 v5, v3
	s_or_b64 s[50:51], vcc, s[50:51]
	v_mov_b32_e32 v4, v2
	s_andn2_b64 exec, exec, s[50:51]
	s_cbranch_execnz .LBB98_68
; %bb.69:                               ;   in Loop: Header=BB98_59 Depth=1
	s_or_b64 exec, exec, s[50:51]
                                        ; implicit-def: $vgpr14
                                        ; implicit-def: $vgpr2_vgpr3
.LBB98_70:                              ;   in Loop: Header=BB98_59 Depth=1
	s_andn2_saveexec_b64 s[2:3], s[2:3]
	s_cbranch_execz .LBB98_57
; %bb.71:                               ;   in Loop: Header=BB98_59 Depth=1
	v_add_co_u32_e32 v2, vcc, s22, v2
	v_addc_co_u32_e32 v3, vcc, v19, v3, vcc
	global_load_dwordx2 v[2:3], v[2:3], off
	s_waitcnt lgkmcnt(0)
	ds_read_b64 v[10:11], v14
	v_subrev_u32_e32 v4, s8, v8
	v_lshl_add_u32 v12, v4, 3, v20
	ds_read_b64 v[4:5], v12
	s_mov_b64 s[50:51], 0
	s_waitcnt vmcnt(0) lgkmcnt(1)
	v_mul_f64 v[2:3], v[10:11], v[2:3]
.LBB98_72:                              ;   Parent Loop BB98_59 Depth=1
                                        ; =>  This Inner Loop Header: Depth=2
	s_waitcnt lgkmcnt(0)
	v_add_f64 v[13:14], v[4:5], v[2:3]
	ds_cmpst_rtn_b64 v[13:14], v12, v[4:5], v[13:14]
	s_waitcnt lgkmcnt(0)
	v_cmp_eq_u64_e32 vcc, v[13:14], v[4:5]
	v_mov_b32_e32 v4, v13
	s_or_b64 s[50:51], vcc, s[50:51]
	v_mov_b32_e32 v5, v14
	s_andn2_b64 exec, exec, s[50:51]
	s_cbranch_execnz .LBB98_72
; %bb.73:                               ;   in Loop: Header=BB98_59 Depth=1
	s_or_b64 exec, exec, s[50:51]
	s_branch .LBB98_57
.LBB98_74:
	s_or_b64 exec, exec, s[40:41]
                                        ; implicit-def: $vgpr8_vgpr9
                                        ; implicit-def: $vgpr6
.LBB98_75:
	s_andn2_saveexec_b64 s[4:5], s[20:21]
	s_cbranch_execz .LBB98_133
; %bb.76:
	s_add_u32 s20, s26, -1
	s_addc_u32 s21, s27, -1
	s_add_u32 s0, s26, -2
	s_addc_u32 s1, s27, -1
	s_cmp_lg_u64 s[24:25], s[0:1]
	v_mov_b32_e32 v2, s24
	v_mov_b32_e32 v4, s20
	s_cselect_b64 s[2:3], -1, 0
	s_cmp_eq_u64 s[24:25], s[0:1]
	v_mov_b32_e32 v3, s25
	v_mov_b32_e32 v5, s21
	s_cbranch_scc1 .LBB98_80
; %bb.77:
	v_mov_b32_e32 v2, s24
	v_mov_b32_e32 v4, s20
	s_mov_b64 s[38:39], 0
	v_mov_b32_e32 v3, s25
	v_mov_b32_e32 v5, s21
	;; [unrolled: 1-line block ×3, first 2 shown]
.LBB98_78:                              ; =>This Inner Loop Header: Depth=1
	v_add_co_u32_e32 v11, vcc, v4, v2
	v_addc_co_u32_e32 v12, vcc, v5, v3, vcc
	v_lshrrev_b32_e32 v13, 31, v12
	v_add_co_u32_e32 v11, vcc, v11, v13
	v_addc_co_u32_e32 v12, vcc, 0, v12, vcc
	v_ashrrev_i64 v[11:12], 1, v[11:12]
	v_lshlrev_b64 v[13:14], 3, v[11:12]
	v_add_co_u32_e32 v13, vcc, s16, v13
	v_addc_co_u32_e32 v14, vcc, v10, v14, vcc
	global_load_dwordx2 v[13:14], v[13:14], off
	s_waitcnt vmcnt(0)
	v_subrev_co_u32_e32 v13, vcc, s30, v13
	v_subbrev_co_u32_e32 v14, vcc, 0, v14, vcc
	v_cmp_lt_i64_e32 vcc, v[6:7], v[13:14]
	v_cndmask_b32_e32 v4, v4, v11, vcc
	v_cndmask_b32_e32 v5, v5, v12, vcc
	;; [unrolled: 1-line block ×3, first 2 shown]
	v_add_co_u32_e64 v11, s[0:1], -1, v4
	v_cndmask_b32_e32 v3, v12, v3, vcc
	v_addc_co_u32_e64 v12, s[0:1], -1, v5, s[0:1]
	v_cmp_ge_i64_e32 vcc, v[2:3], v[4:5]
	v_cmp_eq_u64_e64 s[0:1], v[2:3], v[11:12]
	s_or_b64 s[0:1], vcc, s[0:1]
	s_and_b64 s[0:1], exec, s[0:1]
	s_or_b64 s[38:39], s[0:1], s[38:39]
	s_andn2_b64 exec, exec, s[38:39]
	s_cbranch_execnz .LBB98_78
; %bb.79:
	s_or_b64 exec, exec, s[38:39]
.LBB98_80:
	v_lshlrev_b64 v[10:11], 3, v[4:5]
	v_mov_b32_e32 v12, s17
	v_add_co_u32_e32 v10, vcc, s16, v10
	v_addc_co_u32_e32 v11, vcc, v12, v11, vcc
	global_load_dwordx2 v[12:13], v[10:11], off
	v_lshlrev_b64 v[10:11], 3, v[6:7]
	v_mov_b32_e32 v14, s19
	v_add_co_u32_e32 v10, vcc, s18, v10
	v_addc_co_u32_e32 v11, vcc, v14, v11, vcc
	global_load_dwordx2 v[14:15], v[10:11], off
	s_lshl_b64 s[0:1], s[26:27], 3
	s_add_u32 s18, s16, s0
	s_addc_u32 s19, s17, s1
	s_waitcnt vmcnt(1)
	v_subrev_co_u32_e32 v12, vcc, s30, v12
	v_subbrev_co_u32_e32 v13, vcc, 0, v13, vcc
	v_cmp_lt_i64_e32 vcc, v[6:7], v[12:13]
	v_cndmask_b32_e32 v3, v5, v3, vcc
	v_cndmask_b32_e32 v2, v4, v2, vcc
	s_waitcnt vmcnt(0)
	v_subrev_co_u32_e32 v12, vcc, s30, v14
	v_subbrev_co_u32_e32 v13, vcc, 0, v15, vcc
	v_cmp_ne_u64_e32 vcc, v[12:13], v[2:3]
	s_and_saveexec_b64 s[38:39], vcc
	s_cbranch_execz .LBB98_90
; %bb.81:
	s_load_dwordx2 s[0:1], s[18:19], 0x0
	s_waitcnt lgkmcnt(0)
	s_sub_u32 s0, s0, s30
	s_subb_u32 s1, s1, 0
	v_cmp_gt_i64_e32 vcc, s[0:1], v[6:7]
	s_and_b64 exec, exec, vcc
	s_cbranch_execz .LBB98_90
; %bb.82:
	v_cmp_gt_i64_e32 vcc, s[8:9], v[12:13]
	v_cmp_le_i64_e64 s[0:1], s[26:27], v[12:13]
	v_lshlrev_b64 v[2:3], 3, v[2:3]
	s_or_b64 s[0:1], vcc, s[0:1]
	s_and_saveexec_b64 s[40:41], s[0:1]
	s_xor_b64 s[0:1], exec, s[40:41]
	s_cbranch_execz .LBB98_86
; %bb.83:
	v_mov_b32_e32 v4, s23
	v_add_co_u32_e32 v2, vcc, s22, v2
	v_addc_co_u32_e32 v3, vcc, v4, v3, vcc
	global_load_dwordx2 v[2:3], v[2:3], off
	v_lshlrev_b64 v[4:5], 3, v[12:13]
	v_mov_b32_e32 v15, s15
	v_add_co_u32_e32 v14, vcc, s14, v4
	v_addc_co_u32_e32 v15, vcc, v15, v5, vcc
	global_load_dwordx2 v[4:5], v[14:15], off
	ds_read_b64 v[16:17], v18
	s_mov_b64 s[40:41], 0
	s_waitcnt vmcnt(1) lgkmcnt(0)
	v_mul_f64 v[16:17], v[16:17], v[2:3]
.LBB98_84:                              ; =>This Inner Loop Header: Depth=1
	s_waitcnt vmcnt(0)
	v_add_f64 v[2:3], v[4:5], v[16:17]
	global_atomic_cmpswap_x2 v[2:3], v[14:15], v[2:5], off glc
	s_waitcnt vmcnt(0)
	v_cmp_eq_u64_e32 vcc, v[2:3], v[4:5]
	v_mov_b32_e32 v5, v3
	s_or_b64 s[40:41], vcc, s[40:41]
	v_mov_b32_e32 v4, v2
	s_andn2_b64 exec, exec, s[40:41]
	s_cbranch_execnz .LBB98_84
; %bb.85:
	s_or_b64 exec, exec, s[40:41]
                                        ; implicit-def: $vgpr2_vgpr3
.LBB98_86:
	s_andn2_saveexec_b64 s[0:1], s[0:1]
	s_cbranch_execz .LBB98_90
; %bb.87:
	v_mov_b32_e32 v4, s23
	v_add_co_u32_e32 v2, vcc, s22, v2
	v_addc_co_u32_e32 v3, vcc, v4, v3, vcc
	global_load_dwordx2 v[2:3], v[2:3], off
	ds_read_b64 v[4:5], v18
	v_subrev_u32_e32 v14, s8, v12
	s_mov_b64 s[0:1], 0
	s_waitcnt vmcnt(0) lgkmcnt(0)
	v_mul_f64 v[2:3], v[4:5], v[2:3]
	v_mov_b32_e32 v4, 0x2000
	v_lshl_add_u32 v14, v14, 3, v4
	ds_read_b64 v[4:5], v14
.LBB98_88:                              ; =>This Inner Loop Header: Depth=1
	s_waitcnt lgkmcnt(0)
	v_add_f64 v[15:16], v[4:5], v[2:3]
	ds_cmpst_rtn_b64 v[15:16], v14, v[4:5], v[15:16]
	s_waitcnt lgkmcnt(0)
	v_cmp_eq_u64_e32 vcc, v[15:16], v[4:5]
	v_mov_b32_e32 v4, v15
	s_or_b64 s[0:1], vcc, s[0:1]
	v_mov_b32_e32 v5, v16
	s_andn2_b64 exec, exec, s[0:1]
	s_cbranch_execnz .LBB98_88
; %bb.89:
	s_or_b64 exec, exec, s[0:1]
.LBB98_90:
	s_or_b64 exec, exec, s[38:39]
	v_lshlrev_b64 v[2:3], 3, v[12:13]
	v_mov_b32_e32 v4, s23
	v_add_co_u32_e32 v2, vcc, s22, v2
	v_addc_co_u32_e32 v3, vcc, v4, v3, vcc
	global_load_dwordx2 v[3:4], v[2:3], off
	ds_read_b64 v[12:13], v18
	v_add_co_u32_e32 v2, vcc, 0x100, v6
	v_cndmask_b32_e64 v14, 0, 1, s[2:3]
	v_cmp_ne_u32_e64 s[0:1], 1, v14
	s_waitcnt vmcnt(0) lgkmcnt(0)
	v_mul_f64 v[12:13], v[3:4], v[12:13]
	v_mov_b32_e32 v4, s24
	v_addc_co_u32_e32 v3, vcc, 0, v7, vcc
	v_mov_b32_e32 v5, s25
	s_andn2_b64 vcc, exec, s[2:3]
	ds_write_b64 v18, v[12:13]
	v_mov_b32_e32 v12, s20
	v_mov_b32_e32 v13, s21
	s_cbranch_vccnz .LBB98_94
; %bb.91:
	v_mov_b32_e32 v4, s24
	v_mov_b32_e32 v12, s20
	s_mov_b64 s[38:39], 0
	v_mov_b32_e32 v5, s25
	v_mov_b32_e32 v13, s21
	;; [unrolled: 1-line block ×3, first 2 shown]
.LBB98_92:                              ; =>This Inner Loop Header: Depth=1
	v_add_co_u32_e32 v15, vcc, v12, v4
	v_addc_co_u32_e32 v16, vcc, v13, v5, vcc
	v_lshrrev_b32_e32 v17, 31, v16
	v_add_co_u32_e32 v15, vcc, v15, v17
	v_addc_co_u32_e32 v16, vcc, 0, v16, vcc
	v_ashrrev_i64 v[15:16], 1, v[15:16]
	v_lshlrev_b64 v[19:20], 3, v[15:16]
	v_add_co_u32_e32 v19, vcc, s16, v19
	v_addc_co_u32_e32 v20, vcc, v14, v20, vcc
	global_load_dwordx2 v[19:20], v[19:20], off
	s_waitcnt vmcnt(0)
	v_subrev_co_u32_e32 v19, vcc, s30, v19
	v_subbrev_co_u32_e32 v20, vcc, 0, v20, vcc
	v_cmp_lt_i64_e32 vcc, v[2:3], v[19:20]
	v_cndmask_b32_e32 v12, v12, v15, vcc
	v_cndmask_b32_e32 v13, v13, v16, vcc
	v_cndmask_b32_e32 v4, v15, v4, vcc
	v_add_co_u32_e64 v15, s[2:3], -1, v12
	v_cndmask_b32_e32 v5, v16, v5, vcc
	v_addc_co_u32_e64 v16, s[2:3], -1, v13, s[2:3]
	v_cmp_ge_i64_e32 vcc, v[4:5], v[12:13]
	v_cmp_eq_u64_e64 s[2:3], v[4:5], v[15:16]
	s_or_b64 s[2:3], vcc, s[2:3]
	s_and_b64 s[2:3], exec, s[2:3]
	s_or_b64 s[38:39], s[2:3], s[38:39]
	s_andn2_b64 exec, exec, s[38:39]
	s_cbranch_execnz .LBB98_92
; %bb.93:
	s_or_b64 exec, exec, s[38:39]
.LBB98_94:
	v_lshlrev_b64 v[14:15], 3, v[12:13]
	v_mov_b32_e32 v16, s17
	v_add_co_u32_e32 v14, vcc, s16, v14
	v_addc_co_u32_e32 v15, vcc, v16, v15, vcc
	global_load_dwordx2 v[16:17], v[14:15], off
	global_load_dwordx2 v[19:20], v[10:11], off offset:2048
	s_waitcnt vmcnt(1)
	v_subrev_co_u32_e32 v14, vcc, s30, v16
	v_subbrev_co_u32_e32 v15, vcc, 0, v17, vcc
	v_cmp_lt_i64_e32 vcc, v[2:3], v[14:15]
	v_cndmask_b32_e32 v5, v13, v5, vcc
	v_cndmask_b32_e32 v4, v12, v4, vcc
	s_waitcnt vmcnt(0)
	v_subrev_co_u32_e32 v12, vcc, s30, v19
	v_subbrev_co_u32_e32 v13, vcc, 0, v20, vcc
	v_cmp_ne_u64_e32 vcc, v[12:13], v[4:5]
	s_and_saveexec_b64 s[38:39], vcc
	s_cbranch_execz .LBB98_104
; %bb.95:
	s_load_dwordx2 s[2:3], s[18:19], 0x0
	s_waitcnt lgkmcnt(0)
	s_sub_u32 s2, s2, s30
	s_subb_u32 s3, s3, 0
	v_cmp_gt_i64_e32 vcc, s[2:3], v[2:3]
	s_and_b64 exec, exec, vcc
	s_cbranch_execz .LBB98_104
; %bb.96:
	v_cmp_gt_i64_e32 vcc, s[8:9], v[12:13]
	v_cmp_le_i64_e64 s[2:3], s[26:27], v[12:13]
	v_lshlrev_b64 v[2:3], 3, v[4:5]
	s_or_b64 s[2:3], vcc, s[2:3]
	s_and_saveexec_b64 s[40:41], s[2:3]
	s_xor_b64 s[2:3], exec, s[40:41]
	s_cbranch_execz .LBB98_100
; %bb.97:
	v_mov_b32_e32 v4, s23
	v_add_co_u32_e32 v2, vcc, s22, v2
	v_addc_co_u32_e32 v3, vcc, v4, v3, vcc
	global_load_dwordx2 v[2:3], v[2:3], off
	v_lshlrev_b64 v[4:5], 3, v[12:13]
	v_mov_b32_e32 v15, s15
	v_add_co_u32_e32 v14, vcc, s14, v4
	v_addc_co_u32_e32 v15, vcc, v15, v5, vcc
	global_load_dwordx2 v[4:5], v[14:15], off
	ds_read_b64 v[16:17], v18 offset:2048
	s_mov_b64 s[40:41], 0
	s_waitcnt vmcnt(1) lgkmcnt(0)
	v_mul_f64 v[16:17], v[16:17], v[2:3]
.LBB98_98:                              ; =>This Inner Loop Header: Depth=1
	s_waitcnt vmcnt(0)
	v_add_f64 v[2:3], v[4:5], v[16:17]
	global_atomic_cmpswap_x2 v[2:3], v[14:15], v[2:5], off glc
	s_waitcnt vmcnt(0)
	v_cmp_eq_u64_e32 vcc, v[2:3], v[4:5]
	v_mov_b32_e32 v5, v3
	s_or_b64 s[40:41], vcc, s[40:41]
	v_mov_b32_e32 v4, v2
	s_andn2_b64 exec, exec, s[40:41]
	s_cbranch_execnz .LBB98_98
; %bb.99:
	s_or_b64 exec, exec, s[40:41]
                                        ; implicit-def: $vgpr2_vgpr3
.LBB98_100:
	s_andn2_saveexec_b64 s[2:3], s[2:3]
	s_cbranch_execz .LBB98_104
; %bb.101:
	v_mov_b32_e32 v4, s23
	v_add_co_u32_e32 v2, vcc, s22, v2
	v_addc_co_u32_e32 v3, vcc, v4, v3, vcc
	global_load_dwordx2 v[2:3], v[2:3], off
	ds_read_b64 v[4:5], v18 offset:2048
	v_subrev_u32_e32 v14, s8, v12
	s_mov_b64 s[2:3], 0
	s_waitcnt vmcnt(0) lgkmcnt(0)
	v_mul_f64 v[2:3], v[4:5], v[2:3]
	v_mov_b32_e32 v4, 0x2000
	v_lshl_add_u32 v14, v14, 3, v4
	ds_read_b64 v[4:5], v14
.LBB98_102:                             ; =>This Inner Loop Header: Depth=1
	s_waitcnt lgkmcnt(0)
	v_add_f64 v[15:16], v[4:5], v[2:3]
	ds_cmpst_rtn_b64 v[15:16], v14, v[4:5], v[15:16]
	s_waitcnt lgkmcnt(0)
	v_cmp_eq_u64_e32 vcc, v[15:16], v[4:5]
	v_mov_b32_e32 v4, v15
	s_or_b64 s[2:3], vcc, s[2:3]
	v_mov_b32_e32 v5, v16
	s_andn2_b64 exec, exec, s[2:3]
	s_cbranch_execnz .LBB98_102
; %bb.103:
	s_or_b64 exec, exec, s[2:3]
.LBB98_104:
	s_or_b64 exec, exec, s[38:39]
	v_lshlrev_b64 v[2:3], 3, v[12:13]
	v_mov_b32_e32 v4, s23
	v_add_co_u32_e32 v2, vcc, s22, v2
	v_addc_co_u32_e32 v3, vcc, v4, v3, vcc
	global_load_dwordx2 v[2:3], v[2:3], off
	ds_read_b64 v[4:5], v18 offset:2048
	s_waitcnt vmcnt(0) lgkmcnt(0)
	v_mul_f64 v[12:13], v[2:3], v[4:5]
	v_add_co_u32_e32 v2, vcc, 0x200, v6
	v_mov_b32_e32 v4, s24
	v_addc_co_u32_e32 v3, vcc, 0, v7, vcc
	v_mov_b32_e32 v6, s20
	v_mov_b32_e32 v5, s25
	s_and_b64 vcc, exec, s[0:1]
	v_mov_b32_e32 v7, s21
	ds_write_b64 v18, v[12:13] offset:2048
	s_cbranch_vccnz .LBB98_108
; %bb.105:
	v_mov_b32_e32 v4, s24
	v_mov_b32_e32 v6, s20
	s_mov_b64 s[38:39], 0
	v_mov_b32_e32 v5, s25
	v_mov_b32_e32 v7, s21
	v_mov_b32_e32 v12, s17
.LBB98_106:                             ; =>This Inner Loop Header: Depth=1
	v_add_co_u32_e32 v13, vcc, v6, v4
	v_addc_co_u32_e32 v14, vcc, v7, v5, vcc
	v_lshrrev_b32_e32 v15, 31, v14
	v_add_co_u32_e32 v13, vcc, v13, v15
	v_addc_co_u32_e32 v14, vcc, 0, v14, vcc
	v_ashrrev_i64 v[13:14], 1, v[13:14]
	v_lshlrev_b64 v[15:16], 3, v[13:14]
	v_add_co_u32_e32 v15, vcc, s16, v15
	v_addc_co_u32_e32 v16, vcc, v12, v16, vcc
	global_load_dwordx2 v[15:16], v[15:16], off
	s_waitcnt vmcnt(0)
	v_subrev_co_u32_e32 v15, vcc, s30, v15
	v_subbrev_co_u32_e32 v16, vcc, 0, v16, vcc
	v_cmp_lt_i64_e32 vcc, v[2:3], v[15:16]
	v_cndmask_b32_e32 v6, v6, v13, vcc
	v_cndmask_b32_e32 v7, v7, v14, vcc
	;; [unrolled: 1-line block ×3, first 2 shown]
	v_add_co_u32_e64 v13, s[2:3], -1, v6
	v_cndmask_b32_e32 v5, v14, v5, vcc
	v_addc_co_u32_e64 v14, s[2:3], -1, v7, s[2:3]
	v_cmp_ge_i64_e32 vcc, v[4:5], v[6:7]
	v_cmp_eq_u64_e64 s[2:3], v[4:5], v[13:14]
	s_or_b64 s[2:3], vcc, s[2:3]
	s_and_b64 s[2:3], exec, s[2:3]
	s_or_b64 s[38:39], s[2:3], s[38:39]
	s_andn2_b64 exec, exec, s[38:39]
	s_cbranch_execnz .LBB98_106
; %bb.107:
	s_or_b64 exec, exec, s[38:39]
.LBB98_108:
	v_lshlrev_b64 v[12:13], 3, v[6:7]
	v_mov_b32_e32 v14, s17
	v_add_co_u32_e32 v12, vcc, s16, v12
	v_addc_co_u32_e32 v13, vcc, v14, v13, vcc
	global_load_dwordx2 v[12:13], v[12:13], off
	v_add_co_u32_e32 v14, vcc, 0x1000, v10
	v_addc_co_u32_e32 v15, vcc, 0, v11, vcc
	global_load_dwordx2 v[14:15], v[14:15], off
	s_waitcnt vmcnt(1)
	v_subrev_co_u32_e32 v12, vcc, s30, v12
	v_subbrev_co_u32_e32 v13, vcc, 0, v13, vcc
	v_cmp_lt_i64_e32 vcc, v[2:3], v[12:13]
	v_cndmask_b32_e32 v5, v7, v5, vcc
	v_cndmask_b32_e32 v4, v6, v4, vcc
	s_waitcnt vmcnt(0)
	v_subrev_co_u32_e32 v6, vcc, s30, v14
	v_subbrev_co_u32_e32 v7, vcc, 0, v15, vcc
	v_cmp_ne_u64_e32 vcc, v[6:7], v[4:5]
	s_and_saveexec_b64 s[38:39], vcc
	s_cbranch_execz .LBB98_118
; %bb.109:
	s_load_dwordx2 s[2:3], s[18:19], 0x0
	s_waitcnt lgkmcnt(0)
	s_sub_u32 s2, s2, s30
	s_subb_u32 s3, s3, 0
	v_cmp_gt_i64_e32 vcc, s[2:3], v[2:3]
	s_and_b64 exec, exec, vcc
	s_cbranch_execz .LBB98_118
; %bb.110:
	v_cmp_gt_i64_e32 vcc, s[8:9], v[6:7]
	v_cmp_le_i64_e64 s[2:3], s[26:27], v[6:7]
	v_lshlrev_b64 v[2:3], 3, v[4:5]
	s_or_b64 s[2:3], vcc, s[2:3]
	s_and_saveexec_b64 s[40:41], s[2:3]
	s_xor_b64 s[2:3], exec, s[40:41]
	s_cbranch_execz .LBB98_114
; %bb.111:
	v_mov_b32_e32 v4, s23
	v_add_co_u32_e32 v2, vcc, s22, v2
	v_addc_co_u32_e32 v3, vcc, v4, v3, vcc
	global_load_dwordx2 v[2:3], v[2:3], off
	v_lshlrev_b64 v[4:5], 3, v[6:7]
	v_mov_b32_e32 v13, s15
	v_add_co_u32_e32 v12, vcc, s14, v4
	v_addc_co_u32_e32 v13, vcc, v13, v5, vcc
	global_load_dwordx2 v[4:5], v[12:13], off
	ds_read_b64 v[14:15], v18 offset:4096
	s_mov_b64 s[40:41], 0
	s_waitcnt vmcnt(1) lgkmcnt(0)
	v_mul_f64 v[14:15], v[14:15], v[2:3]
.LBB98_112:                             ; =>This Inner Loop Header: Depth=1
	s_waitcnt vmcnt(0)
	v_add_f64 v[2:3], v[4:5], v[14:15]
	global_atomic_cmpswap_x2 v[2:3], v[12:13], v[2:5], off glc
	s_waitcnt vmcnt(0)
	v_cmp_eq_u64_e32 vcc, v[2:3], v[4:5]
	v_mov_b32_e32 v5, v3
	s_or_b64 s[40:41], vcc, s[40:41]
	v_mov_b32_e32 v4, v2
	s_andn2_b64 exec, exec, s[40:41]
	s_cbranch_execnz .LBB98_112
; %bb.113:
	s_or_b64 exec, exec, s[40:41]
                                        ; implicit-def: $vgpr2_vgpr3
.LBB98_114:
	s_andn2_saveexec_b64 s[2:3], s[2:3]
	s_cbranch_execz .LBB98_118
; %bb.115:
	v_mov_b32_e32 v4, s23
	v_add_co_u32_e32 v2, vcc, s22, v2
	v_addc_co_u32_e32 v3, vcc, v4, v3, vcc
	global_load_dwordx2 v[2:3], v[2:3], off
	ds_read_b64 v[4:5], v18 offset:4096
	v_subrev_u32_e32 v12, s8, v6
	s_mov_b64 s[2:3], 0
	s_waitcnt vmcnt(0) lgkmcnt(0)
	v_mul_f64 v[2:3], v[4:5], v[2:3]
	v_mov_b32_e32 v4, 0x2000
	v_lshl_add_u32 v12, v12, 3, v4
	ds_read_b64 v[4:5], v12
.LBB98_116:                             ; =>This Inner Loop Header: Depth=1
	s_waitcnt lgkmcnt(0)
	v_add_f64 v[13:14], v[4:5], v[2:3]
	ds_cmpst_rtn_b64 v[13:14], v12, v[4:5], v[13:14]
	s_waitcnt lgkmcnt(0)
	v_cmp_eq_u64_e32 vcc, v[13:14], v[4:5]
	v_mov_b32_e32 v4, v13
	s_or_b64 s[2:3], vcc, s[2:3]
	v_mov_b32_e32 v5, v14
	s_andn2_b64 exec, exec, s[2:3]
	s_cbranch_execnz .LBB98_116
; %bb.117:
	s_or_b64 exec, exec, s[2:3]
.LBB98_118:
	s_or_b64 exec, exec, s[38:39]
	v_lshlrev_b64 v[2:3], 3, v[6:7]
	v_mov_b32_e32 v4, s23
	v_add_co_u32_e32 v2, vcc, s22, v2
	v_addc_co_u32_e32 v3, vcc, v4, v3, vcc
	global_load_dwordx2 v[2:3], v[2:3], off
	ds_read_b64 v[4:5], v18 offset:4096
	s_and_b64 vcc, exec, s[0:1]
	s_waitcnt vmcnt(0) lgkmcnt(0)
	v_mul_f64 v[4:5], v[2:3], v[4:5]
	v_mov_b32_e32 v2, s24
	v_mov_b32_e32 v3, s25
	ds_write_b64 v18, v[4:5] offset:4096
	v_mov_b32_e32 v4, s20
	v_mov_b32_e32 v5, s21
	s_cbranch_vccnz .LBB98_122
; %bb.119:
	v_mov_b32_e32 v2, s24
	v_mov_b32_e32 v4, s20
	s_mov_b64 s[2:3], 0
	v_mov_b32_e32 v3, s25
	v_mov_b32_e32 v5, s21
	;; [unrolled: 1-line block ×3, first 2 shown]
.LBB98_120:                             ; =>This Inner Loop Header: Depth=1
	v_add_co_u32_e32 v7, vcc, v4, v2
	v_addc_co_u32_e32 v13, vcc, v5, v3, vcc
	v_lshrrev_b32_e32 v12, 31, v13
	v_add_co_u32_e32 v12, vcc, v7, v12
	v_addc_co_u32_e32 v13, vcc, 0, v13, vcc
	v_ashrrev_i64 v[12:13], 1, v[12:13]
	v_lshlrev_b64 v[14:15], 3, v[12:13]
	v_add_co_u32_e32 v14, vcc, s16, v14
	v_addc_co_u32_e32 v15, vcc, v6, v15, vcc
	global_load_dwordx2 v[14:15], v[14:15], off
	s_waitcnt vmcnt(0)
	v_subrev_co_u32_e32 v14, vcc, s30, v14
	v_subbrev_co_u32_e32 v15, vcc, 0, v15, vcc
	v_cmp_lt_i64_e32 vcc, v[8:9], v[14:15]
	v_cndmask_b32_e32 v4, v4, v12, vcc
	v_cndmask_b32_e32 v5, v5, v13, vcc
	;; [unrolled: 1-line block ×3, first 2 shown]
	v_add_co_u32_e64 v12, s[0:1], -1, v4
	v_cndmask_b32_e32 v3, v13, v3, vcc
	v_addc_co_u32_e64 v13, s[0:1], -1, v5, s[0:1]
	v_cmp_ge_i64_e32 vcc, v[2:3], v[4:5]
	v_cmp_eq_u64_e64 s[0:1], v[2:3], v[12:13]
	s_or_b64 s[0:1], vcc, s[0:1]
	s_and_b64 s[0:1], exec, s[0:1]
	s_or_b64 s[2:3], s[0:1], s[2:3]
	s_andn2_b64 exec, exec, s[2:3]
	s_cbranch_execnz .LBB98_120
; %bb.121:
	s_or_b64 exec, exec, s[2:3]
.LBB98_122:
	v_lshlrev_b64 v[6:7], 3, v[4:5]
	v_mov_b32_e32 v12, s17
	v_add_co_u32_e32 v6, vcc, s16, v6
	v_addc_co_u32_e32 v7, vcc, v12, v7, vcc
	global_load_dwordx2 v[6:7], v[6:7], off
	v_add_co_u32_e32 v10, vcc, 0x1000, v10
	v_addc_co_u32_e32 v11, vcc, 0, v11, vcc
	global_load_dwordx2 v[10:11], v[10:11], off offset:2048
	s_waitcnt vmcnt(1)
	v_subrev_co_u32_e32 v6, vcc, s30, v6
	v_subbrev_co_u32_e32 v7, vcc, 0, v7, vcc
	v_cmp_lt_i64_e32 vcc, v[8:9], v[6:7]
	v_cndmask_b32_e32 v3, v5, v3, vcc
	v_cndmask_b32_e32 v2, v4, v2, vcc
	s_waitcnt vmcnt(0)
	v_subrev_co_u32_e32 v6, vcc, s30, v10
	v_subbrev_co_u32_e32 v7, vcc, 0, v11, vcc
	v_cmp_ne_u64_e32 vcc, v[6:7], v[2:3]
	s_and_saveexec_b64 s[2:3], vcc
	s_cbranch_execz .LBB98_132
; %bb.123:
	s_load_dwordx2 s[0:1], s[18:19], 0x0
	s_waitcnt lgkmcnt(0)
	s_sub_u32 s0, s0, s30
	s_subb_u32 s1, s1, 0
	v_cmp_gt_i64_e32 vcc, s[0:1], v[8:9]
	s_and_b64 exec, exec, vcc
	s_cbranch_execz .LBB98_132
; %bb.124:
	v_cmp_gt_i64_e32 vcc, s[8:9], v[6:7]
	v_cmp_le_i64_e64 s[0:1], s[26:27], v[6:7]
	v_lshlrev_b64 v[2:3], 3, v[2:3]
	s_or_b64 s[0:1], vcc, s[0:1]
	s_and_saveexec_b64 s[18:19], s[0:1]
	s_xor_b64 s[0:1], exec, s[18:19]
	s_cbranch_execz .LBB98_128
; %bb.125:
	v_mov_b32_e32 v4, s23
	v_add_co_u32_e32 v2, vcc, s22, v2
	v_addc_co_u32_e32 v3, vcc, v4, v3, vcc
	global_load_dwordx2 v[2:3], v[2:3], off
	v_lshlrev_b64 v[4:5], 3, v[6:7]
	v_mov_b32_e32 v9, s15
	v_add_co_u32_e32 v8, vcc, s14, v4
	v_addc_co_u32_e32 v9, vcc, v9, v5, vcc
	global_load_dwordx2 v[4:5], v[8:9], off
	ds_read_b64 v[10:11], v18 offset:6144
	s_mov_b64 s[18:19], 0
	s_waitcnt vmcnt(1) lgkmcnt(0)
	v_mul_f64 v[10:11], v[10:11], v[2:3]
.LBB98_126:                             ; =>This Inner Loop Header: Depth=1
	s_waitcnt vmcnt(0)
	v_add_f64 v[2:3], v[4:5], v[10:11]
	global_atomic_cmpswap_x2 v[2:3], v[8:9], v[2:5], off glc
	s_waitcnt vmcnt(0)
	v_cmp_eq_u64_e32 vcc, v[2:3], v[4:5]
	v_mov_b32_e32 v5, v3
	s_or_b64 s[18:19], vcc, s[18:19]
	v_mov_b32_e32 v4, v2
	s_andn2_b64 exec, exec, s[18:19]
	s_cbranch_execnz .LBB98_126
; %bb.127:
	s_or_b64 exec, exec, s[18:19]
                                        ; implicit-def: $vgpr2_vgpr3
.LBB98_128:
	s_andn2_saveexec_b64 s[0:1], s[0:1]
	s_cbranch_execz .LBB98_132
; %bb.129:
	v_mov_b32_e32 v4, s23
	v_add_co_u32_e32 v2, vcc, s22, v2
	v_addc_co_u32_e32 v3, vcc, v4, v3, vcc
	global_load_dwordx2 v[2:3], v[2:3], off
	ds_read_b64 v[4:5], v18 offset:6144
	v_subrev_u32_e32 v8, s8, v6
	s_mov_b64 s[0:1], 0
	s_waitcnt vmcnt(0) lgkmcnt(0)
	v_mul_f64 v[2:3], v[4:5], v[2:3]
	v_mov_b32_e32 v4, 0x2000
	v_lshl_add_u32 v8, v8, 3, v4
	ds_read_b64 v[4:5], v8
.LBB98_130:                             ; =>This Inner Loop Header: Depth=1
	s_waitcnt lgkmcnt(0)
	v_add_f64 v[9:10], v[4:5], v[2:3]
	ds_cmpst_rtn_b64 v[9:10], v8, v[4:5], v[9:10]
	s_waitcnt lgkmcnt(0)
	v_cmp_eq_u64_e32 vcc, v[9:10], v[4:5]
	v_mov_b32_e32 v4, v9
	s_or_b64 s[0:1], vcc, s[0:1]
	v_mov_b32_e32 v5, v10
	s_andn2_b64 exec, exec, s[0:1]
	s_cbranch_execnz .LBB98_130
; %bb.131:
	s_or_b64 exec, exec, s[0:1]
.LBB98_132:
	s_or_b64 exec, exec, s[2:3]
	v_lshlrev_b64 v[2:3], 3, v[6:7]
	v_mov_b32_e32 v4, s23
	v_add_co_u32_e32 v2, vcc, s22, v2
	v_addc_co_u32_e32 v3, vcc, v4, v3, vcc
	global_load_dwordx2 v[2:3], v[2:3], off
	ds_read_b64 v[4:5], v18 offset:6144
	s_waitcnt vmcnt(0) lgkmcnt(0)
	v_mul_f64 v[2:3], v[2:3], v[4:5]
	ds_write_b64 v18, v[2:3] offset:6144
.LBB98_133:
	s_or_b64 exec, exec, s[4:5]
	v_mov_b32_e32 v2, s10
	v_mov_b32_e32 v3, s11
	v_cmp_lt_i64_e32 vcc, s[26:27], v[2:3]
	s_waitcnt lgkmcnt(0)
	s_and_b64 s[0:1], vcc, exec
	s_cselect_b32 s10, s26, s10
	s_cselect_b32 s0, s27, s11
	s_sub_u32 s2, s10, s28
	s_subb_u32 s3, s0, s29
	v_cmp_gt_i64_e32 vcc, s[2:3], v[0:1]
	s_barrier
	s_and_saveexec_b64 s[0:1], vcc
	s_cbranch_execz .LBB98_138
; %bb.134:
	s_lshl_b64 s[4:5], s[8:9], 3
	s_add_u32 s11, s14, s4
	s_addc_u32 s8, s15, s5
	v_mov_b32_e32 v7, v1
	s_mov_b64 s[4:5], 0
	v_mov_b32_e32 v12, s8
	v_mov_b32_e32 v13, 0x2000
	;; [unrolled: 1-line block ×3, first 2 shown]
.LBB98_135:                             ; =>This Loop Header: Depth=1
                                        ;     Child Loop BB98_136 Depth 2
	v_lshlrev_b64 v[2:3], 3, v[6:7]
	s_mov_b64 s[8:9], 0
	v_add_co_u32_e32 v8, vcc, s11, v2
	v_addc_co_u32_e32 v9, vcc, v12, v3, vcc
	global_load_dwordx2 v[4:5], v[8:9], off
	v_lshl_add_u32 v2, v6, 3, v13
	ds_read_b64 v[10:11], v2
.LBB98_136:                             ;   Parent Loop BB98_135 Depth=1
                                        ; =>  This Inner Loop Header: Depth=2
	s_waitcnt vmcnt(0) lgkmcnt(0)
	v_add_f64 v[2:3], v[4:5], v[10:11]
	global_atomic_cmpswap_x2 v[2:3], v[8:9], v[2:5], off glc
	s_waitcnt vmcnt(0)
	v_cmp_eq_u64_e32 vcc, v[2:3], v[4:5]
	v_mov_b32_e32 v5, v3
	s_or_b64 s[8:9], vcc, s[8:9]
	v_mov_b32_e32 v4, v2
	s_andn2_b64 exec, exec, s[8:9]
	s_cbranch_execnz .LBB98_136
; %bb.137:                              ;   in Loop: Header=BB98_135 Depth=1
	s_or_b64 exec, exec, s[8:9]
	v_add_co_u32_e32 v6, vcc, 0x100, v6
	v_addc_co_u32_e32 v7, vcc, 0, v7, vcc
	v_cmp_le_i64_e32 vcc, s[2:3], v[6:7]
	s_or_b64 s[4:5], vcc, s[4:5]
	s_andn2_b64 exec, exec, s[4:5]
	s_cbranch_execnz .LBB98_135
.LBB98_138:
	s_or_b64 exec, exec, s[0:1]
	s_add_i32 s0, s36, -1
	s_ashr_i32 s1, s0, 1
	s_or_b32 s0, s1, s0
	s_ashr_i32 s1, s0, 2
	s_or_b32 s0, s1, s0
	;; [unrolled: 2-line block ×5, first 2 shown]
	s_add_i32 s0, s0, 1
	s_ashr_i32 s3, s0, 1
	v_mov_b32_e32 v2, s25
	v_add_co_u32_e32 v6, vcc, s24, v0
	v_addc_co_u32_e32 v7, vcc, 0, v2, vcc
	s_cmp_gt_i32 s3, 1
	s_mov_b64 s[0:1], -1
	s_barrier
	s_cbranch_scc1 .LBB98_149
; %bb.139:
	v_cmp_gt_i64_e32 vcc, s[26:27], v[6:7]
	s_and_saveexec_b64 s[0:1], vcc
	s_cbranch_execz .LBB98_148
; %bb.140:
	s_sub_i32 s4, s10, s26
	s_lshl_b32 s4, s4, 3
	s_add_i32 s13, s4, 0x2000
	s_lshl_b32 s4, s6, 3
	v_mov_b32_e32 v9, v7
	s_sub_i32 s18, 0, s4
	s_mov_b64 s[4:5], 0
	v_mov_b32_e32 v16, s17
	v_mov_b32_e32 v17, s15
	v_mov_b32_e32 v8, v6
.LBB98_141:                             ; =>This Loop Header: Depth=1
                                        ;     Child Loop BB98_143 Depth 2
                                        ;     Child Loop BB98_146 Depth 2
	v_lshlrev_b64 v[10:11], 3, v[8:9]
	v_mov_b32_e32 v12, 0
	v_add_co_u32_e32 v2, vcc, s16, v10
	v_addc_co_u32_e32 v3, vcc, v16, v11, vcc
	global_load_dwordx4 v[2:5], v[2:3], off
	v_mov_b32_e32 v13, 0
	s_waitcnt vmcnt(0)
	v_cmp_lt_i64_e32 vcc, v[2:3], v[4:5]
	s_and_saveexec_b64 s[8:9], vcc
	s_cbranch_execz .LBB98_145
; %bb.142:                              ;   in Loop: Header=BB98_141 Depth=1
	v_mov_b32_e32 v12, s7
	v_subrev_co_u32_e32 v4, vcc, s6, v4
	v_subb_co_u32_e32 v5, vcc, v5, v12, vcc
	v_subrev_co_u32_e32 v14, vcc, s6, v2
	v_subb_co_u32_e32 v15, vcc, v3, v12, vcc
	v_mov_b32_e32 v12, 0
	v_lshl_add_u32 v2, v2, 3, s18
	v_mov_b32_e32 v13, 0
	s_mov_b64 s[10:11], 0
.LBB98_143:                             ;   Parent Loop BB98_141 Depth=1
                                        ; =>  This Inner Loop Header: Depth=2
	ds_read_b64 v[19:20], v2
	v_add_co_u32_e32 v14, vcc, 1, v14
	v_addc_co_u32_e32 v15, vcc, 0, v15, vcc
	s_waitcnt lgkmcnt(0)
	v_add_f64 v[12:13], v[12:13], v[19:20]
	v_cmp_ge_i64_e32 vcc, v[14:15], v[4:5]
	v_add_u32_e32 v2, 8, v2
	s_or_b64 s[10:11], vcc, s[10:11]
	s_andn2_b64 exec, exec, s[10:11]
	s_cbranch_execnz .LBB98_143
; %bb.144:                              ;   in Loop: Header=BB98_141 Depth=1
	s_or_b64 exec, exec, s[10:11]
.LBB98_145:                             ;   in Loop: Header=BB98_141 Depth=1
	s_or_b64 exec, exec, s[8:9]
	v_add_co_u32_e32 v10, vcc, s14, v10
	v_addc_co_u32_e32 v11, vcc, v17, v11, vcc
	global_load_dwordx2 v[4:5], v[10:11], off
	v_lshl_add_u32 v2, v8, 3, s13
	ds_read_b64 v[2:3], v2
	s_mov_b64 s[8:9], 0
	s_waitcnt lgkmcnt(0)
	v_add_f64 v[12:13], v[12:13], v[2:3]
.LBB98_146:                             ;   Parent Loop BB98_141 Depth=1
                                        ; =>  This Inner Loop Header: Depth=2
	s_waitcnt vmcnt(0)
	v_add_f64 v[2:3], v[4:5], v[12:13]
	global_atomic_cmpswap_x2 v[2:3], v[10:11], v[2:5], off glc
	s_waitcnt vmcnt(0)
	v_cmp_eq_u64_e32 vcc, v[2:3], v[4:5]
	v_mov_b32_e32 v5, v3
	s_or_b64 s[8:9], vcc, s[8:9]
	v_mov_b32_e32 v4, v2
	s_andn2_b64 exec, exec, s[8:9]
	s_cbranch_execnz .LBB98_146
; %bb.147:                              ;   in Loop: Header=BB98_141 Depth=1
	s_or_b64 exec, exec, s[8:9]
	v_add_co_u32_e32 v8, vcc, s12, v8
	v_addc_co_u32_e32 v9, vcc, 0, v9, vcc
	v_cmp_le_i64_e32 vcc, s[26:27], v[8:9]
	s_or_b64 s[4:5], vcc, s[4:5]
	s_andn2_b64 exec, exec, s[4:5]
	s_cbranch_execnz .LBB98_141
.LBB98_148:
	s_or_b64 exec, exec, s[0:1]
	s_mov_b64 s[0:1], 0
.LBB98_149:
	s_andn2_b64 vcc, exec, s[0:1]
	s_cbranch_vccnz .LBB98_167
; %bb.150:
	v_cvt_f32_u32_e32 v2, s3
	s_sub_i32 s8, 0, s3
	v_mov_b32_e32 v5, 0
	v_mov_b32_e32 v8, s35
	v_rcp_iflag_f32_e32 v2, v2
	v_mov_b32_e32 v12, s7
	v_mul_f32_e32 v2, 0x4f7ffffe, v2
	v_cvt_u32_f32_e32 v2, v2
	v_mul_lo_u32 v3, s8, v2
	v_mul_hi_u32 v3, v2, v3
	v_add_u32_e32 v2, v2, v3
	v_mul_hi_u32 v2, v0, v2
	v_mul_lo_u32 v3, v2, s3
	v_add_u32_e32 v4, 1, v2
	v_sub_u32_e32 v3, v0, v3
	v_cmp_le_u32_e32 vcc, s3, v3
	v_cndmask_b32_e32 v2, v2, v4, vcc
	v_subrev_u32_e32 v4, s3, v3
	v_cndmask_b32_e32 v3, v3, v4, vcc
	v_add_u32_e32 v4, 1, v2
	v_cmp_le_u32_e32 vcc, s3, v3
	v_cndmask_b32_e32 v4, v2, v4, vcc
	v_lshlrev_b64 v[2:3], 3, v[4:5]
	v_add_co_u32_e32 v2, vcc, s34, v2
	v_addc_co_u32_e32 v3, vcc, v8, v3, vcc
	global_load_dwordx4 v[8:11], v[2:3], off
	v_mov_b32_e32 v3, s7
	s_waitcnt vmcnt(0)
	v_subrev_co_u32_e32 v2, vcc, s6, v8
	v_subb_co_u32_e32 v3, vcc, v9, v3, vcc
	v_subrev_co_u32_e32 v13, vcc, s6, v10
	v_subb_co_u32_e32 v14, vcc, v11, v12, vcc
	v_sub_co_u32_e32 v11, vcc, v13, v2
	v_subb_co_u32_e32 v10, vcc, v14, v3, vcc
	v_mov_b32_e32 v9, v5
	v_cmp_ne_u64_e32 vcc, 0, v[9:10]
                                        ; implicit-def: $vgpr8_vgpr9
	s_and_saveexec_b64 s[0:1], vcc
	s_xor_b64 s[4:5], exec, s[0:1]
	s_cbranch_execz .LBB98_152
; %bb.151:
	s_add_u32 s0, s3, 0
	s_addc_u32 s1, 0, 0
	s_xor_b64 s[6:7], s[0:1], 0
	v_cvt_f32_u32_e32 v8, s6
	v_cvt_f32_u32_e32 v9, s7
	s_sub_u32 s9, 0, s6
	s_subb_u32 s10, 0, s7
	v_ashrrev_i32_e32 v12, 31, v10
	v_madmk_f32 v8, v9, 0x4f800000, v8
	v_rcp_f32_e32 v8, v8
	v_mul_f32_e32 v8, 0x5f7ffffc, v8
	v_mul_f32_e32 v9, 0x2f800000, v8
	v_trunc_f32_e32 v9, v9
	v_madmk_f32 v8, v9, 0xcf800000, v8
	v_cvt_u32_f32_e32 v9, v9
	v_cvt_u32_f32_e32 v8, v8
	v_readfirstlane_b32 s11, v9
	v_readfirstlane_b32 s0, v8
	s_mul_i32 s1, s9, s11
	s_mul_hi_u32 s13, s9, s0
	s_mul_i32 s12, s10, s0
	s_add_i32 s1, s13, s1
	s_mul_i32 s16, s9, s0
	s_add_i32 s1, s1, s12
	s_mul_i32 s13, s0, s1
	s_mul_hi_u32 s17, s0, s16
	s_mul_hi_u32 s12, s0, s1
	s_add_u32 s13, s17, s13
	s_addc_u32 s12, 0, s12
	s_mul_hi_u32 s18, s11, s16
	s_mul_i32 s16, s11, s16
	s_add_u32 s13, s13, s16
	s_mul_hi_u32 s17, s11, s1
	s_addc_u32 s12, s12, s18
	s_addc_u32 s13, s17, 0
	s_mul_i32 s1, s11, s1
	s_add_u32 s1, s12, s1
	s_addc_u32 s12, 0, s13
	s_add_u32 s13, s0, s1
	s_cselect_b64 s[0:1], -1, 0
	s_cmp_lg_u64 s[0:1], 0
	s_addc_u32 s11, s11, s12
	s_mul_i32 s0, s9, s11
	s_mul_hi_u32 s1, s9, s13
	s_add_i32 s0, s1, s0
	s_mul_i32 s10, s10, s13
	s_add_i32 s0, s0, s10
	s_mul_i32 s9, s9, s13
	s_mul_hi_u32 s10, s11, s9
	s_mul_i32 s12, s11, s9
	s_mul_i32 s17, s13, s0
	s_mul_hi_u32 s9, s13, s9
	s_mul_hi_u32 s16, s13, s0
	s_add_u32 s9, s9, s17
	s_addc_u32 s16, 0, s16
	s_add_u32 s9, s9, s12
	s_mul_hi_u32 s1, s11, s0
	s_addc_u32 s9, s16, s10
	s_addc_u32 s1, s1, 0
	s_mul_i32 s0, s11, s0
	s_add_u32 s0, s9, s0
	s_addc_u32 s9, 0, s1
	s_add_u32 s10, s13, s0
	s_cselect_b64 s[0:1], -1, 0
	s_cmp_lg_u64 s[0:1], 0
	v_add_co_u32_e32 v8, vcc, v11, v12
	s_addc_u32 s9, s11, s9
	v_xor_b32_e32 v15, v8, v12
	v_mad_u64_u32 v[8:9], s[0:1], v15, s9, 0
	v_mul_hi_u32 v11, v15, s10
	v_addc_co_u32_e32 v10, vcc, v10, v12, vcc
	v_xor_b32_e32 v16, v10, v12
	v_add_co_u32_e32 v17, vcc, v11, v8
	v_addc_co_u32_e32 v19, vcc, 0, v9, vcc
	v_mad_u64_u32 v[8:9], s[0:1], v16, s10, 0
	v_mad_u64_u32 v[10:11], s[0:1], v16, s9, 0
	v_add_co_u32_e32 v8, vcc, v17, v8
	v_addc_co_u32_e32 v8, vcc, v19, v9, vcc
	v_addc_co_u32_e32 v9, vcc, 0, v11, vcc
	v_add_co_u32_e32 v10, vcc, v8, v10
	v_addc_co_u32_e32 v11, vcc, 0, v9, vcc
	v_mul_lo_u32 v17, s7, v10
	v_mul_lo_u32 v19, s6, v11
	v_mad_u64_u32 v[8:9], s[0:1], s6, v10, 0
	v_add3_u32 v9, v9, v19, v17
	v_sub_u32_e32 v17, v16, v9
	v_mov_b32_e32 v19, s7
	v_sub_co_u32_e32 v8, vcc, v15, v8
	v_subb_co_u32_e64 v15, s[0:1], v17, v19, vcc
	v_subrev_co_u32_e64 v17, s[0:1], s6, v8
	v_subbrev_co_u32_e64 v15, s[0:1], 0, v15, s[0:1]
	v_cmp_le_u32_e64 s[0:1], s7, v15
	v_cndmask_b32_e64 v19, 0, -1, s[0:1]
	v_cmp_le_u32_e64 s[0:1], s6, v17
	v_cndmask_b32_e64 v17, 0, -1, s[0:1]
	v_cmp_eq_u32_e64 s[0:1], s7, v15
	v_cndmask_b32_e64 v15, v19, v17, s[0:1]
	v_add_co_u32_e64 v17, s[0:1], 2, v10
	v_subb_co_u32_e32 v9, vcc, v16, v9, vcc
	v_addc_co_u32_e64 v19, s[0:1], 0, v11, s[0:1]
	v_cmp_le_u32_e32 vcc, s7, v9
	v_add_co_u32_e64 v20, s[0:1], 1, v10
	v_cndmask_b32_e64 v16, 0, -1, vcc
	v_cmp_le_u32_e32 vcc, s6, v8
	v_addc_co_u32_e64 v21, s[0:1], 0, v11, s[0:1]
	v_cndmask_b32_e64 v8, 0, -1, vcc
	v_cmp_eq_u32_e32 vcc, s7, v9
	v_cmp_ne_u32_e64 s[0:1], 0, v15
	v_cndmask_b32_e32 v8, v16, v8, vcc
	v_cndmask_b32_e64 v15, v21, v19, s[0:1]
	v_cmp_ne_u32_e32 vcc, 0, v8
	v_cndmask_b32_e64 v9, v20, v17, s[0:1]
	v_cndmask_b32_e32 v8, v11, v15, vcc
	v_cndmask_b32_e32 v9, v10, v9, vcc
	v_xor_b32_e32 v10, v8, v12
	v_xor_b32_e32 v8, v9, v12
	v_sub_co_u32_e32 v8, vcc, v8, v12
	v_subb_co_u32_e32 v9, vcc, v10, v12, vcc
                                        ; implicit-def: $vgpr11
.LBB98_152:
	s_andn2_saveexec_b64 s[0:1], s[4:5]
	s_cbranch_execz .LBB98_154
; %bb.153:
	v_cvt_f32_u32_e32 v8, s3
	v_rcp_iflag_f32_e32 v8, v8
	v_mul_f32_e32 v8, 0x4f7ffffe, v8
	v_cvt_u32_f32_e32 v8, v8
	v_mul_lo_u32 v9, s8, v8
	v_mul_hi_u32 v9, v8, v9
	v_add_u32_e32 v8, v8, v9
	v_mul_hi_u32 v8, v11, v8
	v_mul_lo_u32 v9, v8, s3
	v_add_u32_e32 v10, 1, v8
	v_sub_u32_e32 v9, v11, v9
	v_subrev_u32_e32 v11, s3, v9
	v_cmp_le_u32_e32 vcc, s3, v9
	v_cndmask_b32_e32 v9, v9, v11, vcc
	v_cndmask_b32_e32 v8, v8, v10, vcc
	v_add_u32_e32 v10, 1, v8
	v_cmp_le_u32_e32 vcc, s3, v9
	v_cndmask_b32_e32 v8, v8, v10, vcc
	v_mov_b32_e32 v9, 0
.LBB98_154:
	s_or_b64 exec, exec, s[0:1]
	v_cmp_gt_i64_e32 vcc, s[28:29], v[4:5]
	v_mov_b32_e32 v4, 0
	v_mov_b32_e32 v5, 0
	s_and_saveexec_b64 s[0:1], vcc
	s_cbranch_execz .LBB98_162
; %bb.155:
	s_add_i32 s4, s3, -1
	v_and_b32_e32 v10, s4, v0
	v_cmp_lt_i64_e32 vcc, 0, v[8:9]
	v_mov_b32_e32 v4, 0
	s_mov_b64 s[4:5], 0
	v_mov_b32_e32 v5, 0
	v_lshlrev_b32_e32 v15, 3, v10
	s_and_saveexec_b64 s[6:7], vcc
	s_cbranch_execz .LBB98_159
; %bb.156:
	v_mov_b32_e32 v4, 0
	v_mov_b32_e32 v12, v9
	v_lshl_add_u32 v16, v2, 3, v15
	s_lshl_b32 s8, s3, 3
	v_mov_b32_e32 v5, 0
	v_mov_b32_e32 v11, v8
.LBB98_157:                             ; =>This Inner Loop Header: Depth=1
	ds_read_b64 v[19:20], v16
	v_add_co_u32_e32 v11, vcc, -1, v11
	v_addc_co_u32_e32 v12, vcc, -1, v12, vcc
	s_waitcnt lgkmcnt(0)
	v_add_f64 v[4:5], v[4:5], v[19:20]
	v_cmp_eq_u64_e32 vcc, 0, v[11:12]
	v_add_u32_e32 v16, s8, v16
	s_or_b64 s[4:5], vcc, s[4:5]
	s_andn2_b64 exec, exec, s[4:5]
	s_cbranch_execnz .LBB98_157
; %bb.158:
	s_or_b64 exec, exec, s[4:5]
.LBB98_159:
	s_or_b64 exec, exec, s[6:7]
	v_mad_u64_u32 v[2:3], s[4:5], v8, s3, v[2:3]
	v_mov_b32_e32 v11, 0
	v_mad_u64_u32 v[8:9], s[4:5], v9, s3, v[3:4]
	v_sub_co_u32_e32 v12, vcc, v13, v2
	v_subb_co_u32_e32 v13, vcc, v14, v8, vcc
	v_cmp_gt_i64_e32 vcc, v[12:13], v[10:11]
	s_and_saveexec_b64 s[4:5], vcc
	s_cbranch_execz .LBB98_161
; %bb.160:
	v_lshl_add_u32 v2, v2, 3, v15
	ds_read_b64 v[2:3], v2
	s_waitcnt lgkmcnt(0)
	v_add_f64 v[4:5], v[4:5], v[2:3]
.LBB98_161:
	s_or_b64 exec, exec, s[4:5]
.LBB98_162:
	s_or_b64 exec, exec, s[0:1]
	v_cmp_gt_i64_e32 vcc, s[28:29], v[0:1]
	s_barrier
	ds_write_b64 v18, v[4:5]
	s_waitcnt lgkmcnt(0)
	s_barrier
	s_and_b64 exec, exec, vcc
	s_cbranch_execz .LBB98_167
; %bb.163:
	v_mul_lo_u32 v1, s3, v0
	v_mov_b32_e32 v4, 0
	v_mov_b32_e32 v5, 0
	v_lshlrev_b32_e32 v1, 3, v1
.LBB98_164:                             ; =>This Inner Loop Header: Depth=1
	ds_read_b64 v[2:3], v1
	s_add_i32 s3, s3, -1
	s_cmp_eq_u32 s3, 0
	v_add_u32_e32 v1, 8, v1
	s_waitcnt lgkmcnt(0)
	v_add_f64 v[4:5], v[4:5], v[2:3]
	s_cbranch_scc0 .LBB98_164
; %bb.165:
	v_lshlrev_b64 v[1:2], 3, v[6:7]
	v_mov_b32_e32 v3, s15
	v_add_co_u32_e32 v6, vcc, s14, v1
	v_addc_co_u32_e32 v7, vcc, v3, v2, vcc
	global_load_dwordx2 v[2:3], v[6:7], off
	s_lshl_b32 s0, s2, 3
	s_addk_i32 s0, 0x2000
	v_lshl_add_u32 v0, v0, 3, s0
	ds_read_b64 v[0:1], v0
	s_mov_b64 s[0:1], 0
	s_waitcnt lgkmcnt(0)
	v_add_f64 v[4:5], v[4:5], v[0:1]
.LBB98_166:                             ; =>This Inner Loop Header: Depth=1
	s_waitcnt vmcnt(0)
	v_add_f64 v[0:1], v[2:3], v[4:5]
	global_atomic_cmpswap_x2 v[0:1], v[6:7], v[0:3], off glc
	s_waitcnt vmcnt(0)
	v_cmp_eq_u64_e32 vcc, v[0:1], v[2:3]
	v_mov_b32_e32 v3, v1
	s_or_b64 s[0:1], vcc, s[0:1]
	v_mov_b32_e32 v2, v0
	s_andn2_b64 exec, exec, s[0:1]
	s_cbranch_execnz .LBB98_166
.LBB98_167:
	s_endpgm
	.section	.rodata,"a",@progbits
	.p2align	6, 0x0
	.amdhsa_kernel _ZN9rocsparseL27csrmvn_symm_adaptive_kernelIllfdddEEvbT_S1_PKS1_NS_24const_host_device_scalarIT4_EES3_PKT0_PKT1_PKT2_S6_PT3_21rocsparse_index_base_b
		.amdhsa_group_segment_fixed_size 8192
		.amdhsa_private_segment_fixed_size 0
		.amdhsa_kernarg_size 352
		.amdhsa_user_sgpr_count 6
		.amdhsa_user_sgpr_private_segment_buffer 1
		.amdhsa_user_sgpr_dispatch_ptr 0
		.amdhsa_user_sgpr_queue_ptr 0
		.amdhsa_user_sgpr_kernarg_segment_ptr 1
		.amdhsa_user_sgpr_dispatch_id 0
		.amdhsa_user_sgpr_flat_scratch_init 0
		.amdhsa_user_sgpr_private_segment_size 0
		.amdhsa_uses_dynamic_stack 0
		.amdhsa_system_sgpr_private_segment_wavefront_offset 0
		.amdhsa_system_sgpr_workgroup_id_x 1
		.amdhsa_system_sgpr_workgroup_id_y 0
		.amdhsa_system_sgpr_workgroup_id_z 0
		.amdhsa_system_sgpr_workgroup_info 0
		.amdhsa_system_vgpr_workitem_id 0
		.amdhsa_next_free_vgpr 29
		.amdhsa_next_free_sgpr 61
		.amdhsa_reserve_vcc 1
		.amdhsa_reserve_flat_scratch 0
		.amdhsa_float_round_mode_32 0
		.amdhsa_float_round_mode_16_64 0
		.amdhsa_float_denorm_mode_32 3
		.amdhsa_float_denorm_mode_16_64 3
		.amdhsa_dx10_clamp 1
		.amdhsa_ieee_mode 1
		.amdhsa_fp16_overflow 0
		.amdhsa_exception_fp_ieee_invalid_op 0
		.amdhsa_exception_fp_denorm_src 0
		.amdhsa_exception_fp_ieee_div_zero 0
		.amdhsa_exception_fp_ieee_overflow 0
		.amdhsa_exception_fp_ieee_underflow 0
		.amdhsa_exception_fp_ieee_inexact 0
		.amdhsa_exception_int_div_zero 0
	.end_amdhsa_kernel
	.section	.text._ZN9rocsparseL27csrmvn_symm_adaptive_kernelIllfdddEEvbT_S1_PKS1_NS_24const_host_device_scalarIT4_EES3_PKT0_PKT1_PKT2_S6_PT3_21rocsparse_index_base_b,"axG",@progbits,_ZN9rocsparseL27csrmvn_symm_adaptive_kernelIllfdddEEvbT_S1_PKS1_NS_24const_host_device_scalarIT4_EES3_PKT0_PKT1_PKT2_S6_PT3_21rocsparse_index_base_b,comdat
.Lfunc_end98:
	.size	_ZN9rocsparseL27csrmvn_symm_adaptive_kernelIllfdddEEvbT_S1_PKS1_NS_24const_host_device_scalarIT4_EES3_PKT0_PKT1_PKT2_S6_PT3_21rocsparse_index_base_b, .Lfunc_end98-_ZN9rocsparseL27csrmvn_symm_adaptive_kernelIllfdddEEvbT_S1_PKS1_NS_24const_host_device_scalarIT4_EES3_PKT0_PKT1_PKT2_S6_PT3_21rocsparse_index_base_b
                                        ; -- End function
	.set _ZN9rocsparseL27csrmvn_symm_adaptive_kernelIllfdddEEvbT_S1_PKS1_NS_24const_host_device_scalarIT4_EES3_PKT0_PKT1_PKT2_S6_PT3_21rocsparse_index_base_b.num_vgpr, 23
	.set _ZN9rocsparseL27csrmvn_symm_adaptive_kernelIllfdddEEvbT_S1_PKS1_NS_24const_host_device_scalarIT4_EES3_PKT0_PKT1_PKT2_S6_PT3_21rocsparse_index_base_b.num_agpr, 0
	.set _ZN9rocsparseL27csrmvn_symm_adaptive_kernelIllfdddEEvbT_S1_PKS1_NS_24const_host_device_scalarIT4_EES3_PKT0_PKT1_PKT2_S6_PT3_21rocsparse_index_base_b.numbered_sgpr, 52
	.set _ZN9rocsparseL27csrmvn_symm_adaptive_kernelIllfdddEEvbT_S1_PKS1_NS_24const_host_device_scalarIT4_EES3_PKT0_PKT1_PKT2_S6_PT3_21rocsparse_index_base_b.num_named_barrier, 0
	.set _ZN9rocsparseL27csrmvn_symm_adaptive_kernelIllfdddEEvbT_S1_PKS1_NS_24const_host_device_scalarIT4_EES3_PKT0_PKT1_PKT2_S6_PT3_21rocsparse_index_base_b.private_seg_size, 0
	.set _ZN9rocsparseL27csrmvn_symm_adaptive_kernelIllfdddEEvbT_S1_PKS1_NS_24const_host_device_scalarIT4_EES3_PKT0_PKT1_PKT2_S6_PT3_21rocsparse_index_base_b.uses_vcc, 1
	.set _ZN9rocsparseL27csrmvn_symm_adaptive_kernelIllfdddEEvbT_S1_PKS1_NS_24const_host_device_scalarIT4_EES3_PKT0_PKT1_PKT2_S6_PT3_21rocsparse_index_base_b.uses_flat_scratch, 0
	.set _ZN9rocsparseL27csrmvn_symm_adaptive_kernelIllfdddEEvbT_S1_PKS1_NS_24const_host_device_scalarIT4_EES3_PKT0_PKT1_PKT2_S6_PT3_21rocsparse_index_base_b.has_dyn_sized_stack, 0
	.set _ZN9rocsparseL27csrmvn_symm_adaptive_kernelIllfdddEEvbT_S1_PKS1_NS_24const_host_device_scalarIT4_EES3_PKT0_PKT1_PKT2_S6_PT3_21rocsparse_index_base_b.has_recursion, 0
	.set _ZN9rocsparseL27csrmvn_symm_adaptive_kernelIllfdddEEvbT_S1_PKS1_NS_24const_host_device_scalarIT4_EES3_PKT0_PKT1_PKT2_S6_PT3_21rocsparse_index_base_b.has_indirect_call, 0
	.section	.AMDGPU.csdata,"",@progbits
; Kernel info:
; codeLenInByte = 8124
; TotalNumSgprs: 56
; NumVgprs: 23
; ScratchSize: 0
; MemoryBound: 0
; FloatMode: 240
; IeeeMode: 1
; LDSByteSize: 8192 bytes/workgroup (compile time only)
; SGPRBlocks: 8
; VGPRBlocks: 7
; NumSGPRsForWavesPerEU: 65
; NumVGPRsForWavesPerEU: 29
; Occupancy: 8
; WaveLimiterHint : 1
; COMPUTE_PGM_RSRC2:SCRATCH_EN: 0
; COMPUTE_PGM_RSRC2:USER_SGPR: 6
; COMPUTE_PGM_RSRC2:TRAP_HANDLER: 0
; COMPUTE_PGM_RSRC2:TGID_X_EN: 1
; COMPUTE_PGM_RSRC2:TGID_Y_EN: 0
; COMPUTE_PGM_RSRC2:TGID_Z_EN: 0
; COMPUTE_PGM_RSRC2:TIDIG_COMP_CNT: 0
	.section	.text._ZL33csrmvn_symm_large_adaptive_kernelIllfdddEvbT_PKS0_N9rocsparse24const_host_device_scalarIT4_EES2_PKT0_PKT1_PKT2_S6_PT3_21rocsparse_index_base_b,"axG",@progbits,_ZL33csrmvn_symm_large_adaptive_kernelIllfdddEvbT_PKS0_N9rocsparse24const_host_device_scalarIT4_EES2_PKT0_PKT1_PKT2_S6_PT3_21rocsparse_index_base_b,comdat
	.globl	_ZL33csrmvn_symm_large_adaptive_kernelIllfdddEvbT_PKS0_N9rocsparse24const_host_device_scalarIT4_EES2_PKT0_PKT1_PKT2_S6_PT3_21rocsparse_index_base_b ; -- Begin function _ZL33csrmvn_symm_large_adaptive_kernelIllfdddEvbT_PKS0_N9rocsparse24const_host_device_scalarIT4_EES2_PKT0_PKT1_PKT2_S6_PT3_21rocsparse_index_base_b
	.p2align	8
	.type	_ZL33csrmvn_symm_large_adaptive_kernelIllfdddEvbT_PKS0_N9rocsparse24const_host_device_scalarIT4_EES2_PKT0_PKT1_PKT2_S6_PT3_21rocsparse_index_base_b,@function
_ZL33csrmvn_symm_large_adaptive_kernelIllfdddEvbT_PKS0_N9rocsparse24const_host_device_scalarIT4_EES2_PKT0_PKT1_PKT2_S6_PT3_21rocsparse_index_base_b: ; @_ZL33csrmvn_symm_large_adaptive_kernelIllfdddEvbT_PKS0_N9rocsparse24const_host_device_scalarIT4_EES2_PKT0_PKT1_PKT2_S6_PT3_21rocsparse_index_base_b
; %bb.0:
	s_load_dwordx2 s[24:25], s[4:5], 0x50
	s_load_dwordx2 s[8:9], s[4:5], 0x18
	;; [unrolled: 1-line block ×3, first 2 shown]
	s_waitcnt lgkmcnt(0)
	s_bitcmp1_b32 s25, 0
	s_cselect_b64 s[10:11], -1, 0
	v_mov_b32_e32 v4, s8
	s_xor_b64 s[2:3], s[10:11], -1
	s_and_b64 vcc, exec, s[10:11]
	v_mov_b32_e32 v5, s9
	s_cbranch_vccnz .LBB99_2
; %bb.1:
	v_mov_b32_e32 v1, s8
	v_mov_b32_e32 v2, s9
	flat_load_dwordx2 v[4:5], v[1:2]
.LBB99_2:
	v_mov_b32_e32 v2, s1
	s_andn2_b64 vcc, exec, s[2:3]
	v_mov_b32_e32 v1, s0
	s_cbranch_vccnz .LBB99_4
; %bb.3:
	v_mov_b32_e32 v2, s1
	v_mov_b32_e32 v1, s0
	flat_load_dwordx2 v[1:2], v[1:2]
.LBB99_4:
	s_waitcnt vmcnt(0) lgkmcnt(0)
	v_cmp_neq_f64_e32 vcc, 0, v[4:5]
	v_cmp_neq_f64_e64 s[0:1], 1.0, v[1:2]
	s_or_b64 s[0:1], vcc, s[0:1]
	s_and_saveexec_b64 s[2:3], s[0:1]
	s_cbranch_execz .LBB99_39
; %bb.5:
	s_load_dwordx2 s[0:1], s[4:5], 0x10
	s_mov_b32 s2, 0
	s_mov_b32 s3, s2
	v_mov_b32_e32 v1, s2
	s_ashr_i32 s7, s6, 31
	v_mov_b32_e32 v2, s3
	s_lshl_b64 s[2:3], s[6:7], 3
	s_waitcnt lgkmcnt(0)
	s_add_u32 s0, s0, s2
	v_lshlrev_b32_e32 v12, 3, v0
	s_addc_u32 s1, s1, s3
	ds_write2st64_b64 v12, v[1:2], v[1:2] offset1:4
	ds_write2st64_b64 v12, v[1:2], v[1:2] offset0:8 offset1:12
	s_waitcnt lgkmcnt(0)
	s_barrier
	s_load_dwordx4 s[20:23], s[0:1], 0x0
	s_load_dwordx8 s[12:19], s[4:5], 0x20
	s_load_dwordx2 s[26:27], s[4:5], 0x48
	v_subrev_co_u32_e64 v13, s[0:1], s24, v0
	s_waitcnt lgkmcnt(0)
	v_mov_b32_e32 v1, s22
	v_mov_b32_e32 v2, s23
	v_cmp_ge_i64_e32 vcc, s[20:21], v[1:2]
	v_mov_b32_e32 v15, 0
	v_subb_co_u32_e64 v14, s[0:1], 0, 0, s[0:1]
	s_cbranch_vccnz .LBB99_29
; %bb.6:
	s_movk_i32 s25, 0x100
	v_mov_b32_e32 v6, s22
	v_cmp_gt_u32_e64 s[0:1], s25, v0
	v_cmp_gt_u32_e64 s[2:3], 64, v0
	;; [unrolled: 1-line block ×4, first 2 shown]
	v_cmp_eq_u32_e64 s[8:9], 0, v0
	v_mov_b32_e32 v7, s23
	s_mov_b64 s[28:29], s[20:21]
	s_branch .LBB99_8
.LBB99_7:                               ;   in Loop: Header=BB99_8 Depth=1
	s_or_b64 exec, exec, s[10:11]
	s_add_u32 s28, s28, 1
	s_addc_u32 s29, s29, 0
	v_cmp_ge_i64_e32 vcc, s[28:29], v[6:7]
	s_cbranch_vccnz .LBB99_29
.LBB99_8:                               ; =>This Loop Header: Depth=1
                                        ;     Child Loop BB99_10 Depth 2
                                        ;     Child Loop BB99_24 Depth 2
	;; [unrolled: 1-line block ×3, first 2 shown]
	s_lshl_b64 s[30:31], s[28:29], 3
	s_add_u32 s10, s12, s30
	s_addc_u32 s11, s13, s31
	s_load_dwordx4 s[36:39], s[10:11], 0x0
	v_mov_b32_e32 v2, 0
	v_mov_b32_e32 v3, 0
	s_waitcnt lgkmcnt(0)
	s_sub_u32 s34, s38, s24
	v_mov_b32_e32 v1, s37
	v_add_co_u32_e32 v0, vcc, s36, v13
	s_subb_u32 s35, s39, 0
	v_addc_co_u32_e32 v1, vcc, v1, v14, vcc
	v_cmp_gt_i64_e32 vcc, s[34:35], v[0:1]
	s_and_saveexec_b64 s[36:37], vcc
	s_cbranch_execz .LBB99_12
; %bb.9:                                ;   in Loop: Header=BB99_8 Depth=1
	v_lshlrev_b64 v[2:3], 3, v[0:1]
	v_mov_b32_e32 v9, s15
	v_add_co_u32_e32 v8, vcc, s14, v2
	v_addc_co_u32_e32 v9, vcc, v9, v3, vcc
	v_lshlrev_b64 v[2:3], 2, v[0:1]
	v_mov_b32_e32 v11, s17
	v_add_co_u32_e32 v10, vcc, s16, v2
	v_addc_co_u32_e32 v11, vcc, v11, v3, vcc
	v_mov_b32_e32 v2, 0
	v_mov_b32_e32 v3, 0
	s_mov_b64 s[38:39], 0
.LBB99_10:                              ;   Parent Loop BB99_8 Depth=1
                                        ; =>  This Inner Loop Header: Depth=2
	global_load_dwordx2 v[16:17], v[8:9], off
	global_load_dword v18, v[10:11], off
	v_mov_b32_e32 v19, s19
	s_waitcnt vmcnt(1)
	v_subrev_co_u32_e32 v16, vcc, s24, v16
	v_subbrev_co_u32_e32 v17, vcc, 0, v17, vcc
	v_lshlrev_b64 v[16:17], 3, v[16:17]
	v_add_co_u32_e32 v16, vcc, s18, v16
	v_addc_co_u32_e32 v17, vcc, v19, v17, vcc
	global_load_dwordx2 v[16:17], v[16:17], off
	s_waitcnt vmcnt(1)
	v_cvt_f64_f32_e32 v[18:19], v18
	v_add_co_u32_e32 v0, vcc, s25, v0
	v_addc_co_u32_e32 v1, vcc, 0, v1, vcc
	v_add_co_u32_e32 v8, vcc, 0x800, v8
	v_addc_co_u32_e32 v9, vcc, 0, v9, vcc
	v_cmp_le_i64_e64 s[10:11], s[34:35], v[0:1]
	v_add_co_u32_e32 v10, vcc, 0x400, v10
	s_or_b64 s[38:39], s[10:11], s[38:39]
	v_addc_co_u32_e32 v11, vcc, 0, v11, vcc
	s_waitcnt vmcnt(0)
	v_fma_f64 v[2:3], v[18:19], v[16:17], v[2:3]
	s_andn2_b64 exec, exec, s[38:39]
	s_cbranch_execnz .LBB99_10
; %bb.11:                               ;   in Loop: Header=BB99_8 Depth=1
	s_or_b64 exec, exec, s[38:39]
.LBB99_12:                              ;   in Loop: Header=BB99_8 Depth=1
	s_or_b64 exec, exec, s[36:37]
	ds_write_b64 v12, v[2:3]
	s_waitcnt lgkmcnt(0)
	s_barrier
	s_and_saveexec_b64 s[10:11], s[0:1]
	s_cbranch_execz .LBB99_14
; %bb.13:                               ;   in Loop: Header=BB99_8 Depth=1
	ds_read2st64_b64 v[0:3], v12 offset1:4
	ds_read2st64_b64 v[8:11], v12 offset0:8 offset1:12
	s_waitcnt lgkmcnt(0)
	v_add_f64 v[2:3], v[2:3], v[8:9]
	v_add_f64 v[2:3], v[2:3], v[10:11]
	;; [unrolled: 1-line block ×3, first 2 shown]
	ds_write_b64 v12, v[0:1]
.LBB99_14:                              ;   in Loop: Header=BB99_8 Depth=1
	s_or_b64 exec, exec, s[10:11]
	s_waitcnt lgkmcnt(0)
	s_barrier
	s_and_saveexec_b64 s[10:11], s[2:3]
	s_cbranch_execz .LBB99_16
; %bb.15:                               ;   in Loop: Header=BB99_8 Depth=1
	ds_read2st64_b64 v[0:3], v12 offset1:1
	ds_read2st64_b64 v[8:11], v12 offset0:2 offset1:3
	s_waitcnt lgkmcnt(0)
	v_add_f64 v[2:3], v[2:3], v[8:9]
	v_add_f64 v[2:3], v[2:3], v[10:11]
	;; [unrolled: 1-line block ×3, first 2 shown]
	ds_write_b64 v12, v[0:1]
.LBB99_16:                              ;   in Loop: Header=BB99_8 Depth=1
	s_or_b64 exec, exec, s[10:11]
	s_waitcnt lgkmcnt(0)
	s_barrier
	s_and_saveexec_b64 s[10:11], s[4:5]
	s_cbranch_execz .LBB99_18
; %bb.17:                               ;   in Loop: Header=BB99_8 Depth=1
	ds_read2_b64 v[0:3], v12 offset1:16
	ds_read2_b64 v[8:11], v12 offset0:32 offset1:48
	s_waitcnt lgkmcnt(0)
	v_add_f64 v[2:3], v[2:3], v[8:9]
	v_add_f64 v[2:3], v[2:3], v[10:11]
	;; [unrolled: 1-line block ×3, first 2 shown]
	ds_write_b64 v12, v[0:1]
.LBB99_18:                              ;   in Loop: Header=BB99_8 Depth=1
	s_or_b64 exec, exec, s[10:11]
	s_waitcnt lgkmcnt(0)
	s_barrier
	s_and_saveexec_b64 s[10:11], s[6:7]
	s_cbranch_execz .LBB99_20
; %bb.19:                               ;   in Loop: Header=BB99_8 Depth=1
	ds_read2_b64 v[0:3], v12 offset1:4
	ds_read2_b64 v[8:11], v12 offset0:8 offset1:12
	s_waitcnt lgkmcnt(0)
	v_add_f64 v[2:3], v[2:3], v[8:9]
	v_add_f64 v[2:3], v[2:3], v[10:11]
	;; [unrolled: 1-line block ×3, first 2 shown]
	ds_write_b64 v12, v[0:1]
.LBB99_20:                              ;   in Loop: Header=BB99_8 Depth=1
	s_or_b64 exec, exec, s[10:11]
	s_waitcnt lgkmcnt(0)
	s_barrier
	s_and_saveexec_b64 s[10:11], s[8:9]
	s_cbranch_execz .LBB99_22
; %bb.21:                               ;   in Loop: Header=BB99_8 Depth=1
	ds_read2_b64 v[0:3], v15 offset0:1 offset1:2
	ds_read_b64 v[8:9], v12
	s_waitcnt lgkmcnt(1)
	v_add_f64 v[0:1], v[0:1], v[2:3]
	ds_read_b64 v[2:3], v15 offset:24
	s_waitcnt lgkmcnt(0)
	v_add_f64 v[0:1], v[0:1], v[2:3]
	v_add_f64 v[0:1], v[8:9], v[0:1]
	ds_write_b64 v12, v[0:1]
.LBB99_22:                              ;   in Loop: Header=BB99_8 Depth=1
	s_or_b64 exec, exec, s[10:11]
	s_waitcnt lgkmcnt(0)
	s_barrier
	s_and_saveexec_b64 s[10:11], s[8:9]
	s_cbranch_execz .LBB99_7
; %bb.23:                               ;   in Loop: Header=BB99_8 Depth=1
	ds_read_b64 v[0:1], v15
	v_mov_b32_e32 v8, 0
	s_mov_b64 s[34:35], exec
	v_bfrev_b32_e32 v9, 1
	s_waitcnt lgkmcnt(0)
	v_mul_f64 v[0:1], v[4:5], v[0:1]
.LBB99_24:                              ;   Parent Loop BB99_8 Depth=1
                                        ; =>  This Inner Loop Header: Depth=2
	s_ff1_i32_b64 s33, s[34:35]
	v_readlane_b32 s37, v1, s33
	v_readlane_b32 s36, v0, s33
	v_add_f64 v[8:9], v[8:9], s[36:37]
	s_lshl_b64 s[36:37], 1, s33
	s_andn2_b64 s[34:35], s[34:35], s[36:37]
	s_cmp_lg_u64 s[34:35], 0
	s_cbranch_scc1 .LBB99_24
; %bb.25:                               ;   in Loop: Header=BB99_8 Depth=1
	v_mbcnt_lo_u32_b32 v0, exec_lo, 0
	v_mbcnt_hi_u32_b32 v0, exec_hi, v0
	v_cmp_eq_u32_e32 vcc, 0, v0
	s_and_saveexec_b64 s[34:35], vcc
	s_xor_b64 s[34:35], exec, s[34:35]
	s_cbranch_execz .LBB99_7
; %bb.26:                               ;   in Loop: Header=BB99_8 Depth=1
	s_add_u32 s30, s26, s30
	s_addc_u32 s31, s27, s31
	global_load_dwordx2 v[2:3], v15, s[30:31]
	s_mov_b64 s[34:35], 0
.LBB99_27:                              ;   Parent Loop BB99_8 Depth=1
                                        ; =>  This Inner Loop Header: Depth=2
	s_waitcnt vmcnt(0)
	v_add_f64 v[0:1], v[2:3], v[8:9]
	global_atomic_cmpswap_x2 v[0:1], v15, v[0:3], s[30:31] glc
	s_waitcnt vmcnt(0)
	v_cmp_eq_u64_e32 vcc, v[0:1], v[2:3]
	v_mov_b32_e32 v3, v1
	s_or_b64 s[34:35], vcc, s[34:35]
	v_mov_b32_e32 v2, v0
	s_andn2_b64 exec, exec, s[34:35]
	s_cbranch_execnz .LBB99_27
; %bb.28:                               ;   in Loop: Header=BB99_8 Depth=1
	s_or_b64 exec, exec, s[34:35]
	s_branch .LBB99_7
.LBB99_29:
	s_lshl_b64 s[0:1], s[20:21], 3
	s_add_u32 s0, s12, s0
	s_addc_u32 s1, s13, s1
	s_lshl_b64 s[2:3], s[22:23], 3
	s_add_u32 s2, s12, s2
	s_addc_u32 s3, s13, s3
	s_load_dwordx2 s[6:7], s[0:1], 0x0
	s_load_dwordx2 s[4:5], s[2:3], 0x0
	s_waitcnt lgkmcnt(0)
	v_mov_b32_e32 v0, s7
	s_sub_u32 s4, s4, s24
	v_add_co_u32_e32 v6, vcc, s6, v13
	s_subb_u32 s5, s5, 0
	v_addc_co_u32_e32 v7, vcc, v0, v14, vcc
	v_cmp_gt_i64_e32 vcc, s[4:5], v[6:7]
	s_and_b64 exec, exec, vcc
	s_cbranch_execz .LBB99_39
; %bb.30:
	s_add_u32 s6, s22, -1
	s_addc_u32 s7, s23, -1
	v_mov_b32_e32 v0, s6
	s_add_u32 s0, s22, -2
	v_mov_b32_e32 v1, s7
	s_addc_u32 s1, s23, -1
	v_cmp_lt_i64_e32 vcc, s[20:21], v[0:1]
	s_cmp_lg_u64 s[20:21], s[0:1]
	s_cselect_b64 s[0:1], -1, 0
	s_and_b64 s[0:1], vcc, s[0:1]
	v_cndmask_b32_e64 v0, 0, 1, s[0:1]
	s_mov_b64 s[8:9], 0
	v_cmp_ne_u32_e64 s[0:1], 1, v0
	v_mov_b32_e32 v12, s13
	v_mov_b32_e32 v13, s15
	s_branch .LBB99_32
.LBB99_31:                              ;   in Loop: Header=BB99_32 Depth=1
	s_or_b64 exec, exec, s[2:3]
	v_add_co_u32_e32 v6, vcc, 0x100, v6
	v_addc_co_u32_e32 v7, vcc, 0, v7, vcc
	v_cmp_le_i64_e32 vcc, s[4:5], v[6:7]
	s_or_b64 s[8:9], vcc, s[8:9]
	s_andn2_b64 exec, exec, s[8:9]
	s_cbranch_execz .LBB99_39
.LBB99_32:                              ; =>This Loop Header: Depth=1
                                        ;     Child Loop BB99_34 Depth 2
                                        ;     Child Loop BB99_38 Depth 2
	v_mov_b32_e32 v0, s20
	v_mov_b32_e32 v2, s6
	s_and_b64 vcc, exec, s[0:1]
	v_mov_b32_e32 v1, s21
	v_mov_b32_e32 v3, s7
	s_cbranch_vccnz .LBB99_36
; %bb.33:                               ;   in Loop: Header=BB99_32 Depth=1
	v_mov_b32_e32 v0, s20
	v_mov_b32_e32 v2, s6
	s_mov_b64 s[10:11], 0
	v_mov_b32_e32 v1, s21
	v_mov_b32_e32 v3, s7
.LBB99_34:                              ;   Parent Loop BB99_32 Depth=1
                                        ; =>  This Inner Loop Header: Depth=2
	v_add_co_u32_e32 v8, vcc, v2, v0
	v_addc_co_u32_e32 v9, vcc, v3, v1, vcc
	v_lshrrev_b32_e32 v10, 31, v9
	v_add_co_u32_e32 v8, vcc, v8, v10
	v_addc_co_u32_e32 v9, vcc, 0, v9, vcc
	v_ashrrev_i64 v[8:9], 1, v[8:9]
	v_mov_b32_e32 v14, s13
	v_lshlrev_b64 v[10:11], 3, v[8:9]
	v_add_co_u32_e32 v10, vcc, s12, v10
	v_addc_co_u32_e32 v11, vcc, v14, v11, vcc
	global_load_dwordx2 v[10:11], v[10:11], off
	s_waitcnt vmcnt(0)
	v_subrev_co_u32_e32 v10, vcc, s24, v10
	v_subbrev_co_u32_e32 v11, vcc, 0, v11, vcc
	v_cmp_lt_i64_e32 vcc, v[6:7], v[10:11]
	v_cndmask_b32_e32 v2, v2, v8, vcc
	v_cndmask_b32_e32 v3, v3, v9, vcc
	;; [unrolled: 1-line block ×3, first 2 shown]
	v_add_co_u32_e64 v8, s[2:3], -1, v2
	v_cndmask_b32_e32 v1, v9, v1, vcc
	v_addc_co_u32_e64 v9, s[2:3], -1, v3, s[2:3]
	v_cmp_ge_i64_e32 vcc, v[0:1], v[2:3]
	v_cmp_eq_u64_e64 s[2:3], v[0:1], v[8:9]
	s_or_b64 s[2:3], vcc, s[2:3]
	s_and_b64 s[2:3], exec, s[2:3]
	s_or_b64 s[10:11], s[2:3], s[10:11]
	s_andn2_b64 exec, exec, s[10:11]
	s_cbranch_execnz .LBB99_34
; %bb.35:                               ;   in Loop: Header=BB99_32 Depth=1
	s_or_b64 exec, exec, s[10:11]
.LBB99_36:                              ;   in Loop: Header=BB99_32 Depth=1
	v_lshlrev_b64 v[8:9], 3, v[2:3]
	v_lshlrev_b64 v[10:11], 3, v[6:7]
	v_add_co_u32_e32 v8, vcc, s12, v8
	v_addc_co_u32_e32 v9, vcc, v12, v9, vcc
	global_load_dwordx2 v[8:9], v[8:9], off
	v_add_co_u32_e32 v10, vcc, s14, v10
	v_addc_co_u32_e32 v11, vcc, v13, v11, vcc
	global_load_dwordx2 v[10:11], v[10:11], off
	s_waitcnt vmcnt(1)
	v_subrev_co_u32_e32 v8, vcc, s24, v8
	v_subbrev_co_u32_e32 v9, vcc, 0, v9, vcc
	v_cmp_lt_i64_e32 vcc, v[6:7], v[8:9]
	v_cndmask_b32_e32 v3, v3, v1, vcc
	v_cndmask_b32_e32 v2, v2, v0, vcc
	s_waitcnt vmcnt(0)
	v_subrev_co_u32_e32 v0, vcc, s24, v10
	v_subbrev_co_u32_e32 v1, vcc, 0, v11, vcc
	v_cmp_ne_u64_e32 vcc, v[0:1], v[2:3]
	s_and_saveexec_b64 s[2:3], vcc
	s_cbranch_execz .LBB99_31
; %bb.37:                               ;   in Loop: Header=BB99_32 Depth=1
	v_lshlrev_b64 v[8:9], 2, v[6:7]
	v_mov_b32_e32 v10, s17
	v_add_co_u32_e32 v8, vcc, s16, v8
	v_addc_co_u32_e32 v9, vcc, v10, v9, vcc
	global_load_dword v14, v[8:9], off
	v_lshlrev_b64 v[2:3], 3, v[2:3]
	v_mov_b32_e32 v8, s19
	v_add_co_u32_e32 v2, vcc, s18, v2
	v_addc_co_u32_e32 v3, vcc, v8, v3, vcc
	global_load_dwordx2 v[10:11], v[2:3], off
	v_lshlrev_b64 v[0:1], 3, v[0:1]
	v_mov_b32_e32 v2, s27
	v_add_co_u32_e32 v8, vcc, s26, v0
	v_addc_co_u32_e32 v9, vcc, v2, v1, vcc
	global_load_dwordx2 v[2:3], v[8:9], off
	s_mov_b64 s[10:11], 0
	s_waitcnt vmcnt(2)
	v_cvt_f64_f32_e32 v[0:1], v14
	v_mul_f64 v[0:1], v[4:5], v[0:1]
	s_waitcnt vmcnt(1)
	v_mul_f64 v[10:11], v[10:11], v[0:1]
.LBB99_38:                              ;   Parent Loop BB99_32 Depth=1
                                        ; =>  This Inner Loop Header: Depth=2
	s_waitcnt vmcnt(0)
	v_add_f64 v[0:1], v[2:3], v[10:11]
	global_atomic_cmpswap_x2 v[0:1], v[8:9], v[0:3], off glc
	s_waitcnt vmcnt(0)
	v_cmp_eq_u64_e32 vcc, v[0:1], v[2:3]
	v_mov_b32_e32 v3, v1
	s_or_b64 s[10:11], vcc, s[10:11]
	v_mov_b32_e32 v2, v0
	s_andn2_b64 exec, exec, s[10:11]
	s_cbranch_execnz .LBB99_38
	s_branch .LBB99_31
.LBB99_39:
	s_endpgm
	.section	.rodata,"a",@progbits
	.p2align	6, 0x0
	.amdhsa_kernel _ZL33csrmvn_symm_large_adaptive_kernelIllfdddEvbT_PKS0_N9rocsparse24const_host_device_scalarIT4_EES2_PKT0_PKT1_PKT2_S6_PT3_21rocsparse_index_base_b
		.amdhsa_group_segment_fixed_size 8192
		.amdhsa_private_segment_fixed_size 0
		.amdhsa_kernarg_size 88
		.amdhsa_user_sgpr_count 6
		.amdhsa_user_sgpr_private_segment_buffer 1
		.amdhsa_user_sgpr_dispatch_ptr 0
		.amdhsa_user_sgpr_queue_ptr 0
		.amdhsa_user_sgpr_kernarg_segment_ptr 1
		.amdhsa_user_sgpr_dispatch_id 0
		.amdhsa_user_sgpr_flat_scratch_init 0
		.amdhsa_user_sgpr_private_segment_size 0
		.amdhsa_uses_dynamic_stack 0
		.amdhsa_system_sgpr_private_segment_wavefront_offset 0
		.amdhsa_system_sgpr_workgroup_id_x 1
		.amdhsa_system_sgpr_workgroup_id_y 0
		.amdhsa_system_sgpr_workgroup_id_z 0
		.amdhsa_system_sgpr_workgroup_info 0
		.amdhsa_system_vgpr_workitem_id 0
		.amdhsa_next_free_vgpr 29
		.amdhsa_next_free_sgpr 61
		.amdhsa_reserve_vcc 1
		.amdhsa_reserve_flat_scratch 0
		.amdhsa_float_round_mode_32 0
		.amdhsa_float_round_mode_16_64 0
		.amdhsa_float_denorm_mode_32 3
		.amdhsa_float_denorm_mode_16_64 3
		.amdhsa_dx10_clamp 1
		.amdhsa_ieee_mode 1
		.amdhsa_fp16_overflow 0
		.amdhsa_exception_fp_ieee_invalid_op 0
		.amdhsa_exception_fp_denorm_src 0
		.amdhsa_exception_fp_ieee_div_zero 0
		.amdhsa_exception_fp_ieee_overflow 0
		.amdhsa_exception_fp_ieee_underflow 0
		.amdhsa_exception_fp_ieee_inexact 0
		.amdhsa_exception_int_div_zero 0
	.end_amdhsa_kernel
	.section	.text._ZL33csrmvn_symm_large_adaptive_kernelIllfdddEvbT_PKS0_N9rocsparse24const_host_device_scalarIT4_EES2_PKT0_PKT1_PKT2_S6_PT3_21rocsparse_index_base_b,"axG",@progbits,_ZL33csrmvn_symm_large_adaptive_kernelIllfdddEvbT_PKS0_N9rocsparse24const_host_device_scalarIT4_EES2_PKT0_PKT1_PKT2_S6_PT3_21rocsparse_index_base_b,comdat
.Lfunc_end99:
	.size	_ZL33csrmvn_symm_large_adaptive_kernelIllfdddEvbT_PKS0_N9rocsparse24const_host_device_scalarIT4_EES2_PKT0_PKT1_PKT2_S6_PT3_21rocsparse_index_base_b, .Lfunc_end99-_ZL33csrmvn_symm_large_adaptive_kernelIllfdddEvbT_PKS0_N9rocsparse24const_host_device_scalarIT4_EES2_PKT0_PKT1_PKT2_S6_PT3_21rocsparse_index_base_b
                                        ; -- End function
	.set _ZL33csrmvn_symm_large_adaptive_kernelIllfdddEvbT_PKS0_N9rocsparse24const_host_device_scalarIT4_EES2_PKT0_PKT1_PKT2_S6_PT3_21rocsparse_index_base_b.num_vgpr, 20
	.set _ZL33csrmvn_symm_large_adaptive_kernelIllfdddEvbT_PKS0_N9rocsparse24const_host_device_scalarIT4_EES2_PKT0_PKT1_PKT2_S6_PT3_21rocsparse_index_base_b.num_agpr, 0
	.set _ZL33csrmvn_symm_large_adaptive_kernelIllfdddEvbT_PKS0_N9rocsparse24const_host_device_scalarIT4_EES2_PKT0_PKT1_PKT2_S6_PT3_21rocsparse_index_base_b.numbered_sgpr, 40
	.set _ZL33csrmvn_symm_large_adaptive_kernelIllfdddEvbT_PKS0_N9rocsparse24const_host_device_scalarIT4_EES2_PKT0_PKT1_PKT2_S6_PT3_21rocsparse_index_base_b.num_named_barrier, 0
	.set _ZL33csrmvn_symm_large_adaptive_kernelIllfdddEvbT_PKS0_N9rocsparse24const_host_device_scalarIT4_EES2_PKT0_PKT1_PKT2_S6_PT3_21rocsparse_index_base_b.private_seg_size, 0
	.set _ZL33csrmvn_symm_large_adaptive_kernelIllfdddEvbT_PKS0_N9rocsparse24const_host_device_scalarIT4_EES2_PKT0_PKT1_PKT2_S6_PT3_21rocsparse_index_base_b.uses_vcc, 1
	.set _ZL33csrmvn_symm_large_adaptive_kernelIllfdddEvbT_PKS0_N9rocsparse24const_host_device_scalarIT4_EES2_PKT0_PKT1_PKT2_S6_PT3_21rocsparse_index_base_b.uses_flat_scratch, 0
	.set _ZL33csrmvn_symm_large_adaptive_kernelIllfdddEvbT_PKS0_N9rocsparse24const_host_device_scalarIT4_EES2_PKT0_PKT1_PKT2_S6_PT3_21rocsparse_index_base_b.has_dyn_sized_stack, 0
	.set _ZL33csrmvn_symm_large_adaptive_kernelIllfdddEvbT_PKS0_N9rocsparse24const_host_device_scalarIT4_EES2_PKT0_PKT1_PKT2_S6_PT3_21rocsparse_index_base_b.has_recursion, 0
	.set _ZL33csrmvn_symm_large_adaptive_kernelIllfdddEvbT_PKS0_N9rocsparse24const_host_device_scalarIT4_EES2_PKT0_PKT1_PKT2_S6_PT3_21rocsparse_index_base_b.has_indirect_call, 0
	.section	.AMDGPU.csdata,"",@progbits
; Kernel info:
; codeLenInByte = 1812
; TotalNumSgprs: 44
; NumVgprs: 20
; ScratchSize: 0
; MemoryBound: 0
; FloatMode: 240
; IeeeMode: 1
; LDSByteSize: 8192 bytes/workgroup (compile time only)
; SGPRBlocks: 8
; VGPRBlocks: 7
; NumSGPRsForWavesPerEU: 65
; NumVGPRsForWavesPerEU: 29
; Occupancy: 8
; WaveLimiterHint : 1
; COMPUTE_PGM_RSRC2:SCRATCH_EN: 0
; COMPUTE_PGM_RSRC2:USER_SGPR: 6
; COMPUTE_PGM_RSRC2:TRAP_HANDLER: 0
; COMPUTE_PGM_RSRC2:TGID_X_EN: 1
; COMPUTE_PGM_RSRC2:TGID_Y_EN: 0
; COMPUTE_PGM_RSRC2:TGID_Z_EN: 0
; COMPUTE_PGM_RSRC2:TIDIG_COMP_CNT: 0
	.section	.text._ZN9rocsparseL22csrmvn_adaptive_kernelIiid21rocsparse_complex_numIdES2_S2_EEvbT_PKS3_PjPKT0_NS_24const_host_device_scalarIT4_EES5_S9_PKT1_PKT2_SC_PT3_21rocsparse_index_base_b,"axG",@progbits,_ZN9rocsparseL22csrmvn_adaptive_kernelIiid21rocsparse_complex_numIdES2_S2_EEvbT_PKS3_PjPKT0_NS_24const_host_device_scalarIT4_EES5_S9_PKT1_PKT2_SC_PT3_21rocsparse_index_base_b,comdat
	.globl	_ZN9rocsparseL22csrmvn_adaptive_kernelIiid21rocsparse_complex_numIdES2_S2_EEvbT_PKS3_PjPKT0_NS_24const_host_device_scalarIT4_EES5_S9_PKT1_PKT2_SC_PT3_21rocsparse_index_base_b ; -- Begin function _ZN9rocsparseL22csrmvn_adaptive_kernelIiid21rocsparse_complex_numIdES2_S2_EEvbT_PKS3_PjPKT0_NS_24const_host_device_scalarIT4_EES5_S9_PKT1_PKT2_SC_PT3_21rocsparse_index_base_b
	.p2align	8
	.type	_ZN9rocsparseL22csrmvn_adaptive_kernelIiid21rocsparse_complex_numIdES2_S2_EEvbT_PKS3_PjPKT0_NS_24const_host_device_scalarIT4_EES5_S9_PKT1_PKT2_SC_PT3_21rocsparse_index_base_b,@function
_ZN9rocsparseL22csrmvn_adaptive_kernelIiid21rocsparse_complex_numIdES2_S2_EEvbT_PKS3_PjPKT0_NS_24const_host_device_scalarIT4_EES5_S9_PKT1_PKT2_SC_PT3_21rocsparse_index_base_b: ; @_ZN9rocsparseL22csrmvn_adaptive_kernelIiid21rocsparse_complex_numIdES2_S2_EEvbT_PKS3_PjPKT0_NS_24const_host_device_scalarIT4_EES5_S9_PKT1_PKT2_SC_PT3_21rocsparse_index_base_b
; %bb.0:
	s_load_dwordx2 s[0:1], s[4:5], 0x20
	s_load_dwordx2 s[38:39], s[4:5], 0x68
	s_add_u32 s7, s4, 32
	s_addc_u32 s8, s5, 0
	s_add_u32 s9, s4, 0x50
	s_addc_u32 s10, s5, 0
	s_waitcnt lgkmcnt(0)
	s_bitcmp1_b32 s39, 0
	s_cselect_b32 s1, s8, s1
	s_cselect_b32 s0, s7, s0
	v_mov_b32_e32 v1, s0
	v_mov_b32_e32 v2, s1
	flat_load_dwordx4 v[5:8], v[1:2]
	s_load_dwordx2 s[2:3], s[4:5], 0x50
	s_waitcnt lgkmcnt(0)
	s_cselect_b32 s0, s10, s3
	s_cselect_b32 s1, s9, s2
	v_mov_b32_e32 v1, s1
	v_mov_b32_e32 v2, s0
	flat_load_dwordx4 v[1:4], v[1:2]
	s_waitcnt vmcnt(0)
	v_cmp_eq_f64_e32 vcc, 0, v[5:6]
	v_cmp_eq_f64_e64 s[0:1], 0, v[7:8]
	s_and_b64 s[8:9], vcc, s[0:1]
	s_mov_b64 s[0:1], -1
	s_and_saveexec_b64 s[2:3], s[8:9]
	s_cbranch_execz .LBB100_2
; %bb.1:
	s_waitcnt lgkmcnt(0)
	v_cmp_neq_f64_e32 vcc, 1.0, v[1:2]
	v_cmp_neq_f64_e64 s[0:1], 0, v[3:4]
	s_or_b64 s[0:1], vcc, s[0:1]
	s_orn2_b64 s[0:1], s[0:1], exec
.LBB100_2:
	s_or_b64 exec, exec, s[2:3]
	s_and_saveexec_b64 s[2:3], s[0:1]
	s_cbranch_execz .LBB100_116
; %bb.3:
	s_load_dwordx2 s[0:1], s[4:5], 0x8
	s_load_dwordx2 s[8:9], s[4:5], 0x18
	s_ashr_i32 s7, s6, 31
	s_lshl_b64 s[42:43], s[6:7], 2
	s_waitcnt lgkmcnt(0)
	s_add_u32 s0, s0, s42
	s_addc_u32 s1, s1, s43
	s_load_dwordx2 s[34:35], s[0:1], 0x0
	s_load_dwordx2 s[22:23], s[4:5], 0x60
	s_load_dwordx8 s[24:31], s[4:5], 0x30
	s_waitcnt lgkmcnt(0)
	s_sub_i32 s2, s35, s34
	s_add_u32 s0, s8, s42
	s_mov_b32 s40, s34
	s_addc_u32 s1, s9, s43
	s_ashr_i32 s41, s34, 31
	s_load_dword s33, s[0:1], 0x0
	s_lshl_b64 s[0:1], s[40:41], 2
	s_add_u32 s36, s24, s0
	s_addc_u32 s37, s25, s1
	s_load_dword s39, s[36:37], 0x0
	s_cmp_lt_i32 s2, 2
	s_mov_b64 s[0:1], -1
	s_cbranch_scc0 .LBB100_72
; %bb.4:
	s_cmp_lg_u32 s2, 1
	s_cselect_b64 s[0:1], -1, 0
	s_waitcnt lgkmcnt(0)
	s_cmp_lg_u32 s33, 0
	s_cselect_b64 s[2:3], -1, 0
	s_or_b64 s[0:1], s[0:1], s[2:3]
	s_mov_b64 s[18:19], -1
	s_and_b64 vcc, exec, s[0:1]
	v_cmp_gt_u32_e64 s[0:1], 64, v0
	v_cmp_gt_u32_e64 s[2:3], 32, v0
	v_cmp_gt_u32_e64 s[8:9], 16, v0
	v_cmp_gt_u32_e64 s[10:11], 8, v0
	v_cmp_gt_u32_e64 s[12:13], 4, v0
	v_cmp_gt_u32_e64 s[14:15], 2, v0
	v_cmp_eq_u32_e64 s[16:17], 0, v0
	s_cbranch_vccnz .LBB100_32
; %bb.5:
	s_mov_b32 s18, 0
	v_cmp_neq_f64_e32 vcc, 0, v[1:2]
	v_cmp_neq_f64_e64 s[20:21], 0, v[3:4]
	s_brev_b32 s19, 1
	v_mul_f64 v[13:14], v[7:8], s[18:19]
	v_mul_f64 v[15:16], v[5:6], 0
	s_movk_i32 s7, 0x80
	v_subrev_u32_e32 v23, s38, v0
	v_lshlrev_b32_e32 v24, 4, v0
	v_cmp_gt_u32_e64 s[18:19], s7, v0
	s_or_b64 s[44:45], vcc, s[20:21]
	v_mov_b32_e32 v25, 0
	s_mov_b32 s46, s34
	s_branch .LBB100_8
.LBB100_6:                              ;   in Loop: Header=BB100_8 Depth=1
	s_or_b64 exec, exec, s[48:49]
	s_lshl_b64 s[48:49], s[46:47], 4
	s_add_u32 s48, s22, s48
	s_addc_u32 s49, s23, s49
	s_waitcnt lgkmcnt(0)
	global_store_dwordx4 v25, v[9:12], s[48:49]
.LBB100_7:                              ;   in Loop: Header=BB100_8 Depth=1
	s_or_b64 exec, exec, s[20:21]
	s_add_i32 s46, s46, 1
	s_cmp_ge_i32 s46, s35
	s_cbranch_scc1 .LBB100_31
.LBB100_8:                              ; =>This Loop Header: Depth=1
                                        ;     Child Loop BB100_10 Depth 2
	s_ashr_i32 s47, s46, 31
	s_lshl_b64 s[20:21], s[46:47], 2
	s_add_u32 s20, s24, s20
	s_addc_u32 s21, s25, s21
	s_load_dwordx2 s[48:49], s[20:21], 0x0
	v_mov_b32_e32 v11, 0
	v_mov_b32_e32 v9, 0
	;; [unrolled: 1-line block ×4, first 2 shown]
	s_waitcnt lgkmcnt(0)
	s_sub_i32 s7, s49, s38
	v_add_u32_e32 v17, s48, v23
	v_cmp_gt_i32_e32 vcc, s7, v17
	s_and_saveexec_b64 s[48:49], vcc
	s_cbranch_execz .LBB100_12
; %bb.9:                                ;   in Loop: Header=BB100_8 Depth=1
	v_ashrrev_i32_e32 v18, 31, v17
	v_lshlrev_b64 v[9:10], 3, v[17:18]
	v_mov_b32_e32 v11, s29
	v_add_co_u32_e32 v19, vcc, s28, v9
	v_addc_co_u32_e32 v20, vcc, v11, v10, vcc
	v_lshlrev_b64 v[9:10], 2, v[17:18]
	v_mov_b32_e32 v11, s27
	v_add_co_u32_e32 v21, vcc, s26, v9
	v_addc_co_u32_e32 v22, vcc, v11, v10, vcc
	v_mov_b32_e32 v11, 0
	v_mov_b32_e32 v12, 0
	;; [unrolled: 1-line block ×3, first 2 shown]
	s_mov_b64 s[50:51], 0
	v_mov_b32_e32 v10, v12
.LBB100_10:                             ;   Parent Loop BB100_8 Depth=1
                                        ; =>  This Inner Loop Header: Depth=2
	global_load_dword v18, v[21:22], off
	global_load_dwordx2 v[30:31], v[19:20], off
	v_mov_b32_e32 v28, s31
	v_add_u32_e32 v17, 0x100, v17
	v_cmp_le_i32_e64 s[20:21], s7, v17
	s_or_b64 s[50:51], s[20:21], s[50:51]
	s_waitcnt vmcnt(1)
	v_subrev_u32_e32 v26, s38, v18
	v_ashrrev_i32_e32 v27, 31, v26
	v_lshlrev_b64 v[26:27], 4, v[26:27]
	s_waitcnt vmcnt(0)
	v_fma_f64 v[32:33], v[5:6], v[30:31], v[13:14]
	v_add_co_u32_e32 v26, vcc, s30, v26
	v_addc_co_u32_e32 v27, vcc, v28, v27, vcc
	global_load_dwordx4 v[26:29], v[26:27], off
	v_fma_f64 v[30:31], v[7:8], v[30:31], v[15:16]
	v_add_co_u32_e32 v19, vcc, 0x800, v19
	v_addc_co_u32_e32 v20, vcc, 0, v20, vcc
	v_add_co_u32_e32 v21, vcc, 0x400, v21
	v_addc_co_u32_e32 v22, vcc, 0, v22, vcc
	s_waitcnt vmcnt(0)
	v_fma_f64 v[9:10], v[32:33], v[26:27], v[9:10]
	v_fma_f64 v[11:12], v[30:31], v[26:27], v[11:12]
	v_fma_f64 v[9:10], -v[30:31], v[28:29], v[9:10]
	v_fma_f64 v[11:12], v[32:33], v[28:29], v[11:12]
	s_andn2_b64 exec, exec, s[50:51]
	s_cbranch_execnz .LBB100_10
; %bb.11:                               ;   in Loop: Header=BB100_8 Depth=1
	s_or_b64 exec, exec, s[50:51]
.LBB100_12:                             ;   in Loop: Header=BB100_8 Depth=1
	s_or_b64 exec, exec, s[48:49]
	ds_write_b128 v24, v[9:12]
	s_waitcnt vmcnt(0) lgkmcnt(0)
	s_barrier
	s_and_saveexec_b64 s[20:21], s[18:19]
	s_cbranch_execz .LBB100_14
; %bb.13:                               ;   in Loop: Header=BB100_8 Depth=1
	ds_read_b128 v[9:12], v24 offset:2048
	ds_read_b128 v[17:20], v24
	s_waitcnt lgkmcnt(0)
	v_add_f64 v[9:10], v[9:10], v[17:18]
	v_add_f64 v[11:12], v[11:12], v[19:20]
	ds_write_b128 v24, v[9:12]
.LBB100_14:                             ;   in Loop: Header=BB100_8 Depth=1
	s_or_b64 exec, exec, s[20:21]
	s_waitcnt lgkmcnt(0)
	s_barrier
	s_and_saveexec_b64 s[20:21], s[0:1]
	s_cbranch_execz .LBB100_16
; %bb.15:                               ;   in Loop: Header=BB100_8 Depth=1
	ds_read_b128 v[9:12], v24 offset:1024
	ds_read_b128 v[17:20], v24
	s_waitcnt lgkmcnt(0)
	v_add_f64 v[9:10], v[9:10], v[17:18]
	v_add_f64 v[11:12], v[11:12], v[19:20]
	ds_write_b128 v24, v[9:12]
.LBB100_16:                             ;   in Loop: Header=BB100_8 Depth=1
	s_or_b64 exec, exec, s[20:21]
	s_waitcnt lgkmcnt(0)
	;; [unrolled: 13-line block ×6, first 2 shown]
	s_barrier
	s_and_saveexec_b64 s[20:21], s[14:15]
	s_cbranch_execz .LBB100_26
; %bb.25:                               ;   in Loop: Header=BB100_8 Depth=1
	ds_read_b128 v[9:12], v24
	ds_read_b128 v[17:20], v24 offset:32
	s_waitcnt lgkmcnt(0)
	v_add_f64 v[9:10], v[17:18], v[9:10]
	v_add_f64 v[11:12], v[19:20], v[11:12]
	ds_write_b128 v24, v[9:12]
.LBB100_26:                             ;   in Loop: Header=BB100_8 Depth=1
	s_or_b64 exec, exec, s[20:21]
	s_waitcnt lgkmcnt(0)
	s_barrier
	s_and_saveexec_b64 s[20:21], s[16:17]
	s_cbranch_execz .LBB100_28
; %bb.27:                               ;   in Loop: Header=BB100_8 Depth=1
	ds_read_b128 v[9:12], v25
	ds_read_b128 v[17:20], v25 offset:16
	s_waitcnt lgkmcnt(0)
	v_add_f64 v[9:10], v[17:18], v[9:10]
	v_add_f64 v[11:12], v[19:20], v[11:12]
	ds_write_b128 v25, v[9:12]
.LBB100_28:                             ;   in Loop: Header=BB100_8 Depth=1
	s_or_b64 exec, exec, s[20:21]
	s_waitcnt lgkmcnt(0)
	s_barrier
	s_and_saveexec_b64 s[20:21], s[16:17]
	s_cbranch_execz .LBB100_7
; %bb.29:                               ;   in Loop: Header=BB100_8 Depth=1
	ds_read_b128 v[9:12], v25
	s_and_saveexec_b64 s[48:49], s[44:45]
	s_cbranch_execz .LBB100_6
; %bb.30:                               ;   in Loop: Header=BB100_8 Depth=1
	s_lshl_b64 s[50:51], s[46:47], 4
	s_add_u32 s50, s22, s50
	s_addc_u32 s51, s23, s51
	global_load_dwordx4 v[17:20], v25, s[50:51]
	s_waitcnt vmcnt(0) lgkmcnt(0)
	v_fma_f64 v[9:10], v[1:2], v[17:18], v[9:10]
	v_fma_f64 v[11:12], v[3:4], v[17:18], v[11:12]
	v_fma_f64 v[9:10], -v[3:4], v[19:20], v[9:10]
	v_fma_f64 v[11:12], v[1:2], v[19:20], v[11:12]
	s_branch .LBB100_6
.LBB100_31:
	s_mov_b64 s[18:19], 0
.LBB100_32:
	s_and_b64 vcc, exec, s[18:19]
	s_cbranch_vccz .LBB100_71
; %bb.33:
	s_load_dwordx2 s[8:9], s[4:5], 0x10
	s_sub_i32 s6, s6, s33
	v_mov_b32_e32 v13, 0
	v_or_b32_e32 v14, s33, v0
	v_mov_b32_e32 v9, 0
	s_waitcnt lgkmcnt(0)
	s_add_u32 s2, s8, s42
	s_addc_u32 s3, s9, s43
	global_load_dword v23, v13, s[2:3]
	v_mov_b32_e32 v11, 0
	v_mov_b32_e32 v10, 0
	;; [unrolled: 1-line block ×3, first 2 shown]
	v_cmp_eq_u32_e32 vcc, 0, v14
	s_and_saveexec_b64 s[0:1], vcc
	s_cbranch_execz .LBB100_37
; %bb.34:
	s_lshl_b64 s[12:13], s[40:41], 4
	s_add_u32 s12, s22, s12
	s_addc_u32 s13, s23, s13
	global_load_dwordx4 v[11:14], v13, s[12:13]
	v_add_f64 v[9:10], v[1:2], -1.0
	s_mov_b64 s[10:11], exec
	v_mbcnt_lo_u32_b32 v17, s10, 0
	v_mbcnt_hi_u32_b32 v17, s11, v17
	v_cmp_eq_u32_e32 vcc, 0, v17
	s_waitcnt vmcnt(0) expcnt(0) lgkmcnt(0)
	v_mul_f64 v[15:16], v[13:14], -v[3:4]
	v_mul_f64 v[13:14], v[9:10], v[13:14]
	s_and_saveexec_b64 s[12:13], vcc
	s_cbranch_execz .LBB100_36
; %bb.35:
	s_ashr_i32 s7, s6, 31
	s_lshl_b64 s[14:15], s[6:7], 2
	s_add_u32 s14, s8, s14
	s_addc_u32 s15, s9, s15
	s_bcnt1_i32_b64 s7, s[10:11]
	s_and_b32 s7, s7, 1
	v_mov_b32_e32 v17, 0
	v_mov_b32_e32 v18, s7
	global_atomic_xor v17, v18, s[14:15]
.LBB100_36:
	s_or_b64 exec, exec, s[12:13]
	v_fma_f64 v[9:10], v[9:10], v[11:12], v[15:16]
	v_fma_f64 v[11:12], v[3:4], v[11:12], v[13:14]
.LBB100_37:
	s_or_b64 exec, exec, s[0:1]
	s_load_dword s1, s[36:37], 0x4
	s_mul_i32 s0, s33, 0xc00
	s_sub_i32 s7, s39, s38
	s_add_i32 s0, s7, s0
	v_add_u32_e32 v13, s0, v0
	s_waitcnt lgkmcnt(0)
	s_sub_i32 s1, s1, s38
	v_cmp_gt_i32_e32 vcc, s1, v13
	s_and_saveexec_b64 s[10:11], vcc
	s_cbranch_execz .LBB100_41
; %bb.38:
	s_addk_i32 s0, 0xc00
	s_min_i32 s7, s0, s1
	s_mov_b32 s0, 0
	s_brev_b32 s1, 1
	v_mul_f64 v[15:16], v[7:8], s[0:1]
	v_mul_f64 v[17:18], v[5:6], 0
	v_ashrrev_i32_e32 v14, 31, v13
	v_lshlrev_b64 v[19:20], 3, v[13:14]
	v_mov_b32_e32 v21, s29
	v_add_co_u32_e32 v19, vcc, s28, v19
	v_addc_co_u32_e32 v20, vcc, v21, v20, vcc
	v_lshlrev_b64 v[21:22], 2, v[13:14]
	v_mov_b32_e32 v14, s27
	v_add_co_u32_e32 v21, vcc, s26, v21
	s_mov_b64 s[12:13], 0
	v_addc_co_u32_e32 v22, vcc, v14, v22, vcc
	v_mov_b32_e32 v14, s31
.LBB100_39:                             ; =>This Inner Loop Header: Depth=1
	global_load_dword v24, v[21:22], off
	global_load_dwordx2 v[28:29], v[19:20], off
	v_add_u32_e32 v13, 0x100, v13
	v_cmp_le_i32_e64 s[0:1], s7, v13
	s_or_b64 s[12:13], s[0:1], s[12:13]
	s_waitcnt vmcnt(1)
	v_subrev_u32_e32 v24, s38, v24
	v_ashrrev_i32_e32 v25, 31, v24
	v_lshlrev_b64 v[24:25], 4, v[24:25]
	s_waitcnt vmcnt(0)
	v_fma_f64 v[30:31], v[5:6], v[28:29], v[15:16]
	v_add_co_u32_e32 v24, vcc, s30, v24
	v_addc_co_u32_e32 v25, vcc, v14, v25, vcc
	global_load_dwordx4 v[24:27], v[24:25], off
	v_fma_f64 v[28:29], v[7:8], v[28:29], v[17:18]
	v_add_co_u32_e32 v19, vcc, 0x800, v19
	v_addc_co_u32_e32 v20, vcc, 0, v20, vcc
	v_add_co_u32_e32 v21, vcc, 0x400, v21
	v_addc_co_u32_e32 v22, vcc, 0, v22, vcc
	s_waitcnt vmcnt(0)
	v_fma_f64 v[9:10], v[30:31], v[24:25], v[9:10]
	v_fma_f64 v[11:12], v[28:29], v[24:25], v[11:12]
	v_fma_f64 v[9:10], -v[28:29], v[26:27], v[9:10]
	v_fma_f64 v[11:12], v[30:31], v[26:27], v[11:12]
	s_andn2_b64 exec, exec, s[12:13]
	s_cbranch_execnz .LBB100_39
; %bb.40:
	s_or_b64 exec, exec, s[12:13]
.LBB100_41:
	s_or_b64 exec, exec, s[10:11]
	s_movk_i32 s0, 0x80
	v_lshlrev_b32_e32 v13, 4, v0
	v_cmp_gt_u32_e32 vcc, s0, v0
	ds_write_b128 v13, v[9:12]
	s_waitcnt vmcnt(0) lgkmcnt(0)
	s_barrier
	s_and_saveexec_b64 s[0:1], vcc
	s_cbranch_execz .LBB100_43
; %bb.42:
	ds_read_b128 v[9:12], v13 offset:2048
	ds_read_b128 v[14:17], v13
	s_waitcnt lgkmcnt(0)
	v_add_f64 v[9:10], v[9:10], v[14:15]
	v_add_f64 v[11:12], v[11:12], v[16:17]
	ds_write_b128 v13, v[9:12]
.LBB100_43:
	s_or_b64 exec, exec, s[0:1]
	v_cmp_gt_u32_e32 vcc, 64, v0
	s_waitcnt lgkmcnt(0)
	s_barrier
	s_and_saveexec_b64 s[0:1], vcc
	s_cbranch_execz .LBB100_45
; %bb.44:
	ds_read_b128 v[9:12], v13 offset:1024
	ds_read_b128 v[14:17], v13
	s_waitcnt lgkmcnt(0)
	v_add_f64 v[9:10], v[9:10], v[14:15]
	v_add_f64 v[11:12], v[11:12], v[16:17]
	ds_write_b128 v13, v[9:12]
.LBB100_45:
	s_or_b64 exec, exec, s[0:1]
	v_cmp_gt_u32_e32 vcc, 32, v0
	s_waitcnt lgkmcnt(0)
	;; [unrolled: 14-line block ×6, first 2 shown]
	s_barrier
	s_and_saveexec_b64 s[0:1], vcc
	s_cbranch_execz .LBB100_55
; %bb.54:
	ds_read_b128 v[9:12], v13
	ds_read_b128 v[14:17], v13 offset:32
	s_waitcnt lgkmcnt(0)
	v_add_f64 v[9:10], v[14:15], v[9:10]
	v_add_f64 v[11:12], v[16:17], v[11:12]
	ds_write_b128 v13, v[9:12]
.LBB100_55:
	s_or_b64 exec, exec, s[0:1]
	v_cmp_eq_u32_e32 vcc, 0, v0
	s_waitcnt lgkmcnt(0)
	s_barrier
	s_and_saveexec_b64 s[0:1], vcc
	s_cbranch_execz .LBB100_57
; %bb.56:
	v_mov_b32_e32 v17, 0
	ds_read_b128 v[9:12], v17
	ds_read_b128 v[13:16], v17 offset:16
	s_waitcnt lgkmcnt(0)
	v_add_f64 v[9:10], v[13:14], v[9:10]
	v_add_f64 v[11:12], v[15:16], v[11:12]
	ds_write_b128 v17, v[9:12]
.LBB100_57:
	s_or_b64 exec, exec, s[0:1]
	s_waitcnt lgkmcnt(0)
	s_barrier
	s_and_saveexec_b64 s[0:1], vcc
	s_cbranch_execz .LBB100_70
; %bb.58:
	s_cmp_eq_u32 s33, 0
	s_cbranch_scc1 .LBB100_64
; %bb.59:
	s_ashr_i32 s7, s6, 31
	s_lshl_b64 s[6:7], s[6:7], 2
	s_add_u32 s6, s8, s6
	s_addc_u32 s7, s9, s7
	v_mov_b32_e32 v9, 0
	s_branch .LBB100_61
.LBB100_60:                             ;   in Loop: Header=BB100_61 Depth=1
	s_or_b64 exec, exec, s[8:9]
	s_waitcnt vmcnt(0)
	v_readfirstlane_b32 s8, v10
	v_cmp_eq_u32_e32 vcc, s8, v23
	s_cbranch_vccz .LBB100_63
.LBB100_61:                             ; =>This Inner Loop Header: Depth=1
	v_mbcnt_lo_u32_b32 v10, exec_lo, 0
	v_mbcnt_hi_u32_b32 v10, exec_hi, v10
	v_cmp_eq_u32_e32 vcc, 0, v10
                                        ; implicit-def: $vgpr10
	s_and_saveexec_b64 s[8:9], vcc
	s_cbranch_execz .LBB100_60
; %bb.62:                               ;   in Loop: Header=BB100_61 Depth=1
	global_load_dword v10, v9, s[6:7] glc
	s_branch .LBB100_60
.LBB100_63:
	v_mov_b32_e32 v9, 0
	global_load_ushort v10, v9, s[2:3]
	s_waitcnt vmcnt(0)
	v_xor_b32_e32 v10, 1, v10
	global_store_short v9, v10, s[2:3]
.LBB100_64:
	v_mov_b32_e32 v17, 0
	ds_read_b128 v[9:12], v17
	s_mov_b64 s[8:9], exec
	s_lshl_b64 s[2:3], s[40:41], 4
	v_mbcnt_lo_u32_b32 v13, s8, 0
	s_add_u32 s2, s22, s2
	v_mbcnt_hi_u32_b32 v13, s9, v13
	s_addc_u32 s3, s23, s3
	v_cmp_eq_u32_e32 vcc, 0, v13
	s_and_saveexec_b64 s[6:7], vcc
	s_cbranch_execz .LBB100_67
; %bb.65:
	global_load_dwordx2 v[15:16], v17, s[2:3]
	s_bcnt1_i32_b64 s8, s[8:9]
	v_cvt_f64_u32_e32 v[13:14], s8
	s_mov_b64 s[8:9], 0
	s_waitcnt lgkmcnt(0)
	v_mul_f64 v[9:10], v[9:10], v[13:14]
.LBB100_66:                             ; =>This Inner Loop Header: Depth=1
	s_waitcnt vmcnt(0)
	v_add_f64 v[13:14], v[15:16], v[9:10]
	global_atomic_cmpswap_x2 v[13:14], v17, v[13:16], s[2:3] glc
	s_waitcnt vmcnt(0)
	v_cmp_eq_u64_e32 vcc, v[13:14], v[15:16]
	v_mov_b32_e32 v16, v14
	s_or_b64 s[8:9], vcc, s[8:9]
	v_mov_b32_e32 v15, v13
	s_andn2_b64 exec, exec, s[8:9]
	s_cbranch_execnz .LBB100_66
.LBB100_67:
	s_or_b64 exec, exec, s[6:7]
	s_mov_b64 s[6:7], exec
	s_waitcnt lgkmcnt(0)
	v_mbcnt_lo_u32_b32 v9, s6, 0
	v_mbcnt_hi_u32_b32 v9, s7, v9
	v_cmp_eq_u32_e32 vcc, 0, v9
	s_and_b64 s[8:9], exec, vcc
	s_mov_b64 exec, s[8:9]
	s_cbranch_execz .LBB100_70
; %bb.68:
	v_mov_b32_e32 v15, 0
	global_load_dwordx2 v[13:14], v15, s[2:3] offset:8
	s_bcnt1_i32_b64 s6, s[6:7]
	v_cvt_f64_u32_e32 v[9:10], s6
	s_mov_b64 s[6:7], 0
	v_mul_f64 v[9:10], v[11:12], v[9:10]
.LBB100_69:                             ; =>This Inner Loop Header: Depth=1
	s_waitcnt vmcnt(0)
	v_add_f64 v[11:12], v[13:14], v[9:10]
	global_atomic_cmpswap_x2 v[11:12], v15, v[11:14], s[2:3] offset:8 glc
	s_waitcnt vmcnt(0)
	v_cmp_eq_u64_e32 vcc, v[11:12], v[13:14]
	v_mov_b32_e32 v14, v12
	s_or_b64 s[6:7], vcc, s[6:7]
	v_mov_b32_e32 v13, v11
	s_andn2_b64 exec, exec, s[6:7]
	s_cbranch_execnz .LBB100_69
.LBB100_70:
	s_or_b64 exec, exec, s[0:1]
.LBB100_71:
	s_mov_b64 s[0:1], 0
.LBB100_72:
	s_andn2_b64 vcc, exec, s[0:1]
	s_cbranch_vccnz .LBB100_116
; %bb.73:
	s_load_dword s0, s[4:5], 0x4
	v_subrev_u32_e32 v9, s38, v0
	s_waitcnt lgkmcnt(0)
	v_add_u32_e32 v9, s39, v9
	v_add_u32_e32 v10, 0x300, v9
	v_cmp_le_i32_e32 vcc, s0, v10
	s_and_saveexec_b64 s[0:1], vcc
	s_xor_b64 s[0:1], exec, s[0:1]
	s_cbranch_execz .LBB100_78
; %bb.74:
	s_ashr_i32 s3, s35, 31
	s_mov_b32 s2, s35
	s_lshl_b64 s[2:3], s[2:3], 2
	s_add_u32 s2, s24, s2
	s_addc_u32 s3, s25, s3
	s_load_dword s2, s[2:3], 0x0
	s_waitcnt lgkmcnt(0)
	s_sub_i32 s6, s2, s38
	v_cmp_gt_i32_e32 vcc, s6, v9
	s_and_saveexec_b64 s[2:3], vcc
	s_cbranch_execz .LBB100_77
; %bb.75:
	s_mov_b32 s4, 0
	s_brev_b32 s5, 1
	v_mul_f64 v[11:12], v[7:8], s[4:5]
	v_mul_f64 v[13:14], v[5:6], 0
	s_mov_b64 s[4:5], 0
	v_lshlrev_b32_e32 v15, 4, v0
	v_mov_b32_e32 v16, s29
	v_mov_b32_e32 v17, s27
	;; [unrolled: 1-line block ×3, first 2 shown]
.LBB100_76:                             ; =>This Inner Loop Header: Depth=1
	v_ashrrev_i32_e32 v10, 31, v9
	v_lshlrev_b64 v[19:20], 2, v[9:10]
	v_add_co_u32_e32 v19, vcc, s26, v19
	v_addc_co_u32_e32 v20, vcc, v17, v20, vcc
	global_load_dword v21, v[19:20], off
	v_lshlrev_b64 v[19:20], 3, v[9:10]
	v_add_u32_e32 v9, 0x100, v9
	v_add_co_u32_e32 v19, vcc, s28, v19
	v_addc_co_u32_e32 v20, vcc, v16, v20, vcc
	global_load_dwordx2 v[23:24], v[19:20], off
	s_waitcnt vmcnt(1)
	v_subrev_u32_e32 v19, s38, v21
	v_ashrrev_i32_e32 v20, 31, v19
	v_lshlrev_b64 v[19:20], 4, v[19:20]
	v_add_co_u32_e32 v19, vcc, s30, v19
	v_addc_co_u32_e32 v20, vcc, v18, v20, vcc
	global_load_dwordx4 v[19:22], v[19:20], off
	s_waitcnt vmcnt(1)
	v_fma_f64 v[25:26], v[7:8], v[23:24], v[13:14]
	v_fma_f64 v[23:24], v[5:6], v[23:24], v[11:12]
	v_cmp_le_i32_e32 vcc, s6, v9
	s_or_b64 s[4:5], vcc, s[4:5]
	s_waitcnt vmcnt(0)
	v_mul_f64 v[27:28], v[21:22], -v[25:26]
	v_mul_f64 v[29:30], v[23:24], v[21:22]
	v_fma_f64 v[21:22], v[23:24], v[19:20], v[27:28]
	v_fma_f64 v[23:24], v[25:26], v[19:20], v[29:30]
	ds_write_b128 v15, v[21:24]
	v_add_u32_e32 v15, 0x1000, v15
	s_andn2_b64 exec, exec, s[4:5]
	s_cbranch_execnz .LBB100_76
.LBB100_77:
	s_or_b64 exec, exec, s[2:3]
                                        ; implicit-def: $vgpr7_vgpr8
                                        ; implicit-def: $vgpr9
.LBB100_78:
	s_or_saveexec_b64 s[0:1], s[0:1]
	v_lshlrev_b32_e32 v13, 4, v0
	s_xor_b64 exec, exec, s[0:1]
	s_cbranch_execz .LBB100_80
; %bb.79:
	v_ashrrev_i32_e32 v10, 31, v9
	v_lshlrev_b64 v[11:12], 2, v[9:10]
	v_mov_b32_e32 v14, s27
	v_add_co_u32_e32 v11, vcc, s26, v11
	v_addc_co_u32_e32 v12, vcc, v14, v12, vcc
	global_load_dword v14, v[11:12], off
	global_load_dword v15, v[11:12], off offset:1024
	global_load_dword v16, v[11:12], off offset:2048
	;; [unrolled: 1-line block ×3, first 2 shown]
	v_lshlrev_b64 v[9:10], 3, v[9:10]
	v_mov_b32_e32 v11, s29
	v_add_co_u32_e32 v9, vcc, s28, v9
	s_movk_i32 s2, 0x1000
	v_addc_co_u32_e32 v10, vcc, v11, v10, vcc
	global_load_dwordx2 v[26:27], v[9:10], off
	global_load_dwordx2 v[28:29], v[9:10], off offset:2048
	v_add_co_u32_e32 v9, vcc, s2, v9
	v_addc_co_u32_e32 v10, vcc, 0, v10, vcc
	global_load_dwordx2 v[30:31], v[9:10], off
	global_load_dwordx2 v[32:33], v[9:10], off offset:2048
	v_mov_b32_e32 v18, s31
	v_mov_b32_e32 v19, s31
	;; [unrolled: 1-line block ×4, first 2 shown]
	s_mov_b32 s2, 0
	s_brev_b32 s3, 1
	s_waitcnt vmcnt(7)
	v_subrev_u32_e32 v9, s38, v14
	v_ashrrev_i32_e32 v10, 31, v9
	s_waitcnt vmcnt(6)
	v_subrev_u32_e32 v11, s38, v15
	v_lshlrev_b64 v[9:10], 4, v[9:10]
	v_ashrrev_i32_e32 v12, 31, v11
	s_waitcnt vmcnt(5)
	v_subrev_u32_e32 v14, s38, v16
	v_lshlrev_b64 v[11:12], 4, v[11:12]
	v_add_co_u32_e32 v24, vcc, s30, v9
	v_ashrrev_i32_e32 v15, 31, v14
	v_addc_co_u32_e32 v25, vcc, v18, v10, vcc
	s_waitcnt vmcnt(4)
	v_subrev_u32_e32 v16, s38, v17
	v_lshlrev_b64 v[14:15], 4, v[14:15]
	v_add_co_u32_e32 v34, vcc, s30, v11
	v_ashrrev_i32_e32 v17, 31, v16
	v_addc_co_u32_e32 v35, vcc, v19, v12, vcc
	v_lshlrev_b64 v[22:23], 4, v[16:17]
	v_add_co_u32_e32 v36, vcc, s30, v14
	v_addc_co_u32_e32 v37, vcc, v20, v15, vcc
	v_add_co_u32_e32 v22, vcc, s30, v22
	global_load_dwordx4 v[9:12], v[24:25], off
	global_load_dwordx4 v[14:17], v[34:35], off
	;; [unrolled: 1-line block ×3, first 2 shown]
	v_addc_co_u32_e32 v23, vcc, v38, v23, vcc
	global_load_dwordx4 v[22:25], v[22:23], off
	v_mul_f64 v[34:35], v[5:6], 0
	v_mul_f64 v[36:37], v[7:8], s[2:3]
	s_waitcnt vmcnt(7)
	v_fma_f64 v[38:39], v[7:8], v[26:27], v[34:35]
	v_fma_f64 v[26:27], v[5:6], v[26:27], v[36:37]
	s_waitcnt vmcnt(6)
	v_fma_f64 v[40:41], v[7:8], v[28:29], v[34:35]
	v_fma_f64 v[28:29], v[5:6], v[28:29], v[36:37]
	;; [unrolled: 3-line block ×4, first 2 shown]
	s_waitcnt vmcnt(3)
	v_mul_f64 v[5:6], v[11:12], -v[38:39]
	v_mul_f64 v[7:8], v[26:27], v[11:12]
	s_waitcnt vmcnt(2)
	v_mul_f64 v[11:12], v[16:17], -v[40:41]
	v_mul_f64 v[16:17], v[28:29], v[16:17]
	;; [unrolled: 3-line block ×4, first 2 shown]
	v_fma_f64 v[5:6], v[26:27], v[9:10], v[5:6]
	v_fma_f64 v[7:8], v[38:39], v[9:10], v[7:8]
	v_fma_f64 v[9:10], v[28:29], v[14:15], v[11:12]
	v_fma_f64 v[11:12], v[40:41], v[14:15], v[16:17]
	v_fma_f64 v[14:15], v[30:31], v[18:19], v[36:37]
	v_fma_f64 v[16:17], v[42:43], v[18:19], v[20:21]
	v_fma_f64 v[18:19], v[32:33], v[22:23], v[44:45]
	v_fma_f64 v[20:21], v[34:35], v[22:23], v[24:25]
	ds_write_b128 v13, v[5:8]
	ds_write_b128 v13, v[9:12] offset:4096
	ds_write_b128 v13, v[14:17] offset:8192
	;; [unrolled: 1-line block ×3, first 2 shown]
.LBB100_80:
	s_or_b64 exec, exec, s[0:1]
	s_cmp_lt_i32 s33, 2
	s_mov_b64 s[0:1], -1
	s_waitcnt vmcnt(0) lgkmcnt(0)
	s_barrier
	s_cbranch_scc0 .LBB100_91
; %bb.81:
	v_add_u32_e32 v9, s34, v0
	v_cmp_gt_i32_e32 vcc, s35, v9
	s_and_saveexec_b64 s[2:3], vcc
	s_cbranch_execz .LBB100_90
; %bb.82:
	v_cmp_neq_f64_e32 vcc, 0, v[1:2]
	v_cmp_neq_f64_e64 s[0:1], 0, v[3:4]
	s_lshl_b32 s6, s39, 4
	s_mov_b64 s[4:5], 0
	v_mov_b32_e32 v14, s25
	s_sub_i32 s10, 0, s6
	v_mov_b32_e32 v15, s23
	s_or_b64 s[0:1], vcc, s[0:1]
	s_branch .LBB100_84
.LBB100_83:                             ;   in Loop: Header=BB100_84 Depth=1
	s_or_b64 exec, exec, s[6:7]
	v_add_co_u32_e32 v10, vcc, s22, v10
	v_addc_co_u32_e32 v11, vcc, v15, v11, vcc
	v_add_u32_e32 v9, 0x100, v9
	v_cmp_le_i32_e32 vcc, s35, v9
	s_or_b64 s[4:5], vcc, s[4:5]
	global_store_dwordx4 v[10:11], v[5:8], off
	s_andn2_b64 exec, exec, s[4:5]
	s_cbranch_execz .LBB100_90
.LBB100_84:                             ; =>This Loop Header: Depth=1
                                        ;     Child Loop BB100_86 Depth 2
	v_ashrrev_i32_e32 v10, 31, v9
	v_lshlrev_b64 v[5:6], 2, v[9:10]
	v_mov_b32_e32 v7, 0
	v_add_co_u32_e32 v5, vcc, s24, v5
	v_addc_co_u32_e32 v6, vcc, v14, v6, vcc
	global_load_dwordx2 v[11:12], v[5:6], off
	v_mov_b32_e32 v5, 0
	v_mov_b32_e32 v8, 0
	;; [unrolled: 1-line block ×3, first 2 shown]
	s_waitcnt vmcnt(0)
	v_cmp_lt_i32_e32 vcc, v11, v12
	s_and_saveexec_b64 s[6:7], vcc
	s_cbranch_execz .LBB100_88
; %bb.85:                               ;   in Loop: Header=BB100_84 Depth=1
	v_mov_b32_e32 v7, 0
	v_mov_b32_e32 v8, 0
	;; [unrolled: 1-line block ×3, first 2 shown]
	v_subrev_u32_e32 v12, s39, v12
	v_subrev_u32_e32 v16, s39, v11
	v_lshl_add_u32 v11, v11, 4, s10
	s_mov_b64 s[8:9], 0
	v_mov_b32_e32 v6, v8
.LBB100_86:                             ;   Parent Loop BB100_84 Depth=1
                                        ; =>  This Inner Loop Header: Depth=2
	ds_read_b128 v[17:20], v11
	v_add_u32_e32 v16, 1, v16
	v_cmp_ge_i32_e32 vcc, v16, v12
	s_or_b64 s[8:9], vcc, s[8:9]
	v_add_u32_e32 v11, 16, v11
	s_waitcnt lgkmcnt(0)
	v_add_f64 v[5:6], v[5:6], v[17:18]
	v_add_f64 v[7:8], v[7:8], v[19:20]
	s_andn2_b64 exec, exec, s[8:9]
	s_cbranch_execnz .LBB100_86
; %bb.87:                               ;   in Loop: Header=BB100_84 Depth=1
	s_or_b64 exec, exec, s[8:9]
.LBB100_88:                             ;   in Loop: Header=BB100_84 Depth=1
	s_or_b64 exec, exec, s[6:7]
	v_lshlrev_b64 v[10:11], 4, v[9:10]
	s_and_saveexec_b64 s[6:7], s[0:1]
	s_cbranch_execz .LBB100_83
; %bb.89:                               ;   in Loop: Header=BB100_84 Depth=1
	v_mov_b32_e32 v12, s23
	v_add_co_u32_e32 v16, vcc, s22, v10
	v_addc_co_u32_e32 v17, vcc, v12, v11, vcc
	global_load_dwordx4 v[16:19], v[16:17], off
	s_waitcnt vmcnt(0)
	v_fma_f64 v[5:6], v[1:2], v[16:17], v[5:6]
	v_fma_f64 v[7:8], v[3:4], v[16:17], v[7:8]
	v_fma_f64 v[5:6], -v[3:4], v[18:19], v[5:6]
	v_fma_f64 v[7:8], v[1:2], v[18:19], v[7:8]
	s_branch .LBB100_83
.LBB100_90:
	s_or_b64 exec, exec, s[2:3]
	s_mov_b64 s[0:1], 0
.LBB100_91:
	s_andn2_b64 vcc, exec, s[0:1]
	s_cbranch_vccnz .LBB100_116
; %bb.92:
	s_flbit_i32_b32 s0, s33
	s_xor_b32 s0, s0, 31
	v_mov_b32_e32 v5, 0
	v_lshrrev_b32_e32 v10, s0, v0
	v_mov_b32_e32 v6, 0
	v_add_u32_e32 v9, s34, v10
	s_add_i32 s0, s33, -1
	v_mov_b32_e32 v8, v6
	v_and_b32_e32 v0, s0, v0
	v_cmp_le_i32_e32 vcc, s35, v9
	v_cmp_gt_i32_e64 s[0:1], s35, v9
	v_mov_b32_e32 v7, v5
	s_and_saveexec_b64 s[2:3], s[0:1]
	s_cbranch_execz .LBB100_98
; %bb.93:
	v_lshlrev_b32_e32 v5, 2, v10
	global_load_dwordx2 v[5:6], v5, s[36:37]
	v_subrev_u32_e32 v11, s39, v0
	v_mov_b32_e32 v7, 0
	v_mov_b32_e32 v8, 0
	s_waitcnt vmcnt(0)
	v_subrev_u32_e32 v10, s39, v6
	v_add_u32_e32 v11, v5, v11
	v_mov_b32_e32 v5, 0
	v_mov_b32_e32 v6, 0
	v_cmp_lt_i32_e64 s[0:1], v11, v10
	s_and_saveexec_b64 s[4:5], s[0:1]
	s_cbranch_execz .LBB100_97
; %bb.94:
	v_mov_b32_e32 v7, 0
	v_mov_b32_e32 v8, 0
	;; [unrolled: 1-line block ×3, first 2 shown]
	v_lshlrev_b32_e32 v12, 4, v11
	s_lshl_b32 s8, s33, 4
	s_mov_b64 s[6:7], 0
	v_mov_b32_e32 v6, v8
.LBB100_95:                             ; =>This Inner Loop Header: Depth=1
	ds_read_b128 v[14:17], v12
	v_add_u32_e32 v11, s33, v11
	v_cmp_ge_i32_e64 s[0:1], v11, v10
	s_or_b64 s[6:7], s[0:1], s[6:7]
	v_add_u32_e32 v12, s8, v12
	s_waitcnt lgkmcnt(0)
	v_add_f64 v[5:6], v[5:6], v[14:15]
	v_add_f64 v[7:8], v[7:8], v[16:17]
	s_andn2_b64 exec, exec, s[6:7]
	s_cbranch_execnz .LBB100_95
; %bb.96:
	s_or_b64 exec, exec, s[6:7]
.LBB100_97:
	s_or_b64 exec, exec, s[4:5]
.LBB100_98:
	s_or_b64 exec, exec, s[2:3]
	s_cmpk_lt_u32 s33, 0x81
	s_waitcnt vmcnt(0)
	s_barrier
	ds_write_b128 v13, v[5:8]
	s_waitcnt lgkmcnt(0)
	s_barrier
	s_cbranch_scc1 .LBB100_100
; %bb.99:
	ds_read_b128 v[14:17], v13 offset:2048
	s_waitcnt lgkmcnt(0)
	s_barrier
	v_add_f64 v[5:6], v[5:6], v[14:15]
	v_add_f64 v[7:8], v[7:8], v[16:17]
	ds_write_b128 v13, v[5:8]
.LBB100_100:
	s_cmpk_lt_u32 s33, 0x41
	s_waitcnt lgkmcnt(0)
	s_barrier
	s_cbranch_scc1 .LBB100_102
; %bb.101:
	ds_read_b128 v[14:17], v13 offset:1024
	s_waitcnt lgkmcnt(0)
	s_barrier
	v_add_f64 v[5:6], v[5:6], v[14:15]
	v_add_f64 v[7:8], v[7:8], v[16:17]
	ds_write_b128 v13, v[5:8]
.LBB100_102:
	s_cmp_lt_u32 s33, 33
	s_waitcnt lgkmcnt(0)
	s_barrier
	s_cbranch_scc1 .LBB100_104
; %bb.103:
	ds_read_b128 v[14:17], v13 offset:512
	s_waitcnt lgkmcnt(0)
	s_barrier
	v_add_f64 v[5:6], v[5:6], v[14:15]
	v_add_f64 v[7:8], v[7:8], v[16:17]
	ds_write_b128 v13, v[5:8]
.LBB100_104:
	s_cmp_lt_u32 s33, 17
	;; [unrolled: 12-line block ×4, first 2 shown]
	s_waitcnt lgkmcnt(0)
	s_barrier
	s_cbranch_scc1 .LBB100_110
; %bb.109:
	ds_read_b128 v[14:17], v13 offset:64
	s_waitcnt lgkmcnt(0)
	s_barrier
	v_add_f64 v[5:6], v[5:6], v[14:15]
	v_add_f64 v[7:8], v[7:8], v[16:17]
	ds_write_b128 v13, v[5:8]
.LBB100_110:
	s_cmp_eq_u32 s33, 2
	s_waitcnt lgkmcnt(0)
	s_barrier
	s_cbranch_scc1 .LBB100_112
; %bb.111:
	ds_read_b128 v[14:17], v13 offset:32
	s_waitcnt lgkmcnt(0)
	s_barrier
	v_add_f64 v[5:6], v[5:6], v[14:15]
	v_add_f64 v[7:8], v[7:8], v[16:17]
	ds_write_b128 v13, v[5:8]
.LBB100_112:
	s_waitcnt lgkmcnt(0)
	s_barrier
	ds_read_b128 v[14:17], v13 offset:16
	v_cmp_eq_u32_e64 s[0:1], 0, v0
	s_xor_b64 s[2:3], vcc, -1
	s_and_b64 s[0:1], s[0:1], s[2:3]
	s_waitcnt lgkmcnt(0)
	v_add_f64 v[5:6], v[5:6], v[14:15]
	v_add_f64 v[7:8], v[7:8], v[16:17]
	s_barrier
	ds_write_b128 v13, v[5:8]
	s_and_b64 exec, exec, s[0:1]
	s_cbranch_execz .LBB100_116
; %bb.113:
	v_cmp_neq_f64_e32 vcc, 0, v[1:2]
	v_cmp_neq_f64_e64 s[0:1], 0, v[3:4]
	v_ashrrev_i32_e32 v10, 31, v9
	v_lshlrev_b64 v[9:10], 4, v[9:10]
	s_or_b64 s[2:3], vcc, s[0:1]
	s_and_saveexec_b64 s[0:1], s[2:3]
	s_cbranch_execz .LBB100_115
; %bb.114:
	v_mov_b32_e32 v0, s23
	v_add_co_u32_e32 v11, vcc, s22, v9
	v_addc_co_u32_e32 v12, vcc, v0, v10, vcc
	global_load_dwordx4 v[11:14], v[11:12], off
	s_waitcnt vmcnt(0)
	v_fma_f64 v[5:6], v[1:2], v[11:12], v[5:6]
	v_fma_f64 v[7:8], v[3:4], v[11:12], v[7:8]
	v_fma_f64 v[5:6], -v[3:4], v[13:14], v[5:6]
	v_fma_f64 v[7:8], v[1:2], v[13:14], v[7:8]
.LBB100_115:
	s_or_b64 exec, exec, s[0:1]
	v_mov_b32_e32 v1, s23
	v_add_co_u32_e32 v0, vcc, s22, v9
	v_addc_co_u32_e32 v1, vcc, v1, v10, vcc
	global_store_dwordx4 v[0:1], v[5:8], off
.LBB100_116:
	s_endpgm
	.section	.rodata,"a",@progbits
	.p2align	6, 0x0
	.amdhsa_kernel _ZN9rocsparseL22csrmvn_adaptive_kernelIiid21rocsparse_complex_numIdES2_S2_EEvbT_PKS3_PjPKT0_NS_24const_host_device_scalarIT4_EES5_S9_PKT1_PKT2_SC_PT3_21rocsparse_index_base_b
		.amdhsa_group_segment_fixed_size 16384
		.amdhsa_private_segment_fixed_size 0
		.amdhsa_kernarg_size 112
		.amdhsa_user_sgpr_count 6
		.amdhsa_user_sgpr_private_segment_buffer 1
		.amdhsa_user_sgpr_dispatch_ptr 0
		.amdhsa_user_sgpr_queue_ptr 0
		.amdhsa_user_sgpr_kernarg_segment_ptr 1
		.amdhsa_user_sgpr_dispatch_id 0
		.amdhsa_user_sgpr_flat_scratch_init 0
		.amdhsa_user_sgpr_private_segment_size 0
		.amdhsa_uses_dynamic_stack 0
		.amdhsa_system_sgpr_private_segment_wavefront_offset 0
		.amdhsa_system_sgpr_workgroup_id_x 1
		.amdhsa_system_sgpr_workgroup_id_y 0
		.amdhsa_system_sgpr_workgroup_id_z 0
		.amdhsa_system_sgpr_workgroup_info 0
		.amdhsa_system_vgpr_workitem_id 0
		.amdhsa_next_free_vgpr 49
		.amdhsa_next_free_sgpr 98
		.amdhsa_reserve_vcc 1
		.amdhsa_reserve_flat_scratch 0
		.amdhsa_float_round_mode_32 0
		.amdhsa_float_round_mode_16_64 0
		.amdhsa_float_denorm_mode_32 3
		.amdhsa_float_denorm_mode_16_64 3
		.amdhsa_dx10_clamp 1
		.amdhsa_ieee_mode 1
		.amdhsa_fp16_overflow 0
		.amdhsa_exception_fp_ieee_invalid_op 0
		.amdhsa_exception_fp_denorm_src 0
		.amdhsa_exception_fp_ieee_div_zero 0
		.amdhsa_exception_fp_ieee_overflow 0
		.amdhsa_exception_fp_ieee_underflow 0
		.amdhsa_exception_fp_ieee_inexact 0
		.amdhsa_exception_int_div_zero 0
	.end_amdhsa_kernel
	.section	.text._ZN9rocsparseL22csrmvn_adaptive_kernelIiid21rocsparse_complex_numIdES2_S2_EEvbT_PKS3_PjPKT0_NS_24const_host_device_scalarIT4_EES5_S9_PKT1_PKT2_SC_PT3_21rocsparse_index_base_b,"axG",@progbits,_ZN9rocsparseL22csrmvn_adaptive_kernelIiid21rocsparse_complex_numIdES2_S2_EEvbT_PKS3_PjPKT0_NS_24const_host_device_scalarIT4_EES5_S9_PKT1_PKT2_SC_PT3_21rocsparse_index_base_b,comdat
.Lfunc_end100:
	.size	_ZN9rocsparseL22csrmvn_adaptive_kernelIiid21rocsparse_complex_numIdES2_S2_EEvbT_PKS3_PjPKT0_NS_24const_host_device_scalarIT4_EES5_S9_PKT1_PKT2_SC_PT3_21rocsparse_index_base_b, .Lfunc_end100-_ZN9rocsparseL22csrmvn_adaptive_kernelIiid21rocsparse_complex_numIdES2_S2_EEvbT_PKS3_PjPKT0_NS_24const_host_device_scalarIT4_EES5_S9_PKT1_PKT2_SC_PT3_21rocsparse_index_base_b
                                        ; -- End function
	.set _ZN9rocsparseL22csrmvn_adaptive_kernelIiid21rocsparse_complex_numIdES2_S2_EEvbT_PKS3_PjPKT0_NS_24const_host_device_scalarIT4_EES5_S9_PKT1_PKT2_SC_PT3_21rocsparse_index_base_b.num_vgpr, 46
	.set _ZN9rocsparseL22csrmvn_adaptive_kernelIiid21rocsparse_complex_numIdES2_S2_EEvbT_PKS3_PjPKT0_NS_24const_host_device_scalarIT4_EES5_S9_PKT1_PKT2_SC_PT3_21rocsparse_index_base_b.num_agpr, 0
	.set _ZN9rocsparseL22csrmvn_adaptive_kernelIiid21rocsparse_complex_numIdES2_S2_EEvbT_PKS3_PjPKT0_NS_24const_host_device_scalarIT4_EES5_S9_PKT1_PKT2_SC_PT3_21rocsparse_index_base_b.numbered_sgpr, 52
	.set _ZN9rocsparseL22csrmvn_adaptive_kernelIiid21rocsparse_complex_numIdES2_S2_EEvbT_PKS3_PjPKT0_NS_24const_host_device_scalarIT4_EES5_S9_PKT1_PKT2_SC_PT3_21rocsparse_index_base_b.num_named_barrier, 0
	.set _ZN9rocsparseL22csrmvn_adaptive_kernelIiid21rocsparse_complex_numIdES2_S2_EEvbT_PKS3_PjPKT0_NS_24const_host_device_scalarIT4_EES5_S9_PKT1_PKT2_SC_PT3_21rocsparse_index_base_b.private_seg_size, 0
	.set _ZN9rocsparseL22csrmvn_adaptive_kernelIiid21rocsparse_complex_numIdES2_S2_EEvbT_PKS3_PjPKT0_NS_24const_host_device_scalarIT4_EES5_S9_PKT1_PKT2_SC_PT3_21rocsparse_index_base_b.uses_vcc, 1
	.set _ZN9rocsparseL22csrmvn_adaptive_kernelIiid21rocsparse_complex_numIdES2_S2_EEvbT_PKS3_PjPKT0_NS_24const_host_device_scalarIT4_EES5_S9_PKT1_PKT2_SC_PT3_21rocsparse_index_base_b.uses_flat_scratch, 0
	.set _ZN9rocsparseL22csrmvn_adaptive_kernelIiid21rocsparse_complex_numIdES2_S2_EEvbT_PKS3_PjPKT0_NS_24const_host_device_scalarIT4_EES5_S9_PKT1_PKT2_SC_PT3_21rocsparse_index_base_b.has_dyn_sized_stack, 0
	.set _ZN9rocsparseL22csrmvn_adaptive_kernelIiid21rocsparse_complex_numIdES2_S2_EEvbT_PKS3_PjPKT0_NS_24const_host_device_scalarIT4_EES5_S9_PKT1_PKT2_SC_PT3_21rocsparse_index_base_b.has_recursion, 0
	.set _ZN9rocsparseL22csrmvn_adaptive_kernelIiid21rocsparse_complex_numIdES2_S2_EEvbT_PKS3_PjPKT0_NS_24const_host_device_scalarIT4_EES5_S9_PKT1_PKT2_SC_PT3_21rocsparse_index_base_b.has_indirect_call, 0
	.section	.AMDGPU.csdata,"",@progbits
; Kernel info:
; codeLenInByte = 5004
; TotalNumSgprs: 56
; NumVgprs: 46
; ScratchSize: 0
; MemoryBound: 0
; FloatMode: 240
; IeeeMode: 1
; LDSByteSize: 16384 bytes/workgroup (compile time only)
; SGPRBlocks: 12
; VGPRBlocks: 12
; NumSGPRsForWavesPerEU: 102
; NumVGPRsForWavesPerEU: 49
; Occupancy: 4
; WaveLimiterHint : 1
; COMPUTE_PGM_RSRC2:SCRATCH_EN: 0
; COMPUTE_PGM_RSRC2:USER_SGPR: 6
; COMPUTE_PGM_RSRC2:TRAP_HANDLER: 0
; COMPUTE_PGM_RSRC2:TGID_X_EN: 1
; COMPUTE_PGM_RSRC2:TGID_Y_EN: 0
; COMPUTE_PGM_RSRC2:TGID_Z_EN: 0
; COMPUTE_PGM_RSRC2:TIDIG_COMP_CNT: 0
	.section	.text._ZN9rocsparseL27csrmvn_symm_adaptive_kernelIiid21rocsparse_complex_numIdES2_S2_EEvbT_S3_PKS3_NS_24const_host_device_scalarIT4_EES5_PKT0_PKT1_PKT2_S8_PT3_21rocsparse_index_base_b,"axG",@progbits,_ZN9rocsparseL27csrmvn_symm_adaptive_kernelIiid21rocsparse_complex_numIdES2_S2_EEvbT_S3_PKS3_NS_24const_host_device_scalarIT4_EES5_PKT0_PKT1_PKT2_S8_PT3_21rocsparse_index_base_b,comdat
	.globl	_ZN9rocsparseL27csrmvn_symm_adaptive_kernelIiid21rocsparse_complex_numIdES2_S2_EEvbT_S3_PKS3_NS_24const_host_device_scalarIT4_EES5_PKT0_PKT1_PKT2_S8_PT3_21rocsparse_index_base_b ; -- Begin function _ZN9rocsparseL27csrmvn_symm_adaptive_kernelIiid21rocsparse_complex_numIdES2_S2_EEvbT_S3_PKS3_NS_24const_host_device_scalarIT4_EES5_PKT0_PKT1_PKT2_S8_PT3_21rocsparse_index_base_b
	.p2align	8
	.type	_ZN9rocsparseL27csrmvn_symm_adaptive_kernelIiid21rocsparse_complex_numIdES2_S2_EEvbT_S3_PKS3_NS_24const_host_device_scalarIT4_EES5_PKT0_PKT1_PKT2_S8_PT3_21rocsparse_index_base_b,@function
_ZN9rocsparseL27csrmvn_symm_adaptive_kernelIiid21rocsparse_complex_numIdES2_S2_EEvbT_S3_PKS3_NS_24const_host_device_scalarIT4_EES5_PKT0_PKT1_PKT2_S8_PT3_21rocsparse_index_base_b: ; @_ZN9rocsparseL27csrmvn_symm_adaptive_kernelIiid21rocsparse_complex_numIdES2_S2_EEvbT_S3_PKS3_NS_24const_host_device_scalarIT4_EES5_PKT0_PKT1_PKT2_S8_PT3_21rocsparse_index_base_b
; %bb.0:
	s_load_dwordx2 s[24:25], s[4:5], 0x60
	s_load_dwordx2 s[0:1], s[4:5], 0x18
	s_add_u32 s7, s4, 24
	s_addc_u32 s10, s5, 0
	s_waitcnt lgkmcnt(0)
	s_bitcmp1_b32 s25, 0
	s_cselect_b64 s[8:9], -1, 0
	s_and_b64 s[2:3], s[8:9], exec
	s_cselect_b32 s1, s10, s1
	s_cselect_b32 s0, s7, s0
	v_mov_b32_e32 v1, s0
	v_mov_b32_e32 v2, s1
	flat_load_dwordx4 v[1:4], v[1:2]
	s_waitcnt vmcnt(0) lgkmcnt(0)
	v_cmp_eq_f64_e32 vcc, 0, v[1:2]
	v_cmp_eq_f64_e64 s[0:1], 0, v[3:4]
	s_and_b64 s[10:11], vcc, s[0:1]
	s_mov_b64 s[0:1], -1
	s_and_saveexec_b64 s[2:3], s[10:11]
	s_cbranch_execz .LBB101_2
; %bb.1:
	s_load_dwordx2 s[0:1], s[4:5], 0x48
	s_add_u32 s7, s4, 0x48
	s_addc_u32 s10, s5, 0
	s_and_b64 s[8:9], s[8:9], exec
	s_waitcnt lgkmcnt(0)
	s_cselect_b32 s1, s10, s1
	s_cselect_b32 s0, s7, s0
	v_mov_b32_e32 v5, s0
	v_mov_b32_e32 v6, s1
	flat_load_dwordx4 v[5:8], v[5:6]
	s_waitcnt vmcnt(0) lgkmcnt(0)
	v_cmp_neq_f64_e32 vcc, 1.0, v[5:6]
	v_cmp_neq_f64_e64 s[0:1], 0, v[7:8]
	s_or_b64 s[0:1], vcc, s[0:1]
	s_orn2_b64 s[0:1], s[0:1], exec
.LBB101_2:
	s_or_b64 exec, exec, s[2:3]
	s_and_saveexec_b64 s[2:3], s[0:1]
	s_cbranch_execz .LBB101_203
; %bb.3:
	s_load_dwordx2 s[8:9], s[4:5], 0x10
	s_mov_b32 s0, 0
	s_mov_b32 s3, s0
	;; [unrolled: 1-line block ×4, first 2 shown]
	v_mov_b32_e32 v8, s3
	s_ashr_i32 s7, s6, 31
	v_mov_b32_e32 v7, s2
	v_mov_b32_e32 v6, s1
	;; [unrolled: 1-line block ×3, first 2 shown]
	s_lshl_b64 s[0:1], s[6:7], 2
	s_waitcnt lgkmcnt(0)
	s_add_u32 s0, s8, s0
	v_lshlrev_b32_e32 v27, 4, v0
	s_addc_u32 s1, s9, s1
	ds_write_b128 v27, v[5:8]
	ds_write_b128 v27, v[5:8] offset:4096
	ds_write_b128 v27, v[5:8] offset:8192
	ds_write_b128 v27, v[5:8] offset:12288
	s_waitcnt lgkmcnt(0)
	s_barrier
	s_load_dwordx2 s[22:23], s[0:1], 0x0
	s_load_dwordx2 s[20:21], s[4:5], 0x58
	s_load_dwordx8 s[12:19], s[4:5], 0x28
	s_mov_b64 s[0:1], -1
	v_subrev_u32_e32 v28, s24, v0
	s_waitcnt lgkmcnt(0)
	s_sub_i32 s25, s23, s22
	s_cmp_gt_i32 s25, 2
	s_cbranch_scc1 .LBB101_45
; %bb.4:
	s_cmp_le_i32 s23, s22
	s_cbranch_scc1 .LBB101_32
; %bb.5:
	s_mov_b32 s26, 0
	v_cmp_gt_u32_e64 s[0:1], 64, v0
	v_cmp_gt_u32_e64 s[2:3], 16, v0
	;; [unrolled: 1-line block ×3, first 2 shown]
	v_cmp_eq_u32_e64 s[8:9], 0, v0
	s_brev_b32 s27, 1
	v_mov_b32_e32 v15, 0
	s_mov_b32 s28, s22
	s_branch .LBB101_7
.LBB101_6:                              ;   in Loop: Header=BB101_7 Depth=1
	s_or_b64 exec, exec, s[10:11]
	s_add_i32 s28, s28, 1
	s_cmp_ge_i32 s28, s23
	s_cbranch_scc1 .LBB101_32
.LBB101_7:                              ; =>This Loop Header: Depth=1
                                        ;     Child Loop BB101_9 Depth 2
                                        ;     Child Loop BB101_21 Depth 2
	;; [unrolled: 1-line block ×5, first 2 shown]
	s_ashr_i32 s29, s28, 31
	s_lshl_b64 s[10:11], s[28:29], 2
	s_add_u32 s10, s12, s10
	s_addc_u32 s11, s13, s11
	s_load_dwordx2 s[30:31], s[10:11], 0x0
	v_mov_b32_e32 v7, 0
	v_mov_b32_e32 v5, 0
	;; [unrolled: 1-line block ×4, first 2 shown]
	s_waitcnt lgkmcnt(0)
	s_sub_i32 s33, s31, s24
	v_add_u32_e32 v9, s30, v28
	v_cmp_gt_i32_e32 vcc, s33, v9
	s_and_saveexec_b64 s[30:31], vcc
	s_cbranch_execz .LBB101_11
; %bb.8:                                ;   in Loop: Header=BB101_7 Depth=1
	v_ashrrev_i32_e32 v10, 31, v9
	v_lshlrev_b64 v[5:6], 2, v[9:10]
	v_mov_b32_e32 v7, s15
	v_add_co_u32_e32 v11, vcc, s14, v5
	v_addc_co_u32_e32 v12, vcc, v7, v6, vcc
	v_lshlrev_b64 v[5:6], 3, v[9:10]
	v_mov_b32_e32 v7, s17
	v_add_co_u32_e32 v13, vcc, s16, v5
	v_addc_co_u32_e32 v14, vcc, v7, v6, vcc
	v_mov_b32_e32 v7, 0
	v_mov_b32_e32 v8, 0
	;; [unrolled: 1-line block ×3, first 2 shown]
	s_mov_b64 s[34:35], 0
	v_mov_b32_e32 v6, v8
.LBB101_9:                              ;   Parent Loop BB101_7 Depth=1
                                        ; =>  This Inner Loop Header: Depth=2
	global_load_dword v10, v[11:12], off
	global_load_dwordx2 v[20:21], v[13:14], off
	v_mov_b32_e32 v18, s19
	v_add_u32_e32 v9, 0x100, v9
	v_cmp_le_i32_e64 s[10:11], s33, v9
	s_or_b64 s[34:35], s[10:11], s[34:35]
	s_waitcnt vmcnt(1)
	v_subrev_u32_e32 v16, s24, v10
	v_ashrrev_i32_e32 v17, 31, v16
	v_lshlrev_b64 v[16:17], 4, v[16:17]
	v_add_co_u32_e32 v16, vcc, s18, v16
	v_addc_co_u32_e32 v17, vcc, v18, v17, vcc
	global_load_dwordx4 v[16:19], v[16:17], off
	v_add_co_u32_e32 v11, vcc, 0x400, v11
	v_addc_co_u32_e32 v12, vcc, 0, v12, vcc
	v_add_co_u32_e32 v13, vcc, 0x800, v13
	v_addc_co_u32_e32 v14, vcc, 0, v14, vcc
	s_waitcnt vmcnt(0)
	v_fma_f64 v[5:6], v[20:21], v[16:17], v[5:6]
	v_fma_f64 v[7:8], v[16:17], 0, v[7:8]
	;; [unrolled: 1-line block ×4, first 2 shown]
	s_andn2_b64 exec, exec, s[34:35]
	s_cbranch_execnz .LBB101_9
; %bb.10:                               ;   in Loop: Header=BB101_7 Depth=1
	s_or_b64 exec, exec, s[34:35]
.LBB101_11:                             ;   in Loop: Header=BB101_7 Depth=1
	s_or_b64 exec, exec, s[30:31]
	ds_write_b128 v27, v[5:8]
	s_waitcnt lgkmcnt(0)
	s_barrier
	ds_read_b128 v[5:8], v27 offset:4096
	ds_read_b128 v[9:12], v27 offset:8192
	;; [unrolled: 1-line block ×3, first 2 shown]
	ds_read_b128 v[20:23], v27
	s_waitcnt lgkmcnt(2)
	v_add_f64 v[5:6], v[9:10], v[5:6]
	v_add_f64 v[7:8], v[11:12], v[7:8]
	s_waitcnt lgkmcnt(1)
	v_add_f64 v[5:6], v[5:6], v[16:17]
	v_add_f64 v[7:8], v[7:8], v[18:19]
	;; [unrolled: 3-line block ×3, first 2 shown]
	ds_write_b128 v27, v[5:8]
	s_waitcnt lgkmcnt(0)
	s_barrier
	s_and_saveexec_b64 s[10:11], s[0:1]
	s_cbranch_execz .LBB101_13
; %bb.12:                               ;   in Loop: Header=BB101_7 Depth=1
	ds_read_b128 v[5:8], v27 offset:1024
	ds_read_b128 v[9:12], v27 offset:2048
	ds_read_b128 v[16:19], v27 offset:3072
	ds_read_b128 v[20:23], v27
	s_waitcnt lgkmcnt(2)
	v_add_f64 v[5:6], v[9:10], v[5:6]
	v_add_f64 v[7:8], v[11:12], v[7:8]
	s_waitcnt lgkmcnt(1)
	v_add_f64 v[5:6], v[5:6], v[16:17]
	v_add_f64 v[7:8], v[7:8], v[18:19]
	s_waitcnt lgkmcnt(0)
	v_add_f64 v[5:6], v[5:6], v[20:21]
	v_add_f64 v[7:8], v[7:8], v[22:23]
	ds_write_b128 v27, v[5:8]
.LBB101_13:                             ;   in Loop: Header=BB101_7 Depth=1
	s_or_b64 exec, exec, s[10:11]
	s_waitcnt lgkmcnt(0)
	s_barrier
	s_and_saveexec_b64 s[10:11], s[2:3]
	s_cbranch_execz .LBB101_15
; %bb.14:                               ;   in Loop: Header=BB101_7 Depth=1
	ds_read_b128 v[5:8], v27 offset:256
	ds_read_b128 v[9:12], v27 offset:512
	ds_read_b128 v[16:19], v27 offset:768
	ds_read_b128 v[20:23], v27
	s_waitcnt lgkmcnt(2)
	v_add_f64 v[5:6], v[9:10], v[5:6]
	v_add_f64 v[7:8], v[11:12], v[7:8]
	s_waitcnt lgkmcnt(1)
	v_add_f64 v[5:6], v[5:6], v[16:17]
	v_add_f64 v[7:8], v[7:8], v[18:19]
	s_waitcnt lgkmcnt(0)
	v_add_f64 v[5:6], v[5:6], v[20:21]
	v_add_f64 v[7:8], v[7:8], v[22:23]
	ds_write_b128 v27, v[5:8]
.LBB101_15:                             ;   in Loop: Header=BB101_7 Depth=1
	s_or_b64 exec, exec, s[10:11]
	s_waitcnt lgkmcnt(0)
	s_barrier
	s_and_saveexec_b64 s[10:11], s[6:7]
	s_cbranch_execz .LBB101_17
; %bb.16:                               ;   in Loop: Header=BB101_7 Depth=1
	ds_read_b128 v[5:8], v27 offset:64
	ds_read_b128 v[9:12], v27 offset:128
	ds_read_b128 v[16:19], v27 offset:192
	ds_read_b128 v[20:23], v27
	s_waitcnt lgkmcnt(2)
	v_add_f64 v[5:6], v[9:10], v[5:6]
	v_add_f64 v[7:8], v[11:12], v[7:8]
	s_waitcnt lgkmcnt(1)
	v_add_f64 v[5:6], v[5:6], v[16:17]
	v_add_f64 v[7:8], v[7:8], v[18:19]
	s_waitcnt lgkmcnt(0)
	v_add_f64 v[5:6], v[5:6], v[20:21]
	v_add_f64 v[7:8], v[7:8], v[22:23]
	ds_write_b128 v27, v[5:8]
.LBB101_17:                             ;   in Loop: Header=BB101_7 Depth=1
	s_or_b64 exec, exec, s[10:11]
	s_waitcnt lgkmcnt(0)
	s_barrier
	s_and_saveexec_b64 s[10:11], s[8:9]
	s_cbranch_execz .LBB101_19
; %bb.18:                               ;   in Loop: Header=BB101_7 Depth=1
	ds_read_b128 v[5:8], v15 offset:16
	ds_read_b128 v[9:12], v15 offset:32
	ds_read_b128 v[16:19], v15 offset:48
	ds_read_b128 v[20:23], v27
	s_waitcnt lgkmcnt(2)
	v_add_f64 v[5:6], v[9:10], v[5:6]
	v_add_f64 v[7:8], v[11:12], v[7:8]
	s_waitcnt lgkmcnt(1)
	v_add_f64 v[5:6], v[5:6], v[16:17]
	v_add_f64 v[7:8], v[7:8], v[18:19]
	s_waitcnt lgkmcnt(0)
	v_add_f64 v[5:6], v[5:6], v[20:21]
	v_add_f64 v[7:8], v[7:8], v[22:23]
	ds_write_b128 v27, v[5:8]
.LBB101_19:                             ;   in Loop: Header=BB101_7 Depth=1
	s_or_b64 exec, exec, s[10:11]
	s_waitcnt lgkmcnt(0)
	s_barrier
	s_and_saveexec_b64 s[10:11], s[8:9]
	s_cbranch_execz .LBB101_6
; %bb.20:                               ;   in Loop: Header=BB101_7 Depth=1
	ds_read_b128 v[5:8], v15
	v_mov_b32_e32 v13, 0
	s_mov_b64 s[30:31], exec
	v_bfrev_b32_e32 v14, 1
	s_waitcnt lgkmcnt(0)
	v_mul_f64 v[9:10], v[7:8], -v[3:4]
	v_fma_f64 v[9:10], v[1:2], v[5:6], v[9:10]
.LBB101_21:                             ;   Parent Loop BB101_7 Depth=1
                                        ; =>  This Inner Loop Header: Depth=2
	s_ff1_i32_b64 s33, s[30:31]
	v_readlane_b32 s35, v10, s33
	v_readlane_b32 s34, v9, s33
	v_add_f64 v[13:14], v[13:14], s[34:35]
	s_lshl_b64 s[34:35], 1, s33
	s_andn2_b64 s[30:31], s[30:31], s[34:35]
	s_cmp_lg_u64 s[30:31], 0
	s_cbranch_scc1 .LBB101_21
; %bb.22:                               ;   in Loop: Header=BB101_7 Depth=1
	s_lshl_b64 s[30:31], s[28:29], 4
	v_mbcnt_lo_u32_b32 v9, exec_lo, 0
	s_add_u32 s30, s20, s30
	v_mbcnt_hi_u32_b32 v9, exec_hi, v9
	s_addc_u32 s31, s21, s31
	v_cmp_eq_u32_e32 vcc, 0, v9
	s_and_saveexec_b64 s[34:35], vcc
	s_xor_b64 s[34:35], exec, s[34:35]
	s_cbranch_execz .LBB101_26
; %bb.23:                               ;   in Loop: Header=BB101_7 Depth=1
	global_load_dwordx2 v[11:12], v15, s[30:31]
	s_mov_b64 s[36:37], 0
.LBB101_24:                             ;   Parent Loop BB101_7 Depth=1
                                        ; =>  This Inner Loop Header: Depth=2
	s_waitcnt vmcnt(0)
	v_add_f64 v[9:10], v[11:12], v[13:14]
	global_atomic_cmpswap_x2 v[9:10], v15, v[9:12], s[30:31] glc
	s_waitcnt vmcnt(0)
	v_cmp_eq_u64_e32 vcc, v[9:10], v[11:12]
	v_mov_b32_e32 v12, v10
	s_or_b64 s[36:37], vcc, s[36:37]
	v_mov_b32_e32 v11, v9
	s_andn2_b64 exec, exec, s[36:37]
	s_cbranch_execnz .LBB101_24
; %bb.25:                               ;   in Loop: Header=BB101_7 Depth=1
	s_or_b64 exec, exec, s[36:37]
.LBB101_26:                             ;   in Loop: Header=BB101_7 Depth=1
	s_or_b64 exec, exec, s[34:35]
	v_mul_f64 v[7:8], v[1:2], v[7:8]
	v_mov_b32_e32 v9, 0
	s_mov_b64 s[34:35], exec
	v_bfrev_b32_e32 v10, 1
	v_fma_f64 v[5:6], v[3:4], v[5:6], v[7:8]
.LBB101_27:                             ;   Parent Loop BB101_7 Depth=1
                                        ; =>  This Inner Loop Header: Depth=2
	s_ff1_i32_b64 s29, s[34:35]
	v_readlane_b32 s37, v6, s29
	v_readlane_b32 s36, v5, s29
	v_add_f64 v[9:10], v[9:10], s[36:37]
	s_lshl_b64 s[36:37], 1, s29
	s_andn2_b64 s[34:35], s[34:35], s[36:37]
	s_cmp_lg_u64 s[34:35], 0
	s_cbranch_scc1 .LBB101_27
; %bb.28:                               ;   in Loop: Header=BB101_7 Depth=1
	v_mbcnt_lo_u32_b32 v5, exec_lo, 0
	v_mbcnt_hi_u32_b32 v5, exec_hi, v5
	v_cmp_eq_u32_e32 vcc, 0, v5
	s_and_saveexec_b64 s[34:35], vcc
	s_xor_b64 s[34:35], exec, s[34:35]
	s_cbranch_execz .LBB101_6
; %bb.29:                               ;   in Loop: Header=BB101_7 Depth=1
	global_load_dwordx2 v[7:8], v15, s[30:31] offset:8
	s_mov_b64 s[34:35], 0
.LBB101_30:                             ;   Parent Loop BB101_7 Depth=1
                                        ; =>  This Inner Loop Header: Depth=2
	s_waitcnt vmcnt(0)
	v_add_f64 v[5:6], v[7:8], v[9:10]
	global_atomic_cmpswap_x2 v[5:6], v15, v[5:8], s[30:31] offset:8 glc
	s_waitcnt vmcnt(0)
	v_cmp_eq_u64_e32 vcc, v[5:6], v[7:8]
	v_mov_b32_e32 v8, v6
	s_or_b64 s[34:35], vcc, s[34:35]
	v_mov_b32_e32 v7, v5
	s_andn2_b64 exec, exec, s[34:35]
	s_cbranch_execnz .LBB101_30
; %bb.31:                               ;   in Loop: Header=BB101_7 Depth=1
	s_or_b64 exec, exec, s[34:35]
	s_branch .LBB101_6
.LBB101_32:
	s_ashr_i32 s1, s22, 31
	s_mov_b32 s0, s22
	s_lshl_b64 s[0:1], s[0:1], 2
	s_add_u32 s0, s12, s0
	s_addc_u32 s1, s13, s1
	s_ashr_i32 s3, s23, 31
	s_mov_b32 s2, s23
	s_lshl_b64 s[2:3], s[2:3], 2
	s_add_u32 s2, s12, s2
	s_addc_u32 s3, s13, s3
	s_load_dword s6, s[2:3], 0x0
	s_load_dword s7, s[0:1], 0x0
	s_waitcnt lgkmcnt(0)
	s_sub_i32 s26, s6, s24
	v_add_u32_e32 v13, s7, v28
	v_cmp_gt_i32_e32 vcc, s26, v13
	s_and_saveexec_b64 s[6:7], vcc
	s_cbranch_execz .LBB101_44
; %bb.33:
	s_add_i32 s27, s23, -1
	s_cmp_lt_i32 s22, s27
	s_cselect_b64 s[0:1], -1, 0
	s_add_i32 s2, s23, -2
	s_cmp_lg_u32 s22, s2
	s_mov_b32 s2, 0
	s_brev_b32 s3, 1
	v_mul_f64 v[15:16], v[3:4], s[2:3]
	v_mul_f64 v[17:18], v[1:2], 0
	s_cselect_b64 s[2:3], -1, 0
	s_and_b64 s[0:1], s[0:1], s[2:3]
	v_cndmask_b32_e64 v5, 0, 1, s[0:1]
	s_mov_b64 s[8:9], 0
	v_cmp_ne_u32_e64 s[0:1], 1, v5
	v_mov_b32_e32 v29, s13
	v_mov_b32_e32 v30, s15
	s_branch .LBB101_35
.LBB101_34:                             ;   in Loop: Header=BB101_35 Depth=1
	s_or_b64 exec, exec, s[2:3]
	v_add_u32_e32 v13, 0x100, v13
	v_cmp_le_i32_e32 vcc, s26, v13
	s_or_b64 s[8:9], vcc, s[8:9]
	s_andn2_b64 exec, exec, s[8:9]
	s_cbranch_execz .LBB101_44
.LBB101_35:                             ; =>This Loop Header: Depth=1
                                        ;     Child Loop BB101_37 Depth 2
                                        ;     Child Loop BB101_41 Depth 2
	;; [unrolled: 1-line block ×3, first 2 shown]
	s_and_b64 vcc, exec, s[0:1]
	v_mov_b32_e32 v7, s22
	v_mov_b32_e32 v5, s27
	s_cbranch_vccnz .LBB101_39
; %bb.36:                               ;   in Loop: Header=BB101_35 Depth=1
	s_mov_b64 s[10:11], 0
	v_mov_b32_e32 v7, s22
	v_mov_b32_e32 v5, s27
.LBB101_37:                             ;   Parent Loop BB101_35 Depth=1
                                        ; =>  This Inner Loop Header: Depth=2
	v_add_u32_e32 v6, v5, v7
	v_lshrrev_b32_e32 v8, 31, v6
	v_add_u32_e32 v6, v6, v8
	v_ashrrev_i32_e32 v8, 1, v6
	v_ashrrev_i32_e32 v9, 31, v8
	v_lshlrev_b64 v[9:10], 2, v[8:9]
	v_mov_b32_e32 v11, s13
	v_add_co_u32_e32 v9, vcc, s12, v9
	v_addc_co_u32_e32 v10, vcc, v11, v10, vcc
	global_load_dword v6, v[9:10], off
	s_waitcnt vmcnt(0)
	v_subrev_u32_e32 v6, s24, v6
	v_cmp_lt_i32_e32 vcc, v13, v6
	v_cndmask_b32_e32 v5, v5, v8, vcc
	v_cndmask_b32_e32 v7, v8, v7, vcc
	v_add_u32_e32 v6, -1, v5
	v_cmp_ge_i32_e32 vcc, v7, v5
	v_cmp_eq_u32_e64 s[2:3], v7, v6
	s_or_b64 s[2:3], vcc, s[2:3]
	s_and_b64 s[2:3], exec, s[2:3]
	s_or_b64 s[10:11], s[2:3], s[10:11]
	s_andn2_b64 exec, exec, s[10:11]
	s_cbranch_execnz .LBB101_37
; %bb.38:                               ;   in Loop: Header=BB101_35 Depth=1
	s_or_b64 exec, exec, s[10:11]
.LBB101_39:                             ;   in Loop: Header=BB101_35 Depth=1
	v_ashrrev_i32_e32 v6, 31, v5
	v_lshlrev_b64 v[8:9], 2, v[5:6]
	v_ashrrev_i32_e32 v14, 31, v13
	v_add_co_u32_e32 v8, vcc, s12, v8
	v_addc_co_u32_e32 v9, vcc, v29, v9, vcc
	global_load_dword v6, v[8:9], off
	v_lshlrev_b64 v[8:9], 2, v[13:14]
	v_add_co_u32_e32 v8, vcc, s14, v8
	v_addc_co_u32_e32 v9, vcc, v30, v9, vcc
	global_load_dword v8, v[8:9], off
	s_waitcnt vmcnt(1)
	v_subrev_u32_e32 v6, s24, v6
	v_cmp_lt_i32_e32 vcc, v13, v6
	v_cndmask_b32_e32 v5, v5, v7, vcc
	s_waitcnt vmcnt(0)
	v_subrev_u32_e32 v9, s24, v8
	v_cmp_ne_u32_e32 vcc, v9, v5
	s_and_saveexec_b64 s[2:3], vcc
	s_cbranch_execz .LBB101_34
; %bb.40:                               ;   in Loop: Header=BB101_35 Depth=1
	v_lshlrev_b64 v[6:7], 3, v[13:14]
	v_mov_b32_e32 v8, s17
	v_add_co_u32_e32 v6, vcc, s16, v6
	v_addc_co_u32_e32 v7, vcc, v8, v7, vcc
	global_load_dwordx2 v[23:24], v[6:7], off
	v_ashrrev_i32_e32 v6, 31, v5
	v_lshlrev_b64 v[5:6], 4, v[5:6]
	v_mov_b32_e32 v7, s19
	v_add_co_u32_e32 v5, vcc, s18, v5
	v_addc_co_u32_e32 v6, vcc, v7, v6, vcc
	global_load_dwordx4 v[5:8], v[5:6], off
	v_ashrrev_i32_e32 v10, 31, v9
	v_lshlrev_b64 v[9:10], 4, v[9:10]
	v_mov_b32_e32 v11, s21
	v_add_co_u32_e32 v19, vcc, s20, v9
	v_addc_co_u32_e32 v20, vcc, v11, v10, vcc
	global_load_dwordx2 v[11:12], v[19:20], off
	s_mov_b64 s[10:11], 0
	s_waitcnt vmcnt(2)
	v_fma_f64 v[21:22], v[3:4], v[23:24], v[17:18]
	v_fma_f64 v[23:24], v[1:2], v[23:24], v[15:16]
	s_waitcnt vmcnt(1)
	v_mul_f64 v[9:10], v[7:8], -v[21:22]
	v_fma_f64 v[25:26], v[23:24], v[5:6], v[9:10]
.LBB101_41:                             ;   Parent Loop BB101_35 Depth=1
                                        ; =>  This Inner Loop Header: Depth=2
	s_waitcnt vmcnt(0)
	v_add_f64 v[9:10], v[11:12], v[25:26]
	global_atomic_cmpswap_x2 v[9:10], v[19:20], v[9:12], off glc
	s_waitcnt vmcnt(0)
	v_cmp_eq_u64_e32 vcc, v[9:10], v[11:12]
	v_mov_b32_e32 v12, v10
	s_or_b64 s[10:11], vcc, s[10:11]
	v_mov_b32_e32 v11, v9
	s_andn2_b64 exec, exec, s[10:11]
	s_cbranch_execnz .LBB101_41
; %bb.42:                               ;   in Loop: Header=BB101_35 Depth=1
	s_or_b64 exec, exec, s[10:11]
	global_load_dwordx2 v[9:10], v[19:20], off offset:8
	v_mul_f64 v[7:8], v[23:24], v[7:8]
	s_mov_b64 s[10:11], 0
	v_fma_f64 v[5:6], v[21:22], v[5:6], v[7:8]
.LBB101_43:                             ;   Parent Loop BB101_35 Depth=1
                                        ; =>  This Inner Loop Header: Depth=2
	s_waitcnt vmcnt(0)
	v_add_f64 v[7:8], v[9:10], v[5:6]
	global_atomic_cmpswap_x2 v[7:8], v[19:20], v[7:10], off offset:8 glc
	s_waitcnt vmcnt(0)
	v_cmp_eq_u64_e32 vcc, v[7:8], v[9:10]
	v_mov_b32_e32 v10, v8
	s_or_b64 s[10:11], vcc, s[10:11]
	v_mov_b32_e32 v9, v7
	s_andn2_b64 exec, exec, s[10:11]
	s_cbranch_execnz .LBB101_43
	s_branch .LBB101_34
.LBB101_44:
	s_or_b64 exec, exec, s[6:7]
	s_mov_b64 s[0:1], 0
.LBB101_45:
	s_and_b64 vcc, exec, s[0:1]
	s_cbranch_vccz .LBB101_203
; %bb.46:
	v_cvt_f32_u32_e32 v5, s25
	s_ashr_i32 s1, s22, 31
	s_mov_b32 s0, s22
	s_sub_i32 s2, 0, s25
	v_rcp_iflag_f32_e32 v5, v5
	s_lshl_b64 s[0:1], s[0:1], 2
	s_add_u32 s6, s12, s0
	s_addc_u32 s7, s13, s1
	v_mul_f32_e32 v5, 0x4f7ffffe, v5
	v_cvt_u32_f32_e32 v5, v5
	s_load_dword s30, s[6:7], 0x0
	s_load_dwordx2 s[8:9], s[4:5], 0x4
	s_load_dword s26, s[4:5], 0x74
	s_waitcnt lgkmcnt(0)
	v_add_u32_e32 v9, s30, v28
	v_readfirstlane_b32 s27, v5
	s_mul_i32 s2, s2, s27
	v_add_u32_e32 v20, 0x300, v9
	s_mul_hi_u32 s28, s27, s2
	v_cmp_le_i32_e64 s[0:1], s8, v20
	s_and_saveexec_b64 s[2:3], s[0:1]
	s_xor_b64 s[2:3], exec, s[2:3]
	s_cbranch_execz .LBB101_51
; %bb.47:
	s_ashr_i32 s5, s23, 31
	s_mov_b32 s4, s23
	s_lshl_b64 s[4:5], s[4:5], 2
	s_add_u32 s4, s12, s4
	s_addc_u32 s5, s13, s5
	s_load_dword s4, s[4:5], 0x0
	s_waitcnt lgkmcnt(0)
	s_sub_i32 s8, s4, s30
	v_cmp_gt_i32_e32 vcc, s8, v0
	s_and_saveexec_b64 s[4:5], vcc
	s_cbranch_execz .LBB101_50
; %bb.48:
	s_mov_b32 s10, 0
	s_brev_b32 s11, 1
	v_mul_f64 v[5:6], v[3:4], s[10:11]
	v_mul_f64 v[7:8], v[1:2], 0
	s_mov_b64 s[10:11], 0
	s_sub_i32 s29, s30, s24
	v_mov_b32_e32 v10, s17
	v_mov_b32_e32 v11, v27
	;; [unrolled: 1-line block ×3, first 2 shown]
.LBB101_49:                             ; =>This Inner Loop Header: Depth=1
	v_add_u32_e32 v13, s29, v12
	v_ashrrev_i32_e32 v14, 31, v13
	v_lshlrev_b64 v[13:14], 3, v[13:14]
	v_add_u32_e32 v12, 0x100, v12
	v_add_co_u32_e32 v13, vcc, s16, v13
	v_addc_co_u32_e32 v14, vcc, v10, v14, vcc
	global_load_dwordx2 v[15:16], v[13:14], off
	v_cmp_le_i32_e32 vcc, s8, v12
	s_or_b64 s[10:11], vcc, s[10:11]
	s_waitcnt vmcnt(0)
	v_fma_f64 v[13:14], v[1:2], v[15:16], v[5:6]
	v_fma_f64 v[15:16], v[3:4], v[15:16], v[7:8]
	ds_write_b128 v11, v[13:16]
	v_add_u32_e32 v11, 0x1000, v11
	s_andn2_b64 exec, exec, s[10:11]
	s_cbranch_execnz .LBB101_49
.LBB101_50:
	s_or_b64 exec, exec, s[4:5]
                                        ; implicit-def: $vgpr3_vgpr4
.LBB101_51:
	s_or_saveexec_b64 s[2:3], s[2:3]
	s_and_b32 s31, s26, 0xffff
	s_add_i32 s27, s27, s28
	v_ashrrev_i32_e32 v10, 31, v9
	s_xor_b64 exec, exec, s[2:3]
	s_cbranch_execz .LBB101_53
; %bb.52:
	v_lshlrev_b64 v[5:6], 3, v[9:10]
	v_mov_b32_e32 v7, s17
	v_add_co_u32_e32 v5, vcc, s16, v5
	v_addc_co_u32_e32 v6, vcc, v7, v6, vcc
	s_movk_i32 s4, 0x1000
	global_load_dwordx2 v[7:8], v[5:6], off
	global_load_dwordx2 v[13:14], v[5:6], off offset:2048
	v_add_co_u32_e32 v5, vcc, s4, v5
	v_addc_co_u32_e32 v6, vcc, 0, v6, vcc
	global_load_dwordx2 v[17:18], v[5:6], off
	global_load_dwordx2 v[21:22], v[5:6], off offset:2048
	s_mov_b32 s4, 0
	s_brev_b32 s5, 1
	v_mul_f64 v[23:24], v[3:4], s[4:5]
	v_mul_f64 v[25:26], v[1:2], 0
	s_waitcnt vmcnt(3)
	v_fma_f64 v[5:6], v[1:2], v[7:8], v[23:24]
	v_fma_f64 v[7:8], v[3:4], v[7:8], v[25:26]
	s_waitcnt vmcnt(2)
	v_fma_f64 v[11:12], v[1:2], v[13:14], v[23:24]
	v_fma_f64 v[13:14], v[3:4], v[13:14], v[25:26]
	s_waitcnt vmcnt(1)
	v_fma_f64 v[15:16], v[1:2], v[17:18], v[23:24]
	v_fma_f64 v[17:18], v[3:4], v[17:18], v[25:26]
	s_waitcnt vmcnt(0)
	v_fma_f64 v[1:2], v[1:2], v[21:22], v[23:24]
	v_fma_f64 v[3:4], v[3:4], v[21:22], v[25:26]
	ds_write_b128 v27, v[5:8]
	ds_write_b128 v27, v[11:14] offset:4096
	ds_write_b128 v27, v[15:18] offset:8192
	;; [unrolled: 1-line block ×3, first 2 shown]
.LBB101_53:
	s_or_b64 exec, exec, s[2:3]
	s_mul_hi_u32 s8, s31, s27
	v_cmp_gt_i32_e32 vcc, s9, v0
	s_and_saveexec_b64 s[2:3], vcc
	s_cbranch_execz .LBB101_56
; %bb.54:
	s_mov_b32 s10, 0
	v_mov_b32_e32 v1, 0x4000
	s_mov_b32 s16, s10
	v_lshl_add_u32 v5, v0, 4, v1
	s_mov_b32 s11, s10
	s_mov_b32 s17, s10
	v_mov_b32_e32 v1, s10
	v_mov_b32_e32 v3, s16
	s_mov_b64 s[4:5], 0
	v_mov_b32_e32 v2, s11
	v_mov_b32_e32 v4, s17
	;; [unrolled: 1-line block ×3, first 2 shown]
.LBB101_55:                             ; =>This Inner Loop Header: Depth=1
	v_add_u32_e32 v6, 0x100, v6
	v_cmp_le_i32_e32 vcc, s9, v6
	ds_write2_b64 v5, v[1:2], v[3:4] offset1:1
	s_or_b64 s[4:5], vcc, s[4:5]
	v_add_u32_e32 v5, 0x1000, v5
	s_andn2_b64 exec, exec, s[4:5]
	s_cbranch_execnz .LBB101_55
.LBB101_56:
	s_or_b64 exec, exec, s[2:3]
	s_sub_i32 s2, s23, s9
	s_cmp_ge_i32 s23, s9
	s_cselect_b32 s33, s2, 0
	s_waitcnt lgkmcnt(0)
	s_barrier
	s_and_saveexec_b64 s[2:3], s[0:1]
	s_xor_b64 s[4:5], exec, s[2:3]
	s_cbranch_execz .LBB101_81
; %bb.57:
	s_ashr_i32 s1, s23, 31
	s_mov_b32 s0, s23
	s_lshl_b64 s[0:1], s[0:1], 2
	s_add_u32 s0, s12, s0
	s_addc_u32 s1, s13, s1
	s_load_dword s0, s[0:1], 0x0
	s_waitcnt lgkmcnt(0)
	s_sub_i32 s34, s0, s30
	v_cmp_gt_i32_e32 vcc, s34, v0
	s_and_saveexec_b64 s[10:11], vcc
	s_cbranch_execz .LBB101_80
; %bb.58:
	s_add_i32 s35, s23, -1
	s_add_i32 s1, s23, -2
	s_cmp_lg_u32 s22, s1
	s_cselect_b64 s[2:3], -1, 0
	v_cndmask_b32_e64 v1, 0, 1, s[2:3]
	s_sub_i32 s36, s0, s24
	s_mov_b32 s37, 0
	s_mov_b64 s[16:17], 0
	v_cmp_ne_u32_e64 s[0:1], 1, v1
	v_mov_b32_e32 v18, s13
	v_mov_b32_e32 v19, s15
	;; [unrolled: 1-line block ×4, first 2 shown]
	s_branch .LBB101_61
.LBB101_59:                             ;   in Loop: Header=BB101_61 Depth=1
	s_or_b64 exec, exec, s[2:3]
	v_xor_b32_e32 v6, 0x80000000, v4
	v_mov_b32_e32 v5, v3
.LBB101_60:                             ;   in Loop: Header=BB101_61 Depth=1
	s_or_b64 exec, exec, s[26:27]
	v_ashrrev_i32_e32 v11, 31, v10
	v_lshlrev_b64 v[7:8], 4, v[10:11]
	s_addk_i32 s37, 0x100
	v_add_co_u32_e32 v7, vcc, s18, v7
	v_addc_co_u32_e32 v8, vcc, v20, v8, vcc
	global_load_dwordx4 v[10:13], v[7:8], off
	s_waitcnt vmcnt(0)
	v_mul_f64 v[5:6], v[12:13], v[5:6]
	v_mul_f64 v[7:8], v[12:13], v[1:2]
	v_fma_f64 v[1:2], v[1:2], v[10:11], v[5:6]
	v_fma_f64 v[3:4], v[3:4], v[10:11], v[7:8]
	v_add_u32_e32 v5, s37, v0
	v_cmp_le_i32_e32 vcc, s34, v5
	s_or_b64 s[16:17], vcc, s[16:17]
	ds_write_b128 v22, v[1:4]
	s_andn2_b64 exec, exec, s[16:17]
	s_cbranch_execz .LBB101_80
.LBB101_61:                             ; =>This Loop Header: Depth=1
                                        ;     Child Loop BB101_63 Depth 2
                                        ;     Child Loop BB101_70 Depth 2
	;; [unrolled: 1-line block ×5, first 2 shown]
	v_add_u32_e32 v1, s37, v9
	s_and_b64 vcc, exec, s[0:1]
	v_mov_b32_e32 v5, s22
	v_mov_b32_e32 v3, s35
	s_cbranch_vccnz .LBB101_65
; %bb.62:                               ;   in Loop: Header=BB101_61 Depth=1
	s_mov_b64 s[26:27], 0
	v_mov_b32_e32 v5, s22
	v_mov_b32_e32 v3, s35
.LBB101_63:                             ;   Parent Loop BB101_61 Depth=1
                                        ; =>  This Inner Loop Header: Depth=2
	v_add_u32_e32 v2, v3, v5
	v_lshrrev_b32_e32 v6, 31, v2
	v_add_u32_e32 v2, v2, v6
	v_ashrrev_i32_e32 v6, 1, v2
	v_ashrrev_i32_e32 v7, 31, v6
	v_lshlrev_b64 v[7:8], 2, v[6:7]
	v_mov_b32_e32 v4, s13
	v_add_co_u32_e32 v7, vcc, s12, v7
	v_addc_co_u32_e32 v8, vcc, v4, v8, vcc
	global_load_dword v2, v[7:8], off
	s_waitcnt vmcnt(0)
	v_subrev_u32_e32 v2, s24, v2
	v_cmp_lt_i32_e32 vcc, v1, v2
	v_cndmask_b32_e32 v3, v3, v6, vcc
	v_cndmask_b32_e32 v5, v6, v5, vcc
	v_add_u32_e32 v2, -1, v3
	v_cmp_ge_i32_e32 vcc, v5, v3
	v_cmp_eq_u32_e64 s[2:3], v5, v2
	s_or_b64 s[2:3], vcc, s[2:3]
	s_and_b64 s[2:3], exec, s[2:3]
	s_or_b64 s[26:27], s[2:3], s[26:27]
	s_andn2_b64 exec, exec, s[26:27]
	s_cbranch_execnz .LBB101_63
; %bb.64:                               ;   in Loop: Header=BB101_61 Depth=1
	s_or_b64 exec, exec, s[26:27]
.LBB101_65:                             ;   in Loop: Header=BB101_61 Depth=1
	v_ashrrev_i32_e32 v4, 31, v3
	v_lshlrev_b64 v[6:7], 2, v[3:4]
	v_ashrrev_i32_e32 v2, 31, v1
	v_add_co_u32_e32 v6, vcc, s12, v6
	v_addc_co_u32_e32 v7, vcc, v18, v7, vcc
	global_load_dword v4, v[6:7], off
	v_lshlrev_b64 v[6:7], 2, v[1:2]
	v_lshl_add_u32 v22, s37, 4, v27
	v_add_co_u32_e32 v6, vcc, s14, v6
	v_addc_co_u32_e32 v7, vcc, v19, v7, vcc
	global_load_dword v2, v[6:7], off
	v_cmp_le_i32_e32 vcc, s36, v1
	s_waitcnt vmcnt(1)
	v_subrev_u32_e32 v4, s24, v4
	v_cmp_lt_i32_e64 s[2:3], v1, v4
	v_cndmask_b32_e64 v7, v3, v5, s[2:3]
                                        ; implicit-def: $vgpr5_vgpr6
	s_waitcnt vmcnt(0)
	v_subrev_u32_e32 v10, s24, v2
	v_cmp_eq_u32_e64 s[2:3], v10, v7
	s_or_b64 s[2:3], s[2:3], vcc
                                        ; implicit-def: $vgpr1_vgpr2
	s_and_saveexec_b64 s[26:27], s[2:3]
	s_xor_b64 s[2:3], exec, s[26:27]
	s_cbranch_execz .LBB101_67
; %bb.66:                               ;   in Loop: Header=BB101_61 Depth=1
	ds_read_b128 v[1:4], v22
                                        ; implicit-def: $vgpr7
	s_waitcnt lgkmcnt(0)
	v_xor_b32_e32 v6, 0x80000000, v4
	v_mov_b32_e32 v5, v3
.LBB101_67:                             ;   in Loop: Header=BB101_61 Depth=1
	s_andn2_saveexec_b64 s[26:27], s[2:3]
	s_cbranch_execz .LBB101_60
; %bb.68:                               ;   in Loop: Header=BB101_61 Depth=1
	v_ashrrev_i32_e32 v8, 31, v7
	v_lshlrev_b64 v[1:2], 4, v[7:8]
	v_mov_b32_e32 v3, s19
	v_add_co_u32_e32 v1, vcc, s18, v1
	v_addc_co_u32_e32 v2, vcc, v3, v2, vcc
	global_load_dwordx4 v[5:8], v[1:2], off
	ds_read_b128 v[1:4], v22
	v_cmp_gt_i32_e32 vcc, s33, v10
	v_cmp_le_i32_e64 s[2:3], s23, v10
	s_or_b64 s[2:3], vcc, s[2:3]
	s_waitcnt vmcnt(0) lgkmcnt(0)
	v_mul_f64 v[11:12], v[7:8], -v[3:4]
	v_mul_f64 v[7:8], v[7:8], v[1:2]
	v_fma_f64 v[14:15], v[1:2], v[5:6], v[11:12]
	v_fma_f64 v[12:13], v[3:4], v[5:6], v[7:8]
	s_and_saveexec_b64 s[28:29], s[2:3]
	s_xor_b64 s[2:3], exec, s[28:29]
	s_cbranch_execz .LBB101_74
; %bb.69:                               ;   in Loop: Header=BB101_61 Depth=1
	v_ashrrev_i32_e32 v11, 31, v10
	v_lshlrev_b64 v[5:6], 4, v[10:11]
	v_mov_b32_e32 v7, s21
	v_add_co_u32_e32 v16, vcc, s20, v5
	v_addc_co_u32_e32 v17, vcc, v7, v6, vcc
	global_load_dwordx2 v[7:8], v[16:17], off
	s_mov_b64 s[28:29], 0
.LBB101_70:                             ;   Parent Loop BB101_61 Depth=1
                                        ; =>  This Inner Loop Header: Depth=2
	s_waitcnt vmcnt(0)
	v_add_f64 v[5:6], v[7:8], v[14:15]
	global_atomic_cmpswap_x2 v[5:6], v[16:17], v[5:8], off glc
	s_waitcnt vmcnt(0)
	v_cmp_eq_u64_e32 vcc, v[5:6], v[7:8]
	v_mov_b32_e32 v8, v6
	s_or_b64 s[28:29], vcc, s[28:29]
	v_mov_b32_e32 v7, v5
	s_andn2_b64 exec, exec, s[28:29]
	s_cbranch_execnz .LBB101_70
; %bb.71:                               ;   in Loop: Header=BB101_61 Depth=1
	s_or_b64 exec, exec, s[28:29]
	global_load_dwordx2 v[7:8], v[16:17], off offset:8
	s_mov_b64 s[28:29], 0
.LBB101_72:                             ;   Parent Loop BB101_61 Depth=1
                                        ; =>  This Inner Loop Header: Depth=2
	s_waitcnt vmcnt(0)
	v_add_f64 v[5:6], v[7:8], v[12:13]
	global_atomic_cmpswap_x2 v[5:6], v[16:17], v[5:8], off offset:8 glc
	s_waitcnt vmcnt(0)
	v_cmp_eq_u64_e32 vcc, v[5:6], v[7:8]
	v_mov_b32_e32 v8, v6
	s_or_b64 s[28:29], vcc, s[28:29]
	v_mov_b32_e32 v7, v5
	s_andn2_b64 exec, exec, s[28:29]
	s_cbranch_execnz .LBB101_72
; %bb.73:                               ;   in Loop: Header=BB101_61 Depth=1
	s_or_b64 exec, exec, s[28:29]
                                        ; implicit-def: $vgpr12_vgpr13
                                        ; implicit-def: $vgpr14_vgpr15
.LBB101_74:                             ;   in Loop: Header=BB101_61 Depth=1
	s_andn2_saveexec_b64 s[2:3], s[2:3]
	s_cbranch_execz .LBB101_59
; %bb.75:                               ;   in Loop: Header=BB101_61 Depth=1
	v_subrev_u32_e32 v5, s33, v10
	v_lshl_add_u32 v7, v5, 4, v21
	ds_read_b64 v[5:6], v7
	s_mov_b64 s[28:29], 0
.LBB101_76:                             ;   Parent Loop BB101_61 Depth=1
                                        ; =>  This Inner Loop Header: Depth=2
	s_waitcnt lgkmcnt(0)
	v_add_f64 v[16:17], v[5:6], v[14:15]
	ds_cmpst_rtn_b64 v[16:17], v7, v[5:6], v[16:17]
	s_waitcnt lgkmcnt(0)
	v_cmp_eq_u64_e32 vcc, v[16:17], v[5:6]
	v_mov_b32_e32 v5, v16
	s_or_b64 s[28:29], vcc, s[28:29]
	v_mov_b32_e32 v6, v17
	s_andn2_b64 exec, exec, s[28:29]
	s_cbranch_execnz .LBB101_76
; %bb.77:                               ;   in Loop: Header=BB101_61 Depth=1
	s_or_b64 exec, exec, s[28:29]
	ds_read_b64 v[5:6], v7 offset:8
	s_mov_b64 s[28:29], 0
.LBB101_78:                             ;   Parent Loop BB101_61 Depth=1
                                        ; =>  This Inner Loop Header: Depth=2
	s_waitcnt lgkmcnt(0)
	v_add_f64 v[14:15], v[5:6], v[12:13]
	ds_cmpst_rtn_b64 v[14:15], v7, v[5:6], v[14:15] offset:8
	s_waitcnt lgkmcnt(0)
	v_cmp_eq_u64_e32 vcc, v[14:15], v[5:6]
	v_mov_b32_e32 v5, v14
	s_or_b64 s[28:29], vcc, s[28:29]
	v_mov_b32_e32 v6, v15
	s_andn2_b64 exec, exec, s[28:29]
	s_cbranch_execnz .LBB101_78
; %bb.79:                               ;   in Loop: Header=BB101_61 Depth=1
	s_or_b64 exec, exec, s[28:29]
	s_branch .LBB101_59
.LBB101_80:
	s_or_b64 exec, exec, s[10:11]
                                        ; implicit-def: $vgpr20
                                        ; implicit-def: $vgpr9
.LBB101_81:
	s_andn2_saveexec_b64 s[4:5], s[4:5]
	s_cbranch_execz .LBB101_167
; %bb.82:
	s_add_i32 s28, s23, -1
	s_add_i32 s0, s23, -2
	s_cmp_lg_u32 s22, s0
	s_cselect_b64 s[2:3], -1, 0
	s_cmp_eq_u32 s22, s0
	v_mov_b32_e32 v3, s22
	v_mov_b32_e32 v1, s28
	s_cbranch_scc1 .LBB101_86
; %bb.83:
	s_mov_b64 s[10:11], 0
	v_mov_b32_e32 v3, s22
	v_mov_b32_e32 v1, s28
	;; [unrolled: 1-line block ×3, first 2 shown]
.LBB101_84:                             ; =>This Inner Loop Header: Depth=1
	v_add_u32_e32 v4, v1, v3
	v_lshrrev_b32_e32 v5, 31, v4
	v_add_u32_e32 v4, v4, v5
	v_ashrrev_i32_e32 v4, 1, v4
	v_ashrrev_i32_e32 v5, 31, v4
	v_lshlrev_b64 v[5:6], 2, v[4:5]
	v_add_co_u32_e32 v5, vcc, s12, v5
	v_addc_co_u32_e32 v6, vcc, v2, v6, vcc
	global_load_dword v5, v[5:6], off
	s_waitcnt vmcnt(0)
	v_subrev_u32_e32 v5, s24, v5
	v_cmp_lt_i32_e32 vcc, v9, v5
	v_cndmask_b32_e32 v1, v1, v4, vcc
	v_cndmask_b32_e32 v3, v4, v3, vcc
	v_add_u32_e32 v4, -1, v1
	v_cmp_ge_i32_e32 vcc, v3, v1
	v_cmp_eq_u32_e64 s[0:1], v3, v4
	s_or_b64 s[0:1], vcc, s[0:1]
	s_and_b64 s[0:1], exec, s[0:1]
	s_or_b64 s[10:11], s[0:1], s[10:11]
	s_andn2_b64 exec, exec, s[10:11]
	s_cbranch_execnz .LBB101_84
; %bb.85:
	s_or_b64 exec, exec, s[10:11]
.LBB101_86:
	v_ashrrev_i32_e32 v2, 31, v1
	v_lshlrev_b64 v[4:5], 2, v[1:2]
	v_mov_b32_e32 v2, s13
	v_add_co_u32_e32 v4, vcc, s12, v4
	v_addc_co_u32_e32 v5, vcc, v2, v5, vcc
	global_load_dword v2, v[4:5], off
	v_lshlrev_b64 v[4:5], 2, v[9:10]
	v_mov_b32_e32 v6, s15
	v_add_co_u32_e32 v10, vcc, s14, v4
	v_addc_co_u32_e32 v11, vcc, v6, v5, vcc
	global_load_dword v4, v[10:11], off
	s_ashr_i32 s1, s23, 31
	s_mov_b32 s0, s23
	s_lshl_b64 s[0:1], s[0:1], 2
	s_add_u32 s10, s12, s0
	s_addc_u32 s11, s13, s1
	s_waitcnt vmcnt(1)
	v_subrev_u32_e32 v2, s24, v2
	v_cmp_lt_i32_e32 vcc, v9, v2
	v_cndmask_b32_e32 v5, v1, v3, vcc
	s_waitcnt vmcnt(0)
	v_subrev_u32_e32 v12, s24, v4
	v_cmp_ne_u32_e32 vcc, v12, v5
                                        ; implicit-def: $vgpr1_vgpr2
	s_and_saveexec_b64 s[0:1], vcc
	s_xor_b64 s[14:15], exec, s[0:1]
	s_cbranch_execz .LBB101_101
; %bb.87:
	s_load_dword s0, s[10:11], 0x0
	ds_read_b128 v[1:4], v27
	s_waitcnt lgkmcnt(0)
	s_sub_i32 s0, s0, s24
	v_cmp_gt_i32_e32 vcc, s0, v9
	s_and_saveexec_b64 s[16:17], vcc
	s_cbranch_execz .LBB101_100
; %bb.88:
	v_ashrrev_i32_e32 v6, 31, v5
	v_lshlrev_b64 v[5:6], 4, v[5:6]
	v_mov_b32_e32 v7, s19
	v_add_co_u32_e32 v5, vcc, s18, v5
	v_addc_co_u32_e32 v6, vcc, v7, v6, vcc
	global_load_dwordx4 v[5:8], v[5:6], off
	v_cmp_gt_i32_e32 vcc, s33, v12
	v_cmp_le_i32_e64 s[0:1], s23, v12
	s_or_b64 s[0:1], vcc, s[0:1]
	s_waitcnt vmcnt(0)
	v_mul_f64 v[13:14], v[7:8], -v[3:4]
	v_mul_f64 v[7:8], v[7:8], v[1:2]
	v_fma_f64 v[16:17], v[1:2], v[5:6], v[13:14]
	v_fma_f64 v[14:15], v[3:4], v[5:6], v[7:8]
	s_and_saveexec_b64 s[26:27], s[0:1]
	s_xor_b64 s[0:1], exec, s[26:27]
	s_cbranch_execz .LBB101_94
; %bb.89:
	v_ashrrev_i32_e32 v13, 31, v12
	v_lshlrev_b64 v[5:6], 4, v[12:13]
	v_mov_b32_e32 v7, s21
	v_add_co_u32_e32 v18, vcc, s20, v5
	v_addc_co_u32_e32 v19, vcc, v7, v6, vcc
	global_load_dwordx2 v[7:8], v[18:19], off
	s_mov_b64 s[26:27], 0
.LBB101_90:                             ; =>This Inner Loop Header: Depth=1
	s_waitcnt vmcnt(0)
	v_add_f64 v[5:6], v[7:8], v[16:17]
	global_atomic_cmpswap_x2 v[5:6], v[18:19], v[5:8], off glc
	s_waitcnt vmcnt(0)
	v_cmp_eq_u64_e32 vcc, v[5:6], v[7:8]
	v_mov_b32_e32 v8, v6
	s_or_b64 s[26:27], vcc, s[26:27]
	v_mov_b32_e32 v7, v5
	s_andn2_b64 exec, exec, s[26:27]
	s_cbranch_execnz .LBB101_90
; %bb.91:
	s_or_b64 exec, exec, s[26:27]
	global_load_dwordx2 v[7:8], v[18:19], off offset:8
	s_mov_b64 s[26:27], 0
.LBB101_92:                             ; =>This Inner Loop Header: Depth=1
	s_waitcnt vmcnt(0)
	v_add_f64 v[5:6], v[7:8], v[14:15]
	global_atomic_cmpswap_x2 v[5:6], v[18:19], v[5:8], off offset:8 glc
	s_waitcnt vmcnt(0)
	v_cmp_eq_u64_e32 vcc, v[5:6], v[7:8]
	v_mov_b32_e32 v8, v6
	s_or_b64 s[26:27], vcc, s[26:27]
	v_mov_b32_e32 v7, v5
	s_andn2_b64 exec, exec, s[26:27]
	s_cbranch_execnz .LBB101_92
; %bb.93:
	s_or_b64 exec, exec, s[26:27]
                                        ; implicit-def: $vgpr14_vgpr15
                                        ; implicit-def: $vgpr16_vgpr17
.LBB101_94:
	s_andn2_saveexec_b64 s[0:1], s[0:1]
	s_cbranch_execz .LBB101_100
; %bb.95:
	v_subrev_u32_e32 v5, s33, v12
	v_mov_b32_e32 v6, 0x4000
	v_lshl_add_u32 v7, v5, 4, v6
	ds_read_b64 v[5:6], v7
	s_mov_b64 s[0:1], 0
.LBB101_96:                             ; =>This Inner Loop Header: Depth=1
	s_waitcnt lgkmcnt(0)
	v_add_f64 v[18:19], v[5:6], v[16:17]
	ds_cmpst_rtn_b64 v[18:19], v7, v[5:6], v[18:19]
	s_waitcnt lgkmcnt(0)
	v_cmp_eq_u64_e32 vcc, v[18:19], v[5:6]
	v_mov_b32_e32 v5, v18
	s_or_b64 s[0:1], vcc, s[0:1]
	v_mov_b32_e32 v6, v19
	s_andn2_b64 exec, exec, s[0:1]
	s_cbranch_execnz .LBB101_96
; %bb.97:
	s_or_b64 exec, exec, s[0:1]
	ds_read_b64 v[5:6], v7 offset:8
	s_mov_b64 s[0:1], 0
.LBB101_98:                             ; =>This Inner Loop Header: Depth=1
	s_waitcnt lgkmcnt(0)
	v_add_f64 v[16:17], v[5:6], v[14:15]
	ds_cmpst_rtn_b64 v[16:17], v7, v[5:6], v[16:17] offset:8
	s_waitcnt lgkmcnt(0)
	v_cmp_eq_u64_e32 vcc, v[16:17], v[5:6]
	v_mov_b32_e32 v5, v16
	s_or_b64 s[0:1], vcc, s[0:1]
	v_mov_b32_e32 v6, v17
	s_andn2_b64 exec, exec, s[0:1]
	s_cbranch_execnz .LBB101_98
; %bb.99:
	s_or_b64 exec, exec, s[0:1]
.LBB101_100:
	s_or_b64 exec, exec, s[16:17]
.LBB101_101:
	s_andn2_saveexec_b64 s[0:1], s[14:15]
; %bb.102:
	ds_read_b128 v[1:4], v27
; %bb.103:
	s_or_b64 exec, exec, s[0:1]
	v_ashrrev_i32_e32 v13, 31, v12
	v_lshlrev_b64 v[5:6], 4, v[12:13]
	v_mov_b32_e32 v7, s19
	v_add_co_u32_e32 v5, vcc, s18, v5
	v_addc_co_u32_e32 v6, vcc, v7, v6, vcc
	global_load_dwordx4 v[5:8], v[5:6], off
	s_andn2_b64 vcc, exec, s[2:3]
	s_waitcnt vmcnt(0) lgkmcnt(0)
	v_mul_f64 v[12:13], v[7:8], -v[3:4]
	v_mul_f64 v[7:8], v[7:8], v[1:2]
	v_fma_f64 v[12:13], v[1:2], v[5:6], v[12:13]
	v_fma_f64 v[14:15], v[3:4], v[5:6], v[7:8]
	v_cndmask_b32_e64 v1, 0, 1, s[2:3]
	v_add_u32_e32 v6, 0x100, v9
	v_mov_b32_e32 v3, s22
	v_cmp_ne_u32_e64 s[0:1], 1, v1
	v_mov_b32_e32 v1, s28
	ds_write_b128 v27, v[12:15]
	s_cbranch_vccnz .LBB101_107
; %bb.104:
	s_mov_b64 s[14:15], 0
	v_mov_b32_e32 v3, s22
	v_mov_b32_e32 v1, s28
	;; [unrolled: 1-line block ×3, first 2 shown]
.LBB101_105:                            ; =>This Inner Loop Header: Depth=1
	v_add_u32_e32 v4, v1, v3
	v_lshrrev_b32_e32 v5, 31, v4
	v_add_u32_e32 v4, v4, v5
	v_ashrrev_i32_e32 v4, 1, v4
	v_ashrrev_i32_e32 v5, 31, v4
	v_lshlrev_b64 v[7:8], 2, v[4:5]
	v_add_co_u32_e32 v7, vcc, s12, v7
	v_addc_co_u32_e32 v8, vcc, v2, v8, vcc
	global_load_dword v5, v[7:8], off
	s_waitcnt vmcnt(0)
	v_subrev_u32_e32 v5, s24, v5
	v_cmp_lt_i32_e32 vcc, v6, v5
	v_cndmask_b32_e32 v1, v1, v4, vcc
	v_cndmask_b32_e32 v3, v4, v3, vcc
	v_add_u32_e32 v4, -1, v1
	v_cmp_ge_i32_e32 vcc, v3, v1
	v_cmp_eq_u32_e64 s[2:3], v3, v4
	s_or_b64 s[2:3], vcc, s[2:3]
	s_and_b64 s[2:3], exec, s[2:3]
	s_or_b64 s[14:15], s[2:3], s[14:15]
	s_andn2_b64 exec, exec, s[14:15]
	s_cbranch_execnz .LBB101_105
; %bb.106:
	s_or_b64 exec, exec, s[14:15]
.LBB101_107:
	v_ashrrev_i32_e32 v2, 31, v1
	v_lshlrev_b64 v[4:5], 2, v[1:2]
	v_mov_b32_e32 v2, s13
	v_add_co_u32_e32 v4, vcc, s12, v4
	v_addc_co_u32_e32 v5, vcc, v2, v5, vcc
	global_load_dword v2, v[4:5], off
	global_load_dword v7, v[10:11], off offset:1024
	s_waitcnt vmcnt(1)
	v_subrev_u32_e32 v2, s24, v2
	v_cmp_lt_i32_e32 vcc, v6, v2
	v_cndmask_b32_e32 v5, v1, v3, vcc
	s_waitcnt vmcnt(0)
	v_subrev_u32_e32 v12, s24, v7
	v_cmp_ne_u32_e32 vcc, v12, v5
                                        ; implicit-def: $vgpr1_vgpr2
	s_and_saveexec_b64 s[2:3], vcc
	s_xor_b64 s[14:15], exec, s[2:3]
	s_cbranch_execz .LBB101_122
; %bb.108:
	s_load_dword s2, s[10:11], 0x0
	ds_read_b128 v[1:4], v27 offset:4096
	s_waitcnt lgkmcnt(0)
	s_sub_i32 s2, s2, s24
	v_cmp_gt_i32_e32 vcc, s2, v6
	s_and_saveexec_b64 s[16:17], vcc
	s_cbranch_execz .LBB101_121
; %bb.109:
	v_ashrrev_i32_e32 v6, 31, v5
	v_lshlrev_b64 v[5:6], 4, v[5:6]
	v_mov_b32_e32 v7, s19
	v_add_co_u32_e32 v5, vcc, s18, v5
	v_addc_co_u32_e32 v6, vcc, v7, v6, vcc
	global_load_dwordx4 v[5:8], v[5:6], off
	v_cmp_gt_i32_e32 vcc, s33, v12
	v_cmp_le_i32_e64 s[2:3], s23, v12
	s_or_b64 s[2:3], vcc, s[2:3]
	s_waitcnt vmcnt(0)
	v_mul_f64 v[13:14], v[7:8], -v[3:4]
	v_mul_f64 v[7:8], v[7:8], v[1:2]
	v_fma_f64 v[16:17], v[1:2], v[5:6], v[13:14]
	v_fma_f64 v[14:15], v[3:4], v[5:6], v[7:8]
	s_and_saveexec_b64 s[26:27], s[2:3]
	s_xor_b64 s[2:3], exec, s[26:27]
	s_cbranch_execz .LBB101_115
; %bb.110:
	v_ashrrev_i32_e32 v13, 31, v12
	v_lshlrev_b64 v[5:6], 4, v[12:13]
	v_mov_b32_e32 v7, s21
	v_add_co_u32_e32 v18, vcc, s20, v5
	v_addc_co_u32_e32 v19, vcc, v7, v6, vcc
	global_load_dwordx2 v[7:8], v[18:19], off
	s_mov_b64 s[26:27], 0
.LBB101_111:                            ; =>This Inner Loop Header: Depth=1
	s_waitcnt vmcnt(0)
	v_add_f64 v[5:6], v[7:8], v[16:17]
	global_atomic_cmpswap_x2 v[5:6], v[18:19], v[5:8], off glc
	s_waitcnt vmcnt(0)
	v_cmp_eq_u64_e32 vcc, v[5:6], v[7:8]
	v_mov_b32_e32 v8, v6
	s_or_b64 s[26:27], vcc, s[26:27]
	v_mov_b32_e32 v7, v5
	s_andn2_b64 exec, exec, s[26:27]
	s_cbranch_execnz .LBB101_111
; %bb.112:
	s_or_b64 exec, exec, s[26:27]
	global_load_dwordx2 v[7:8], v[18:19], off offset:8
	s_mov_b64 s[26:27], 0
.LBB101_113:                            ; =>This Inner Loop Header: Depth=1
	s_waitcnt vmcnt(0)
	v_add_f64 v[5:6], v[7:8], v[14:15]
	global_atomic_cmpswap_x2 v[5:6], v[18:19], v[5:8], off offset:8 glc
	s_waitcnt vmcnt(0)
	v_cmp_eq_u64_e32 vcc, v[5:6], v[7:8]
	v_mov_b32_e32 v8, v6
	s_or_b64 s[26:27], vcc, s[26:27]
	v_mov_b32_e32 v7, v5
	s_andn2_b64 exec, exec, s[26:27]
	s_cbranch_execnz .LBB101_113
; %bb.114:
	s_or_b64 exec, exec, s[26:27]
                                        ; implicit-def: $vgpr14_vgpr15
                                        ; implicit-def: $vgpr16_vgpr17
.LBB101_115:
	s_andn2_saveexec_b64 s[2:3], s[2:3]
	s_cbranch_execz .LBB101_121
; %bb.116:
	v_subrev_u32_e32 v5, s33, v12
	v_mov_b32_e32 v6, 0x4000
	v_lshl_add_u32 v7, v5, 4, v6
	ds_read_b64 v[5:6], v7
	s_mov_b64 s[2:3], 0
.LBB101_117:                            ; =>This Inner Loop Header: Depth=1
	s_waitcnt lgkmcnt(0)
	v_add_f64 v[18:19], v[5:6], v[16:17]
	ds_cmpst_rtn_b64 v[18:19], v7, v[5:6], v[18:19]
	s_waitcnt lgkmcnt(0)
	v_cmp_eq_u64_e32 vcc, v[18:19], v[5:6]
	v_mov_b32_e32 v5, v18
	s_or_b64 s[2:3], vcc, s[2:3]
	v_mov_b32_e32 v6, v19
	s_andn2_b64 exec, exec, s[2:3]
	s_cbranch_execnz .LBB101_117
; %bb.118:
	s_or_b64 exec, exec, s[2:3]
	ds_read_b64 v[5:6], v7 offset:8
	s_mov_b64 s[2:3], 0
.LBB101_119:                            ; =>This Inner Loop Header: Depth=1
	s_waitcnt lgkmcnt(0)
	v_add_f64 v[16:17], v[5:6], v[14:15]
	ds_cmpst_rtn_b64 v[16:17], v7, v[5:6], v[16:17] offset:8
	s_waitcnt lgkmcnt(0)
	v_cmp_eq_u64_e32 vcc, v[16:17], v[5:6]
	v_mov_b32_e32 v5, v16
	s_or_b64 s[2:3], vcc, s[2:3]
	v_mov_b32_e32 v6, v17
	s_andn2_b64 exec, exec, s[2:3]
	s_cbranch_execnz .LBB101_119
; %bb.120:
	s_or_b64 exec, exec, s[2:3]
.LBB101_121:
	s_or_b64 exec, exec, s[16:17]
.LBB101_122:
	s_andn2_saveexec_b64 s[2:3], s[14:15]
; %bb.123:
	ds_read_b128 v[1:4], v27 offset:4096
; %bb.124:
	s_or_b64 exec, exec, s[2:3]
	v_ashrrev_i32_e32 v13, 31, v12
	v_lshlrev_b64 v[5:6], 4, v[12:13]
	v_mov_b32_e32 v7, s19
	v_add_co_u32_e32 v5, vcc, s18, v5
	v_addc_co_u32_e32 v6, vcc, v7, v6, vcc
	global_load_dwordx4 v[5:8], v[5:6], off
	s_and_b64 vcc, exec, s[0:1]
	s_waitcnt vmcnt(0) lgkmcnt(0)
	v_mul_f64 v[12:13], v[7:8], -v[3:4]
	v_mul_f64 v[7:8], v[7:8], v[1:2]
	v_fma_f64 v[12:13], v[1:2], v[5:6], v[12:13]
	v_fma_f64 v[14:15], v[3:4], v[5:6], v[7:8]
	v_add_u32_e32 v6, 0x200, v9
	v_mov_b32_e32 v3, s22
	v_mov_b32_e32 v1, s28
	ds_write_b128 v27, v[12:15] offset:4096
	s_cbranch_vccnz .LBB101_128
; %bb.125:
	s_mov_b64 s[14:15], 0
	v_mov_b32_e32 v3, s22
	v_mov_b32_e32 v1, s28
	;; [unrolled: 1-line block ×3, first 2 shown]
.LBB101_126:                            ; =>This Inner Loop Header: Depth=1
	v_add_u32_e32 v4, v1, v3
	v_lshrrev_b32_e32 v5, 31, v4
	v_add_u32_e32 v4, v4, v5
	v_ashrrev_i32_e32 v4, 1, v4
	v_ashrrev_i32_e32 v5, 31, v4
	v_lshlrev_b64 v[7:8], 2, v[4:5]
	v_add_co_u32_e32 v7, vcc, s12, v7
	v_addc_co_u32_e32 v8, vcc, v2, v8, vcc
	global_load_dword v5, v[7:8], off
	s_waitcnt vmcnt(0)
	v_subrev_u32_e32 v5, s24, v5
	v_cmp_lt_i32_e32 vcc, v6, v5
	v_cndmask_b32_e32 v1, v1, v4, vcc
	v_cndmask_b32_e32 v3, v4, v3, vcc
	v_add_u32_e32 v4, -1, v1
	v_cmp_ge_i32_e32 vcc, v3, v1
	v_cmp_eq_u32_e64 s[2:3], v3, v4
	s_or_b64 s[2:3], vcc, s[2:3]
	s_and_b64 s[2:3], exec, s[2:3]
	s_or_b64 s[14:15], s[2:3], s[14:15]
	s_andn2_b64 exec, exec, s[14:15]
	s_cbranch_execnz .LBB101_126
; %bb.127:
	s_or_b64 exec, exec, s[14:15]
.LBB101_128:
	v_ashrrev_i32_e32 v2, 31, v1
	v_lshlrev_b64 v[4:5], 2, v[1:2]
	v_mov_b32_e32 v2, s13
	v_add_co_u32_e32 v4, vcc, s12, v4
	v_addc_co_u32_e32 v5, vcc, v2, v5, vcc
	global_load_dword v2, v[4:5], off
	global_load_dword v7, v[10:11], off offset:2048
	s_waitcnt vmcnt(1)
	v_subrev_u32_e32 v2, s24, v2
	v_cmp_lt_i32_e32 vcc, v6, v2
	v_cndmask_b32_e32 v5, v1, v3, vcc
	s_waitcnt vmcnt(0)
	v_subrev_u32_e32 v12, s24, v7
	v_cmp_ne_u32_e32 vcc, v12, v5
                                        ; implicit-def: $vgpr1_vgpr2
	s_and_saveexec_b64 s[2:3], vcc
	s_xor_b64 s[14:15], exec, s[2:3]
	s_cbranch_execz .LBB101_143
; %bb.129:
	s_load_dword s2, s[10:11], 0x0
	ds_read_b128 v[1:4], v27 offset:8192
	s_waitcnt lgkmcnt(0)
	s_sub_i32 s2, s2, s24
	v_cmp_gt_i32_e32 vcc, s2, v6
	s_and_saveexec_b64 s[16:17], vcc
	s_cbranch_execz .LBB101_142
; %bb.130:
	v_ashrrev_i32_e32 v6, 31, v5
	v_lshlrev_b64 v[5:6], 4, v[5:6]
	v_mov_b32_e32 v7, s19
	v_add_co_u32_e32 v5, vcc, s18, v5
	v_addc_co_u32_e32 v6, vcc, v7, v6, vcc
	global_load_dwordx4 v[5:8], v[5:6], off
	v_cmp_gt_i32_e32 vcc, s33, v12
	v_cmp_le_i32_e64 s[2:3], s23, v12
	s_or_b64 s[2:3], vcc, s[2:3]
	s_waitcnt vmcnt(0)
	v_mul_f64 v[13:14], v[7:8], -v[3:4]
	v_mul_f64 v[7:8], v[7:8], v[1:2]
	v_fma_f64 v[16:17], v[1:2], v[5:6], v[13:14]
	v_fma_f64 v[14:15], v[3:4], v[5:6], v[7:8]
	s_and_saveexec_b64 s[26:27], s[2:3]
	s_xor_b64 s[2:3], exec, s[26:27]
	s_cbranch_execz .LBB101_136
; %bb.131:
	v_ashrrev_i32_e32 v13, 31, v12
	v_lshlrev_b64 v[5:6], 4, v[12:13]
	v_mov_b32_e32 v7, s21
	v_add_co_u32_e32 v18, vcc, s20, v5
	v_addc_co_u32_e32 v19, vcc, v7, v6, vcc
	global_load_dwordx2 v[7:8], v[18:19], off
	s_mov_b64 s[26:27], 0
.LBB101_132:                            ; =>This Inner Loop Header: Depth=1
	s_waitcnt vmcnt(0)
	v_add_f64 v[5:6], v[7:8], v[16:17]
	global_atomic_cmpswap_x2 v[5:6], v[18:19], v[5:8], off glc
	s_waitcnt vmcnt(0)
	v_cmp_eq_u64_e32 vcc, v[5:6], v[7:8]
	v_mov_b32_e32 v8, v6
	s_or_b64 s[26:27], vcc, s[26:27]
	v_mov_b32_e32 v7, v5
	s_andn2_b64 exec, exec, s[26:27]
	s_cbranch_execnz .LBB101_132
; %bb.133:
	s_or_b64 exec, exec, s[26:27]
	global_load_dwordx2 v[7:8], v[18:19], off offset:8
	s_mov_b64 s[26:27], 0
.LBB101_134:                            ; =>This Inner Loop Header: Depth=1
	s_waitcnt vmcnt(0)
	v_add_f64 v[5:6], v[7:8], v[14:15]
	global_atomic_cmpswap_x2 v[5:6], v[18:19], v[5:8], off offset:8 glc
	s_waitcnt vmcnt(0)
	v_cmp_eq_u64_e32 vcc, v[5:6], v[7:8]
	v_mov_b32_e32 v8, v6
	s_or_b64 s[26:27], vcc, s[26:27]
	v_mov_b32_e32 v7, v5
	s_andn2_b64 exec, exec, s[26:27]
	s_cbranch_execnz .LBB101_134
; %bb.135:
	s_or_b64 exec, exec, s[26:27]
                                        ; implicit-def: $vgpr14_vgpr15
                                        ; implicit-def: $vgpr16_vgpr17
.LBB101_136:
	s_andn2_saveexec_b64 s[2:3], s[2:3]
	s_cbranch_execz .LBB101_142
; %bb.137:
	v_subrev_u32_e32 v5, s33, v12
	v_mov_b32_e32 v6, 0x4000
	v_lshl_add_u32 v7, v5, 4, v6
	ds_read_b64 v[5:6], v7
	s_mov_b64 s[2:3], 0
.LBB101_138:                            ; =>This Inner Loop Header: Depth=1
	s_waitcnt lgkmcnt(0)
	v_add_f64 v[8:9], v[5:6], v[16:17]
	ds_cmpst_rtn_b64 v[8:9], v7, v[5:6], v[8:9]
	s_waitcnt lgkmcnt(0)
	v_cmp_eq_u64_e32 vcc, v[8:9], v[5:6]
	v_mov_b32_e32 v5, v8
	s_or_b64 s[2:3], vcc, s[2:3]
	v_mov_b32_e32 v6, v9
	s_andn2_b64 exec, exec, s[2:3]
	s_cbranch_execnz .LBB101_138
; %bb.139:
	s_or_b64 exec, exec, s[2:3]
	ds_read_b64 v[5:6], v7 offset:8
	s_mov_b64 s[2:3], 0
.LBB101_140:                            ; =>This Inner Loop Header: Depth=1
	s_waitcnt lgkmcnt(0)
	v_add_f64 v[8:9], v[5:6], v[14:15]
	ds_cmpst_rtn_b64 v[8:9], v7, v[5:6], v[8:9] offset:8
	s_waitcnt lgkmcnt(0)
	v_cmp_eq_u64_e32 vcc, v[8:9], v[5:6]
	v_mov_b32_e32 v5, v8
	s_or_b64 s[2:3], vcc, s[2:3]
	v_mov_b32_e32 v6, v9
	s_andn2_b64 exec, exec, s[2:3]
	s_cbranch_execnz .LBB101_140
; %bb.141:
	s_or_b64 exec, exec, s[2:3]
.LBB101_142:
	s_or_b64 exec, exec, s[16:17]
.LBB101_143:
	s_andn2_saveexec_b64 s[2:3], s[14:15]
; %bb.144:
	ds_read_b128 v[1:4], v27 offset:8192
; %bb.145:
	s_or_b64 exec, exec, s[2:3]
	v_ashrrev_i32_e32 v13, 31, v12
	v_lshlrev_b64 v[5:6], 4, v[12:13]
	v_mov_b32_e32 v7, s19
	v_add_co_u32_e32 v5, vcc, s18, v5
	v_addc_co_u32_e32 v6, vcc, v7, v6, vcc
	global_load_dwordx4 v[5:8], v[5:6], off
	s_and_b64 vcc, exec, s[0:1]
	s_waitcnt vmcnt(0) lgkmcnt(0)
	v_mul_f64 v[12:13], v[7:8], -v[3:4]
	v_mul_f64 v[7:8], v[7:8], v[1:2]
	v_fma_f64 v[12:13], v[1:2], v[5:6], v[12:13]
	v_fma_f64 v[14:15], v[3:4], v[5:6], v[7:8]
	v_mov_b32_e32 v3, s22
	v_mov_b32_e32 v1, s28
	ds_write_b128 v27, v[12:15] offset:8192
	s_cbranch_vccnz .LBB101_149
; %bb.146:
	s_mov_b64 s[2:3], 0
	v_mov_b32_e32 v3, s22
	v_mov_b32_e32 v1, s28
	;; [unrolled: 1-line block ×3, first 2 shown]
.LBB101_147:                            ; =>This Inner Loop Header: Depth=1
	v_add_u32_e32 v4, v1, v3
	v_lshrrev_b32_e32 v5, 31, v4
	v_add_u32_e32 v4, v4, v5
	v_ashrrev_i32_e32 v4, 1, v4
	v_ashrrev_i32_e32 v5, 31, v4
	v_lshlrev_b64 v[5:6], 2, v[4:5]
	v_add_co_u32_e32 v5, vcc, s12, v5
	v_addc_co_u32_e32 v6, vcc, v2, v6, vcc
	global_load_dword v5, v[5:6], off
	s_waitcnt vmcnt(0)
	v_subrev_u32_e32 v5, s24, v5
	v_cmp_lt_i32_e32 vcc, v20, v5
	v_cndmask_b32_e32 v1, v1, v4, vcc
	v_cndmask_b32_e32 v3, v4, v3, vcc
	v_add_u32_e32 v4, -1, v1
	v_cmp_ge_i32_e32 vcc, v3, v1
	v_cmp_eq_u32_e64 s[0:1], v3, v4
	s_or_b64 s[0:1], vcc, s[0:1]
	s_and_b64 s[0:1], exec, s[0:1]
	s_or_b64 s[2:3], s[0:1], s[2:3]
	s_andn2_b64 exec, exec, s[2:3]
	s_cbranch_execnz .LBB101_147
; %bb.148:
	s_or_b64 exec, exec, s[2:3]
.LBB101_149:
	v_ashrrev_i32_e32 v2, 31, v1
	v_lshlrev_b64 v[4:5], 2, v[1:2]
	v_mov_b32_e32 v2, s13
	v_add_co_u32_e32 v4, vcc, s12, v4
	v_addc_co_u32_e32 v5, vcc, v2, v5, vcc
	global_load_dword v2, v[4:5], off
	global_load_dword v6, v[10:11], off offset:3072
	s_waitcnt vmcnt(1)
	v_subrev_u32_e32 v2, s24, v2
	v_cmp_lt_i32_e32 vcc, v20, v2
	v_cndmask_b32_e32 v5, v1, v3, vcc
	s_waitcnt vmcnt(0)
	v_subrev_u32_e32 v9, s24, v6
	v_cmp_ne_u32_e32 vcc, v9, v5
                                        ; implicit-def: $vgpr1_vgpr2
	s_and_saveexec_b64 s[0:1], vcc
	s_xor_b64 s[2:3], exec, s[0:1]
	s_cbranch_execz .LBB101_164
; %bb.150:
	s_load_dword s0, s[10:11], 0x0
	ds_read_b128 v[1:4], v27 offset:12288
	s_waitcnt lgkmcnt(0)
	s_sub_i32 s0, s0, s24
	v_cmp_gt_i32_e32 vcc, s0, v20
	s_and_saveexec_b64 s[10:11], vcc
	s_cbranch_execz .LBB101_163
; %bb.151:
	v_ashrrev_i32_e32 v6, 31, v5
	v_lshlrev_b64 v[5:6], 4, v[5:6]
	v_mov_b32_e32 v7, s19
	v_add_co_u32_e32 v5, vcc, s18, v5
	v_addc_co_u32_e32 v6, vcc, v7, v6, vcc
	global_load_dwordx4 v[5:8], v[5:6], off
	v_cmp_gt_i32_e32 vcc, s33, v9
	v_cmp_le_i32_e64 s[0:1], s23, v9
	s_or_b64 s[0:1], vcc, s[0:1]
	s_waitcnt vmcnt(0)
	v_mul_f64 v[10:11], v[7:8], -v[3:4]
	v_mul_f64 v[7:8], v[7:8], v[1:2]
	v_fma_f64 v[13:14], v[1:2], v[5:6], v[10:11]
	v_fma_f64 v[11:12], v[3:4], v[5:6], v[7:8]
	s_and_saveexec_b64 s[14:15], s[0:1]
	s_xor_b64 s[0:1], exec, s[14:15]
	s_cbranch_execz .LBB101_157
; %bb.152:
	v_ashrrev_i32_e32 v10, 31, v9
	v_lshlrev_b64 v[5:6], 4, v[9:10]
	v_mov_b32_e32 v7, s21
	v_add_co_u32_e32 v15, vcc, s20, v5
	v_addc_co_u32_e32 v16, vcc, v7, v6, vcc
	global_load_dwordx2 v[7:8], v[15:16], off
	s_mov_b64 s[14:15], 0
.LBB101_153:                            ; =>This Inner Loop Header: Depth=1
	s_waitcnt vmcnt(0)
	v_add_f64 v[5:6], v[7:8], v[13:14]
	global_atomic_cmpswap_x2 v[5:6], v[15:16], v[5:8], off glc
	s_waitcnt vmcnt(0)
	v_cmp_eq_u64_e32 vcc, v[5:6], v[7:8]
	v_mov_b32_e32 v8, v6
	s_or_b64 s[14:15], vcc, s[14:15]
	v_mov_b32_e32 v7, v5
	s_andn2_b64 exec, exec, s[14:15]
	s_cbranch_execnz .LBB101_153
; %bb.154:
	s_or_b64 exec, exec, s[14:15]
	global_load_dwordx2 v[7:8], v[15:16], off offset:8
	s_mov_b64 s[14:15], 0
.LBB101_155:                            ; =>This Inner Loop Header: Depth=1
	s_waitcnt vmcnt(0)
	v_add_f64 v[5:6], v[7:8], v[11:12]
	global_atomic_cmpswap_x2 v[5:6], v[15:16], v[5:8], off offset:8 glc
	s_waitcnt vmcnt(0)
	v_cmp_eq_u64_e32 vcc, v[5:6], v[7:8]
	v_mov_b32_e32 v8, v6
	s_or_b64 s[14:15], vcc, s[14:15]
	v_mov_b32_e32 v7, v5
	s_andn2_b64 exec, exec, s[14:15]
	s_cbranch_execnz .LBB101_155
; %bb.156:
	s_or_b64 exec, exec, s[14:15]
                                        ; implicit-def: $vgpr11_vgpr12
                                        ; implicit-def: $vgpr13_vgpr14
.LBB101_157:
	s_andn2_saveexec_b64 s[0:1], s[0:1]
	s_cbranch_execz .LBB101_163
; %bb.158:
	v_subrev_u32_e32 v5, s33, v9
	v_mov_b32_e32 v6, 0x4000
	v_lshl_add_u32 v7, v5, 4, v6
	ds_read_b64 v[5:6], v7
	s_mov_b64 s[0:1], 0
.LBB101_159:                            ; =>This Inner Loop Header: Depth=1
	s_waitcnt lgkmcnt(0)
	v_add_f64 v[15:16], v[5:6], v[13:14]
	ds_cmpst_rtn_b64 v[15:16], v7, v[5:6], v[15:16]
	s_waitcnt lgkmcnt(0)
	v_cmp_eq_u64_e32 vcc, v[15:16], v[5:6]
	v_mov_b32_e32 v5, v15
	s_or_b64 s[0:1], vcc, s[0:1]
	v_mov_b32_e32 v6, v16
	s_andn2_b64 exec, exec, s[0:1]
	s_cbranch_execnz .LBB101_159
; %bb.160:
	s_or_b64 exec, exec, s[0:1]
	ds_read_b64 v[5:6], v7 offset:8
	s_mov_b64 s[0:1], 0
.LBB101_161:                            ; =>This Inner Loop Header: Depth=1
	s_waitcnt lgkmcnt(0)
	v_add_f64 v[13:14], v[5:6], v[11:12]
	ds_cmpst_rtn_b64 v[13:14], v7, v[5:6], v[13:14] offset:8
	s_waitcnt lgkmcnt(0)
	v_cmp_eq_u64_e32 vcc, v[13:14], v[5:6]
	v_mov_b32_e32 v5, v13
	s_or_b64 s[0:1], vcc, s[0:1]
	v_mov_b32_e32 v6, v14
	s_andn2_b64 exec, exec, s[0:1]
	s_cbranch_execnz .LBB101_161
; %bb.162:
	s_or_b64 exec, exec, s[0:1]
.LBB101_163:
	s_or_b64 exec, exec, s[10:11]
.LBB101_164:
	s_andn2_saveexec_b64 s[0:1], s[2:3]
; %bb.165:
	ds_read_b128 v[1:4], v27 offset:12288
; %bb.166:
	s_or_b64 exec, exec, s[0:1]
	v_ashrrev_i32_e32 v10, 31, v9
	v_lshlrev_b64 v[5:6], 4, v[9:10]
	v_mov_b32_e32 v7, s19
	v_add_co_u32_e32 v5, vcc, s18, v5
	v_addc_co_u32_e32 v6, vcc, v7, v6, vcc
	global_load_dwordx4 v[5:8], v[5:6], off
	s_waitcnt vmcnt(0) lgkmcnt(0)
	v_mul_f64 v[9:10], v[7:8], -v[3:4]
	v_mul_f64 v[7:8], v[7:8], v[1:2]
	v_fma_f64 v[1:2], v[1:2], v[5:6], v[9:10]
	v_fma_f64 v[3:4], v[3:4], v[5:6], v[7:8]
	ds_write_b128 v27, v[1:4] offset:12288
.LBB101_167:
	s_or_b64 exec, exec, s[4:5]
	s_min_i32 s9, s23, s9
	s_sub_i32 s10, s9, s25
	v_cmp_gt_i32_e32 vcc, s10, v0
	s_waitcnt lgkmcnt(0)
	s_barrier
	s_and_saveexec_b64 s[0:1], vcc
	s_cbranch_execz .LBB101_174
; %bb.168:
	s_mov_b64 s[2:3], 0
	v_mov_b32_e32 v11, s21
	v_mov_b32_e32 v12, 0x4000
	;; [unrolled: 1-line block ×3, first 2 shown]
.LBB101_169:                            ; =>This Loop Header: Depth=1
                                        ;     Child Loop BB101_170 Depth 2
                                        ;     Child Loop BB101_172 Depth 2
	v_add_u32_e32 v1, s33, v13
	v_ashrrev_i32_e32 v2, 31, v1
	v_lshlrev_b64 v[1:2], 4, v[1:2]
	s_mov_b64 s[4:5], 0
	v_add_co_u32_e32 v9, vcc, s20, v1
	v_addc_co_u32_e32 v10, vcc, v11, v2, vcc
	global_load_dwordx2 v[7:8], v[9:10], off
	v_lshl_add_u32 v1, v13, 4, v12
	ds_read2_b64 v[1:4], v1 offset1:1
.LBB101_170:                            ;   Parent Loop BB101_169 Depth=1
                                        ; =>  This Inner Loop Header: Depth=2
	s_waitcnt vmcnt(0) lgkmcnt(0)
	v_add_f64 v[5:6], v[7:8], v[1:2]
	global_atomic_cmpswap_x2 v[5:6], v[9:10], v[5:8], off glc
	s_waitcnt vmcnt(0)
	v_cmp_eq_u64_e32 vcc, v[5:6], v[7:8]
	v_mov_b32_e32 v8, v6
	s_or_b64 s[4:5], vcc, s[4:5]
	v_mov_b32_e32 v7, v5
	s_andn2_b64 exec, exec, s[4:5]
	s_cbranch_execnz .LBB101_170
; %bb.171:                              ;   in Loop: Header=BB101_169 Depth=1
	s_or_b64 exec, exec, s[4:5]
	global_load_dwordx2 v[7:8], v[9:10], off offset:8
	s_mov_b64 s[4:5], 0
.LBB101_172:                            ;   Parent Loop BB101_169 Depth=1
                                        ; =>  This Inner Loop Header: Depth=2
	s_waitcnt vmcnt(0)
	v_add_f64 v[5:6], v[7:8], v[3:4]
	global_atomic_cmpswap_x2 v[1:2], v[9:10], v[5:8], off offset:8 glc
	s_waitcnt vmcnt(0)
	v_cmp_eq_u64_e32 vcc, v[1:2], v[7:8]
	v_mov_b32_e32 v8, v2
	s_or_b64 s[4:5], vcc, s[4:5]
	v_mov_b32_e32 v7, v1
	s_andn2_b64 exec, exec, s[4:5]
	s_cbranch_execnz .LBB101_172
; %bb.173:                              ;   in Loop: Header=BB101_169 Depth=1
	s_or_b64 exec, exec, s[4:5]
	v_add_u32_e32 v13, 0x100, v13
	v_cmp_le_i32_e32 vcc, s10, v13
	s_or_b64 s[2:3], vcc, s[2:3]
	s_andn2_b64 exec, exec, s[2:3]
	s_cbranch_execnz .LBB101_169
.LBB101_174:
	s_or_b64 exec, exec, s[0:1]
	s_mul_i32 s0, s8, s25
	s_sub_i32 s0, s31, s0
	s_add_i32 s1, s8, 1
	s_sub_i32 s2, s0, s25
	s_cmp_ge_u32 s0, s25
	s_cselect_b32 s1, s1, s8
	s_cselect_b32 s0, s2, s0
	s_add_i32 s2, s1, 1
	s_cmp_ge_u32 s0, s25
	s_cselect_b32 s0, s2, s1
	s_add_i32 s0, s0, -1
	s_ashr_i32 s1, s0, 1
	s_or_b32 s0, s1, s0
	s_ashr_i32 s1, s0, 2
	s_or_b32 s0, s1, s0
	;; [unrolled: 2-line block ×5, first 2 shown]
	s_add_i32 s0, s0, 1
	s_ashr_i32 s11, s0, 1
	v_add_u32_e32 v9, s22, v0
	s_cmp_gt_i32 s11, 1
	s_mov_b64 s[0:1], -1
	s_barrier
	s_cbranch_scc1 .LBB101_187
; %bb.175:
	v_cmp_gt_i32_e32 vcc, s23, v9
	s_and_saveexec_b64 s[0:1], vcc
	s_cbranch_execz .LBB101_186
; %bb.176:
	s_sub_i32 s2, s9, s23
	s_lshl_b32 s2, s2, 4
	s_add_i32 s14, s2, 0x4000
	s_lshl_b32 s2, s30, 4
	s_sub_i32 s15, 0, s2
	s_mov_b64 s[2:3], 0
	v_mov_b32_e32 v16, s13
	v_mov_b32_e32 v17, s21
	;; [unrolled: 1-line block ×3, first 2 shown]
.LBB101_177:                            ; =>This Loop Header: Depth=1
                                        ;     Child Loop BB101_179 Depth 2
                                        ;     Child Loop BB101_182 Depth 2
	;; [unrolled: 1-line block ×3, first 2 shown]
	v_ashrrev_i32_e32 v11, 31, v10
	v_lshlrev_b64 v[1:2], 2, v[10:11]
	v_mov_b32_e32 v12, 0
	v_add_co_u32_e32 v1, vcc, s12, v1
	v_addc_co_u32_e32 v2, vcc, v16, v2, vcc
	global_load_dwordx2 v[1:2], v[1:2], off
	v_mov_b32_e32 v5, 0
	v_mov_b32_e32 v13, 0
	;; [unrolled: 1-line block ×3, first 2 shown]
	s_waitcnt vmcnt(0)
	v_cmp_lt_i32_e32 vcc, v1, v2
	s_and_saveexec_b64 s[4:5], vcc
	s_cbranch_execz .LBB101_181
; %bb.178:                              ;   in Loop: Header=BB101_177 Depth=1
	v_mov_b32_e32 v12, 0
	v_mov_b32_e32 v5, 0
	v_subrev_u32_e32 v2, s30, v2
	v_subrev_u32_e32 v3, s30, v1
	v_lshl_add_u32 v1, v1, 4, s15
	v_mov_b32_e32 v13, 0
	v_mov_b32_e32 v6, 0
	s_mov_b64 s[8:9], 0
.LBB101_179:                            ;   Parent Loop BB101_177 Depth=1
                                        ; =>  This Inner Loop Header: Depth=2
	ds_read_b128 v[18:21], v1
	v_add_u32_e32 v3, 1, v3
	v_cmp_ge_i32_e32 vcc, v3, v2
	s_or_b64 s[8:9], vcc, s[8:9]
	v_add_u32_e32 v1, 16, v1
	s_waitcnt lgkmcnt(0)
	v_add_f64 v[5:6], v[5:6], v[18:19]
	v_add_f64 v[12:13], v[12:13], v[20:21]
	s_andn2_b64 exec, exec, s[8:9]
	s_cbranch_execnz .LBB101_179
; %bb.180:                              ;   in Loop: Header=BB101_177 Depth=1
	s_or_b64 exec, exec, s[8:9]
.LBB101_181:                            ;   in Loop: Header=BB101_177 Depth=1
	s_or_b64 exec, exec, s[4:5]
	v_lshlrev_b64 v[1:2], 4, v[10:11]
	s_mov_b64 s[4:5], 0
	v_add_co_u32_e32 v14, vcc, s20, v1
	v_addc_co_u32_e32 v15, vcc, v17, v2, vcc
	global_load_dwordx2 v[7:8], v[14:15], off
	v_lshl_add_u32 v1, v10, 4, s14
	ds_read2_b64 v[1:4], v1 offset1:1
	s_waitcnt lgkmcnt(0)
	v_add_f64 v[1:2], v[5:6], v[1:2]
.LBB101_182:                            ;   Parent Loop BB101_177 Depth=1
                                        ; =>  This Inner Loop Header: Depth=2
	s_waitcnt vmcnt(0)
	v_add_f64 v[5:6], v[7:8], v[1:2]
	global_atomic_cmpswap_x2 v[5:6], v[14:15], v[5:8], off glc
	s_waitcnt vmcnt(0)
	v_cmp_eq_u64_e32 vcc, v[5:6], v[7:8]
	v_mov_b32_e32 v8, v6
	s_or_b64 s[4:5], vcc, s[4:5]
	v_mov_b32_e32 v7, v5
	s_andn2_b64 exec, exec, s[4:5]
	s_cbranch_execnz .LBB101_182
; %bb.183:                              ;   in Loop: Header=BB101_177 Depth=1
	s_or_b64 exec, exec, s[4:5]
	global_load_dwordx2 v[5:6], v[14:15], off offset:8
	v_add_f64 v[1:2], v[12:13], v[3:4]
	s_mov_b64 s[4:5], 0
.LBB101_184:                            ;   Parent Loop BB101_177 Depth=1
                                        ; =>  This Inner Loop Header: Depth=2
	s_waitcnt vmcnt(0)
	v_add_f64 v[3:4], v[5:6], v[1:2]
	global_atomic_cmpswap_x2 v[3:4], v[14:15], v[3:6], off offset:8 glc
	s_waitcnt vmcnt(0)
	v_cmp_eq_u64_e32 vcc, v[3:4], v[5:6]
	v_mov_b32_e32 v6, v4
	s_or_b64 s[4:5], vcc, s[4:5]
	v_mov_b32_e32 v5, v3
	s_andn2_b64 exec, exec, s[4:5]
	s_cbranch_execnz .LBB101_184
; %bb.185:                              ;   in Loop: Header=BB101_177 Depth=1
	s_or_b64 exec, exec, s[4:5]
	v_add_u32_e32 v10, s31, v10
	v_cmp_le_i32_e32 vcc, s23, v10
	s_or_b64 s[2:3], vcc, s[2:3]
	s_andn2_b64 exec, exec, s[2:3]
	s_cbranch_execnz .LBB101_177
.LBB101_186:
	s_or_b64 exec, exec, s[0:1]
	s_mov_b64 s[0:1], 0
.LBB101_187:
	s_andn2_b64 vcc, exec, s[0:1]
	s_cbranch_vccnz .LBB101_203
; %bb.188:
	v_cvt_f32_u32_e32 v1, s11
	s_sub_i32 s0, 0, s11
	v_rcp_iflag_f32_e32 v1, v1
	v_mul_f32_e32 v1, 0x4f7ffffe, v1
	v_cvt_u32_f32_e32 v1, v1
	v_mul_lo_u32 v2, s0, v1
	v_mul_hi_u32 v2, v1, v2
	v_add_u32_e32 v1, v1, v2
	v_mul_hi_u32 v1, v0, v1
	v_mul_lo_u32 v2, v1, s11
	v_add_u32_e32 v3, 1, v1
	v_sub_u32_e32 v2, v0, v2
	v_cmp_le_u32_e32 vcc, s11, v2
	v_cndmask_b32_e32 v1, v1, v3, vcc
	v_subrev_u32_e32 v3, s11, v2
	v_cndmask_b32_e32 v2, v2, v3, vcc
	v_add_u32_e32 v3, 1, v1
	v_cmp_le_u32_e32 vcc, s11, v2
	v_cndmask_b32_e32 v7, v1, v3, vcc
	v_lshlrev_b32_e32 v1, 2, v7
	global_load_dwordx2 v[5:6], v1, s[6:7]
	v_mov_b32_e32 v3, 0
	v_mov_b32_e32 v1, 0
	;; [unrolled: 1-line block ×4, first 2 shown]
	v_cmp_gt_i32_e32 vcc, s25, v7
	s_and_saveexec_b64 s[0:1], vcc
	s_cbranch_execz .LBB101_196
; %bb.189:
	s_abs_i32 s4, s11
	v_cvt_f32_u32_e32 v1, s4
	s_sub_i32 s2, 0, s4
	s_waitcnt vmcnt(0)
	v_subrev_u32_e32 v5, s30, v5
	v_subrev_u32_e32 v7, s30, v6
	v_rcp_iflag_f32_e32 v1, v1
	v_sub_u32_e32 v6, v7, v5
	v_sub_u32_e32 v3, 0, v6
	v_max_i32_e32 v12, v6, v3
	v_mul_f32_e32 v1, 0x4f7ffffe, v1
	v_cvt_u32_f32_e32 v1, v1
	s_ashr_i32 s5, s11, 31
	v_ashrrev_i32_e32 v6, 31, v6
	v_xor_b32_e32 v6, s5, v6
	v_mul_lo_u32 v2, s2, v1
	s_add_i32 s6, s11, -1
	v_mov_b32_e32 v3, 0
	v_and_b32_e32 v8, s6, v0
	v_mul_hi_u32 v2, v1, v2
	v_mov_b32_e32 v4, 0
	v_add_u32_e32 v1, v1, v2
	v_mad_u64_u32 v[10:11], s[2:3], v12, v1, 0
	v_mov_b32_e32 v1, 0
	v_mov_b32_e32 v2, 0
	v_mul_lo_u32 v10, v11, s4
	v_add_u32_e32 v13, 1, v11
	v_sub_u32_e32 v10, v12, v10
	v_cmp_le_u32_e32 vcc, s4, v10
	v_subrev_u32_e32 v12, s4, v10
	v_cndmask_b32_e32 v11, v11, v13, vcc
	v_cndmask_b32_e32 v10, v10, v12, vcc
	v_add_u32_e32 v12, 1, v11
	v_cmp_le_u32_e32 vcc, s4, v10
	v_cndmask_b32_e32 v10, v11, v12, vcc
	v_xor_b32_e32 v10, v10, v6
	v_sub_u32_e32 v6, v10, v6
	v_cmp_lt_i32_e32 vcc, 0, v6
	v_lshlrev_b32_e32 v10, 4, v8
	s_and_saveexec_b64 s[2:3], vcc
	s_cbranch_execz .LBB101_193
; %bb.190:
	v_mov_b32_e32 v3, 0
	v_mov_b32_e32 v4, 0
	;; [unrolled: 1-line block ×3, first 2 shown]
	v_lshl_add_u32 v11, v5, 4, v10
	s_lshl_b32 s6, s11, 4
	s_mov_b64 s[4:5], 0
	v_mov_b32_e32 v12, v6
	v_mov_b32_e32 v2, v4
.LBB101_191:                            ; =>This Inner Loop Header: Depth=1
	ds_read_b128 v[13:16], v11
	v_add_u32_e32 v12, -1, v12
	v_cmp_eq_u32_e32 vcc, 0, v12
	s_or_b64 s[4:5], vcc, s[4:5]
	v_add_u32_e32 v11, s6, v11
	s_waitcnt lgkmcnt(0)
	v_add_f64 v[1:2], v[1:2], v[13:14]
	v_add_f64 v[3:4], v[3:4], v[15:16]
	s_andn2_b64 exec, exec, s[4:5]
	s_cbranch_execnz .LBB101_191
; %bb.192:
	s_or_b64 exec, exec, s[4:5]
.LBB101_193:
	s_or_b64 exec, exec, s[2:3]
	v_mad_u64_u32 v[5:6], s[2:3], v6, s11, v[5:6]
	v_sub_u32_e32 v6, v7, v5
	v_cmp_lt_i32_e32 vcc, v8, v6
	s_and_saveexec_b64 s[2:3], vcc
	s_cbranch_execz .LBB101_195
; %bb.194:
	v_lshl_add_u32 v5, v5, 4, v10
	ds_read_b128 v[5:8], v5
	s_waitcnt lgkmcnt(0)
	v_add_f64 v[1:2], v[1:2], v[5:6]
	v_add_f64 v[3:4], v[3:4], v[7:8]
.LBB101_195:
	s_or_b64 exec, exec, s[2:3]
.LBB101_196:
	s_or_b64 exec, exec, s[0:1]
	v_cmp_gt_i32_e32 vcc, s25, v0
	s_waitcnt vmcnt(0)
	s_barrier
	ds_write_b128 v27, v[1:4]
	s_waitcnt lgkmcnt(0)
	s_barrier
	s_and_b64 exec, exec, vcc
	s_cbranch_execz .LBB101_203
; %bb.197:
	v_mul_lo_u32 v1, s11, v0
	v_mov_b32_e32 v11, 0
	v_mov_b32_e32 v4, 0
	;; [unrolled: 1-line block ×4, first 2 shown]
	v_lshlrev_b32_e32 v1, 4, v1
.LBB101_198:                            ; =>This Inner Loop Header: Depth=1
	ds_read_b128 v[13:16], v1
	s_add_i32 s11, s11, -1
	s_cmp_eq_u32 s11, 0
	v_add_u32_e32 v1, 16, v1
	s_waitcnt lgkmcnt(0)
	v_add_f64 v[4:5], v[4:5], v[13:14]
	v_add_f64 v[11:12], v[11:12], v[15:16]
	s_cbranch_scc0 .LBB101_198
; %bb.199:
	v_ashrrev_i32_e32 v10, 31, v9
	v_lshlrev_b64 v[1:2], 4, v[9:10]
	v_mov_b32_e32 v3, s21
	v_add_co_u32_e32 v8, vcc, s20, v1
	v_addc_co_u32_e32 v9, vcc, v3, v2, vcc
	global_load_dwordx2 v[6:7], v[8:9], off
	s_lshl_b32 s0, s10, 4
	s_addk_i32 s0, 0x4000
	v_lshl_add_u32 v0, v0, 4, s0
	ds_read2_b64 v[0:3], v0 offset1:1
	s_mov_b64 s[0:1], 0
	s_waitcnt lgkmcnt(0)
	v_add_f64 v[0:1], v[4:5], v[0:1]
.LBB101_200:                            ; =>This Inner Loop Header: Depth=1
	s_waitcnt vmcnt(0)
	v_add_f64 v[4:5], v[6:7], v[0:1]
	global_atomic_cmpswap_x2 v[4:5], v[8:9], v[4:7], off glc
	s_waitcnt vmcnt(0)
	v_cmp_eq_u64_e32 vcc, v[4:5], v[6:7]
	v_mov_b32_e32 v7, v5
	s_or_b64 s[0:1], vcc, s[0:1]
	v_mov_b32_e32 v6, v4
	s_andn2_b64 exec, exec, s[0:1]
	s_cbranch_execnz .LBB101_200
; %bb.201:
	s_or_b64 exec, exec, s[0:1]
	global_load_dwordx2 v[4:5], v[8:9], off offset:8
	v_add_f64 v[0:1], v[11:12], v[2:3]
	s_mov_b64 s[0:1], 0
.LBB101_202:                            ; =>This Inner Loop Header: Depth=1
	s_waitcnt vmcnt(0)
	v_add_f64 v[2:3], v[4:5], v[0:1]
	global_atomic_cmpswap_x2 v[2:3], v[8:9], v[2:5], off offset:8 glc
	s_waitcnt vmcnt(0)
	v_cmp_eq_u64_e32 vcc, v[2:3], v[4:5]
	v_mov_b32_e32 v5, v3
	s_or_b64 s[0:1], vcc, s[0:1]
	v_mov_b32_e32 v4, v2
	s_andn2_b64 exec, exec, s[0:1]
	s_cbranch_execnz .LBB101_202
.LBB101_203:
	s_endpgm
	.section	.rodata,"a",@progbits
	.p2align	6, 0x0
	.amdhsa_kernel _ZN9rocsparseL27csrmvn_symm_adaptive_kernelIiid21rocsparse_complex_numIdES2_S2_EEvbT_S3_PKS3_NS_24const_host_device_scalarIT4_EES5_PKT0_PKT1_PKT2_S8_PT3_21rocsparse_index_base_b
		.amdhsa_group_segment_fixed_size 16384
		.amdhsa_private_segment_fixed_size 0
		.amdhsa_kernarg_size 360
		.amdhsa_user_sgpr_count 6
		.amdhsa_user_sgpr_private_segment_buffer 1
		.amdhsa_user_sgpr_dispatch_ptr 0
		.amdhsa_user_sgpr_queue_ptr 0
		.amdhsa_user_sgpr_kernarg_segment_ptr 1
		.amdhsa_user_sgpr_dispatch_id 0
		.amdhsa_user_sgpr_flat_scratch_init 0
		.amdhsa_user_sgpr_private_segment_size 0
		.amdhsa_uses_dynamic_stack 0
		.amdhsa_system_sgpr_private_segment_wavefront_offset 0
		.amdhsa_system_sgpr_workgroup_id_x 1
		.amdhsa_system_sgpr_workgroup_id_y 0
		.amdhsa_system_sgpr_workgroup_id_z 0
		.amdhsa_system_sgpr_workgroup_info 0
		.amdhsa_system_vgpr_workitem_id 0
		.amdhsa_next_free_vgpr 49
		.amdhsa_next_free_sgpr 98
		.amdhsa_reserve_vcc 1
		.amdhsa_reserve_flat_scratch 0
		.amdhsa_float_round_mode_32 0
		.amdhsa_float_round_mode_16_64 0
		.amdhsa_float_denorm_mode_32 3
		.amdhsa_float_denorm_mode_16_64 3
		.amdhsa_dx10_clamp 1
		.amdhsa_ieee_mode 1
		.amdhsa_fp16_overflow 0
		.amdhsa_exception_fp_ieee_invalid_op 0
		.amdhsa_exception_fp_denorm_src 0
		.amdhsa_exception_fp_ieee_div_zero 0
		.amdhsa_exception_fp_ieee_overflow 0
		.amdhsa_exception_fp_ieee_underflow 0
		.amdhsa_exception_fp_ieee_inexact 0
		.amdhsa_exception_int_div_zero 0
	.end_amdhsa_kernel
	.section	.text._ZN9rocsparseL27csrmvn_symm_adaptive_kernelIiid21rocsparse_complex_numIdES2_S2_EEvbT_S3_PKS3_NS_24const_host_device_scalarIT4_EES5_PKT0_PKT1_PKT2_S8_PT3_21rocsparse_index_base_b,"axG",@progbits,_ZN9rocsparseL27csrmvn_symm_adaptive_kernelIiid21rocsparse_complex_numIdES2_S2_EEvbT_S3_PKS3_NS_24const_host_device_scalarIT4_EES5_PKT0_PKT1_PKT2_S8_PT3_21rocsparse_index_base_b,comdat
.Lfunc_end101:
	.size	_ZN9rocsparseL27csrmvn_symm_adaptive_kernelIiid21rocsparse_complex_numIdES2_S2_EEvbT_S3_PKS3_NS_24const_host_device_scalarIT4_EES5_PKT0_PKT1_PKT2_S8_PT3_21rocsparse_index_base_b, .Lfunc_end101-_ZN9rocsparseL27csrmvn_symm_adaptive_kernelIiid21rocsparse_complex_numIdES2_S2_EEvbT_S3_PKS3_NS_24const_host_device_scalarIT4_EES5_PKT0_PKT1_PKT2_S8_PT3_21rocsparse_index_base_b
                                        ; -- End function
	.set _ZN9rocsparseL27csrmvn_symm_adaptive_kernelIiid21rocsparse_complex_numIdES2_S2_EEvbT_S3_PKS3_NS_24const_host_device_scalarIT4_EES5_PKT0_PKT1_PKT2_S8_PT3_21rocsparse_index_base_b.num_vgpr, 31
	.set _ZN9rocsparseL27csrmvn_symm_adaptive_kernelIiid21rocsparse_complex_numIdES2_S2_EEvbT_S3_PKS3_NS_24const_host_device_scalarIT4_EES5_PKT0_PKT1_PKT2_S8_PT3_21rocsparse_index_base_b.num_agpr, 0
	.set _ZN9rocsparseL27csrmvn_symm_adaptive_kernelIiid21rocsparse_complex_numIdES2_S2_EEvbT_S3_PKS3_NS_24const_host_device_scalarIT4_EES5_PKT0_PKT1_PKT2_S8_PT3_21rocsparse_index_base_b.numbered_sgpr, 38
	.set _ZN9rocsparseL27csrmvn_symm_adaptive_kernelIiid21rocsparse_complex_numIdES2_S2_EEvbT_S3_PKS3_NS_24const_host_device_scalarIT4_EES5_PKT0_PKT1_PKT2_S8_PT3_21rocsparse_index_base_b.num_named_barrier, 0
	.set _ZN9rocsparseL27csrmvn_symm_adaptive_kernelIiid21rocsparse_complex_numIdES2_S2_EEvbT_S3_PKS3_NS_24const_host_device_scalarIT4_EES5_PKT0_PKT1_PKT2_S8_PT3_21rocsparse_index_base_b.private_seg_size, 0
	.set _ZN9rocsparseL27csrmvn_symm_adaptive_kernelIiid21rocsparse_complex_numIdES2_S2_EEvbT_S3_PKS3_NS_24const_host_device_scalarIT4_EES5_PKT0_PKT1_PKT2_S8_PT3_21rocsparse_index_base_b.uses_vcc, 1
	.set _ZN9rocsparseL27csrmvn_symm_adaptive_kernelIiid21rocsparse_complex_numIdES2_S2_EEvbT_S3_PKS3_NS_24const_host_device_scalarIT4_EES5_PKT0_PKT1_PKT2_S8_PT3_21rocsparse_index_base_b.uses_flat_scratch, 0
	.set _ZN9rocsparseL27csrmvn_symm_adaptive_kernelIiid21rocsparse_complex_numIdES2_S2_EEvbT_S3_PKS3_NS_24const_host_device_scalarIT4_EES5_PKT0_PKT1_PKT2_S8_PT3_21rocsparse_index_base_b.has_dyn_sized_stack, 0
	.set _ZN9rocsparseL27csrmvn_symm_adaptive_kernelIiid21rocsparse_complex_numIdES2_S2_EEvbT_S3_PKS3_NS_24const_host_device_scalarIT4_EES5_PKT0_PKT1_PKT2_S8_PT3_21rocsparse_index_base_b.has_recursion, 0
	.set _ZN9rocsparseL27csrmvn_symm_adaptive_kernelIiid21rocsparse_complex_numIdES2_S2_EEvbT_S3_PKS3_NS_24const_host_device_scalarIT4_EES5_PKT0_PKT1_PKT2_S8_PT3_21rocsparse_index_base_b.has_indirect_call, 0
	.section	.AMDGPU.csdata,"",@progbits
; Kernel info:
; codeLenInByte = 8676
; TotalNumSgprs: 42
; NumVgprs: 31
; ScratchSize: 0
; MemoryBound: 0
; FloatMode: 240
; IeeeMode: 1
; LDSByteSize: 16384 bytes/workgroup (compile time only)
; SGPRBlocks: 12
; VGPRBlocks: 12
; NumSGPRsForWavesPerEU: 102
; NumVGPRsForWavesPerEU: 49
; Occupancy: 4
; WaveLimiterHint : 1
; COMPUTE_PGM_RSRC2:SCRATCH_EN: 0
; COMPUTE_PGM_RSRC2:USER_SGPR: 6
; COMPUTE_PGM_RSRC2:TRAP_HANDLER: 0
; COMPUTE_PGM_RSRC2:TGID_X_EN: 1
; COMPUTE_PGM_RSRC2:TGID_Y_EN: 0
; COMPUTE_PGM_RSRC2:TGID_Z_EN: 0
; COMPUTE_PGM_RSRC2:TIDIG_COMP_CNT: 0
	.section	.text._ZL33csrmvn_symm_large_adaptive_kernelIiid21rocsparse_complex_numIdES1_S1_EvbT_PKS2_N9rocsparse24const_host_device_scalarIT4_EES4_PKT0_PKT1_PKT2_S8_PT3_21rocsparse_index_base_b,"axG",@progbits,_ZL33csrmvn_symm_large_adaptive_kernelIiid21rocsparse_complex_numIdES1_S1_EvbT_PKS2_N9rocsparse24const_host_device_scalarIT4_EES4_PKT0_PKT1_PKT2_S8_PT3_21rocsparse_index_base_b,comdat
	.globl	_ZL33csrmvn_symm_large_adaptive_kernelIiid21rocsparse_complex_numIdES1_S1_EvbT_PKS2_N9rocsparse24const_host_device_scalarIT4_EES4_PKT0_PKT1_PKT2_S8_PT3_21rocsparse_index_base_b ; -- Begin function _ZL33csrmvn_symm_large_adaptive_kernelIiid21rocsparse_complex_numIdES1_S1_EvbT_PKS2_N9rocsparse24const_host_device_scalarIT4_EES4_PKT0_PKT1_PKT2_S8_PT3_21rocsparse_index_base_b
	.p2align	8
	.type	_ZL33csrmvn_symm_large_adaptive_kernelIiid21rocsparse_complex_numIdES1_S1_EvbT_PKS2_N9rocsparse24const_host_device_scalarIT4_EES4_PKT0_PKT1_PKT2_S8_PT3_21rocsparse_index_base_b,@function
_ZL33csrmvn_symm_large_adaptive_kernelIiid21rocsparse_complex_numIdES1_S1_EvbT_PKS2_N9rocsparse24const_host_device_scalarIT4_EES4_PKT0_PKT1_PKT2_S8_PT3_21rocsparse_index_base_b: ; @_ZL33csrmvn_symm_large_adaptive_kernelIiid21rocsparse_complex_numIdES1_S1_EvbT_PKS2_N9rocsparse24const_host_device_scalarIT4_EES4_PKT0_PKT1_PKT2_S8_PT3_21rocsparse_index_base_b
; %bb.0:
	s_load_dwordx2 s[10:11], s[4:5], 0x58
	s_load_dwordx2 s[0:1], s[4:5], 0x10
	s_add_u32 s7, s4, 16
	s_addc_u32 s12, s5, 0
	s_waitcnt lgkmcnt(0)
	s_bitcmp1_b32 s11, 0
	s_cselect_b64 s[8:9], -1, 0
	s_and_b64 s[2:3], s[8:9], exec
	s_cselect_b32 s1, s12, s1
	s_cselect_b32 s0, s7, s0
	v_mov_b32_e32 v1, s0
	v_mov_b32_e32 v2, s1
	flat_load_dwordx4 v[1:4], v[1:2]
	s_waitcnt vmcnt(0) lgkmcnt(0)
	v_cmp_eq_f64_e32 vcc, 0, v[1:2]
	v_cmp_eq_f64_e64 s[0:1], 0, v[3:4]
	s_and_b64 s[12:13], vcc, s[0:1]
	s_mov_b64 s[0:1], -1
	s_and_saveexec_b64 s[2:3], s[12:13]
	s_cbranch_execz .LBB102_2
; %bb.1:
	s_load_dwordx2 s[0:1], s[4:5], 0x40
	s_add_u32 s7, s4, 64
	s_addc_u32 s11, s5, 0
	s_and_b64 s[8:9], s[8:9], exec
	s_waitcnt lgkmcnt(0)
	s_cselect_b32 s1, s11, s1
	s_cselect_b32 s0, s7, s0
	v_mov_b32_e32 v5, s0
	v_mov_b32_e32 v6, s1
	flat_load_dwordx4 v[5:8], v[5:6]
	s_waitcnt vmcnt(0) lgkmcnt(0)
	v_cmp_neq_f64_e32 vcc, 1.0, v[5:6]
	v_cmp_neq_f64_e64 s[0:1], 0, v[7:8]
	s_or_b64 s[0:1], vcc, s[0:1]
	s_orn2_b64 s[0:1], s[0:1], exec
.LBB102_2:
	s_or_b64 exec, exec, s[2:3]
	s_and_saveexec_b64 s[2:3], s[0:1]
	s_cbranch_execz .LBB102_43
; %bb.3:
	s_load_dwordx2 s[8:9], s[4:5], 0x8
	s_mov_b32 s0, 0
	s_mov_b32 s3, s0
	;; [unrolled: 1-line block ×4, first 2 shown]
	v_mov_b32_e32 v8, s3
	s_ashr_i32 s7, s6, 31
	v_mov_b32_e32 v7, s2
	v_mov_b32_e32 v6, s1
	;; [unrolled: 1-line block ×3, first 2 shown]
	s_lshl_b64 s[0:1], s[6:7], 2
	s_waitcnt lgkmcnt(0)
	s_add_u32 s0, s8, s0
	v_lshlrev_b32_e32 v15, 4, v0
	s_addc_u32 s1, s9, s1
	ds_write_b128 v15, v[5:8]
	ds_write_b128 v15, v[5:8] offset:4096
	ds_write_b128 v15, v[5:8] offset:8192
	;; [unrolled: 1-line block ×3, first 2 shown]
	s_waitcnt lgkmcnt(0)
	s_barrier
	s_load_dwordx2 s[20:21], s[0:1], 0x0
	s_load_dwordx2 s[22:23], s[4:5], 0x50
	s_load_dwordx8 s[12:19], s[4:5], 0x20
	v_subrev_u32_e32 v16, s10, v0
	s_waitcnt lgkmcnt(0)
	s_cmp_ge_i32 s20, s21
	s_cbranch_scc1 .LBB102_31
; %bb.4:
	s_mov_b32 s24, 0
	v_cmp_gt_u32_e64 s[0:1], 64, v0
	v_cmp_gt_u32_e64 s[2:3], 16, v0
	;; [unrolled: 1-line block ×3, first 2 shown]
	v_cmp_eq_u32_e64 s[6:7], 0, v0
	s_brev_b32 s25, 1
	v_mov_b32_e32 v0, 0
	s_mov_b32 s26, s20
	s_branch .LBB102_6
.LBB102_5:                              ;   in Loop: Header=BB102_6 Depth=1
	s_or_b64 exec, exec, s[8:9]
	s_add_i32 s26, s26, 1
	s_cmp_ge_i32 s26, s21
	s_cbranch_scc1 .LBB102_31
.LBB102_6:                              ; =>This Loop Header: Depth=1
                                        ;     Child Loop BB102_8 Depth 2
                                        ;     Child Loop BB102_20 Depth 2
                                        ;     Child Loop BB102_23 Depth 2
                                        ;     Child Loop BB102_26 Depth 2
                                        ;     Child Loop BB102_29 Depth 2
	s_ashr_i32 s27, s26, 31
	s_lshl_b64 s[8:9], s[26:27], 2
	s_add_u32 s8, s12, s8
	s_addc_u32 s9, s13, s9
	s_load_dwordx2 s[28:29], s[8:9], 0x0
	v_mov_b32_e32 v7, 0
	v_mov_b32_e32 v5, 0
	v_mov_b32_e32 v8, 0
	v_mov_b32_e32 v6, 0
	s_waitcnt lgkmcnt(0)
	s_sub_i32 s11, s29, s10
	v_add_u32_e32 v9, s28, v16
	v_cmp_gt_i32_e32 vcc, s11, v9
	s_and_saveexec_b64 s[28:29], vcc
	s_cbranch_execz .LBB102_10
; %bb.7:                                ;   in Loop: Header=BB102_6 Depth=1
	v_ashrrev_i32_e32 v10, 31, v9
	v_lshlrev_b64 v[5:6], 2, v[9:10]
	v_mov_b32_e32 v7, s15
	v_add_co_u32_e32 v11, vcc, s14, v5
	v_addc_co_u32_e32 v12, vcc, v7, v6, vcc
	v_lshlrev_b64 v[5:6], 3, v[9:10]
	v_mov_b32_e32 v7, s17
	v_add_co_u32_e32 v13, vcc, s16, v5
	v_addc_co_u32_e32 v14, vcc, v7, v6, vcc
	v_mov_b32_e32 v7, 0
	v_mov_b32_e32 v8, 0
	;; [unrolled: 1-line block ×3, first 2 shown]
	s_mov_b64 s[30:31], 0
	v_mov_b32_e32 v6, v8
.LBB102_8:                              ;   Parent Loop BB102_6 Depth=1
                                        ; =>  This Inner Loop Header: Depth=2
	global_load_dword v10, v[11:12], off
	global_load_dwordx2 v[21:22], v[13:14], off
	v_mov_b32_e32 v19, s19
	v_add_u32_e32 v9, 0x100, v9
	v_cmp_le_i32_e64 s[8:9], s11, v9
	s_or_b64 s[30:31], s[8:9], s[30:31]
	s_waitcnt vmcnt(1)
	v_subrev_u32_e32 v17, s10, v10
	v_ashrrev_i32_e32 v18, 31, v17
	v_lshlrev_b64 v[17:18], 4, v[17:18]
	v_add_co_u32_e32 v17, vcc, s18, v17
	v_addc_co_u32_e32 v18, vcc, v19, v18, vcc
	global_load_dwordx4 v[17:20], v[17:18], off
	v_add_co_u32_e32 v11, vcc, 0x400, v11
	v_addc_co_u32_e32 v12, vcc, 0, v12, vcc
	v_add_co_u32_e32 v13, vcc, 0x800, v13
	v_addc_co_u32_e32 v14, vcc, 0, v14, vcc
	s_waitcnt vmcnt(0)
	v_fma_f64 v[5:6], v[21:22], v[17:18], v[5:6]
	v_fma_f64 v[7:8], v[17:18], 0, v[7:8]
	;; [unrolled: 1-line block ×4, first 2 shown]
	s_andn2_b64 exec, exec, s[30:31]
	s_cbranch_execnz .LBB102_8
; %bb.9:                                ;   in Loop: Header=BB102_6 Depth=1
	s_or_b64 exec, exec, s[30:31]
.LBB102_10:                             ;   in Loop: Header=BB102_6 Depth=1
	s_or_b64 exec, exec, s[28:29]
	ds_write_b128 v15, v[5:8]
	s_waitcnt lgkmcnt(0)
	s_barrier
	ds_read_b128 v[5:8], v15 offset:4096
	ds_read_b128 v[9:12], v15 offset:8192
	;; [unrolled: 1-line block ×3, first 2 shown]
	ds_read_b128 v[21:24], v15
	s_waitcnt lgkmcnt(2)
	v_add_f64 v[5:6], v[9:10], v[5:6]
	v_add_f64 v[7:8], v[11:12], v[7:8]
	s_waitcnt lgkmcnt(1)
	v_add_f64 v[5:6], v[5:6], v[17:18]
	v_add_f64 v[7:8], v[7:8], v[19:20]
	;; [unrolled: 3-line block ×3, first 2 shown]
	ds_write_b128 v15, v[5:8]
	s_waitcnt lgkmcnt(0)
	s_barrier
	s_and_saveexec_b64 s[8:9], s[0:1]
	s_cbranch_execz .LBB102_12
; %bb.11:                               ;   in Loop: Header=BB102_6 Depth=1
	ds_read_b128 v[5:8], v15 offset:1024
	ds_read_b128 v[9:12], v15 offset:2048
	ds_read_b128 v[17:20], v15 offset:3072
	ds_read_b128 v[21:24], v15
	s_waitcnt lgkmcnt(2)
	v_add_f64 v[5:6], v[9:10], v[5:6]
	v_add_f64 v[7:8], v[11:12], v[7:8]
	s_waitcnt lgkmcnt(1)
	v_add_f64 v[5:6], v[5:6], v[17:18]
	v_add_f64 v[7:8], v[7:8], v[19:20]
	s_waitcnt lgkmcnt(0)
	v_add_f64 v[5:6], v[5:6], v[21:22]
	v_add_f64 v[7:8], v[7:8], v[23:24]
	ds_write_b128 v15, v[5:8]
.LBB102_12:                             ;   in Loop: Header=BB102_6 Depth=1
	s_or_b64 exec, exec, s[8:9]
	s_waitcnt lgkmcnt(0)
	s_barrier
	s_and_saveexec_b64 s[8:9], s[2:3]
	s_cbranch_execz .LBB102_14
; %bb.13:                               ;   in Loop: Header=BB102_6 Depth=1
	ds_read_b128 v[5:8], v15 offset:256
	ds_read_b128 v[9:12], v15 offset:512
	ds_read_b128 v[17:20], v15 offset:768
	ds_read_b128 v[21:24], v15
	s_waitcnt lgkmcnt(2)
	v_add_f64 v[5:6], v[9:10], v[5:6]
	v_add_f64 v[7:8], v[11:12], v[7:8]
	s_waitcnt lgkmcnt(1)
	v_add_f64 v[5:6], v[5:6], v[17:18]
	v_add_f64 v[7:8], v[7:8], v[19:20]
	s_waitcnt lgkmcnt(0)
	v_add_f64 v[5:6], v[5:6], v[21:22]
	v_add_f64 v[7:8], v[7:8], v[23:24]
	ds_write_b128 v15, v[5:8]
.LBB102_14:                             ;   in Loop: Header=BB102_6 Depth=1
	s_or_b64 exec, exec, s[8:9]
	;; [unrolled: 21-line block ×4, first 2 shown]
	s_waitcnt lgkmcnt(0)
	s_barrier
	s_and_saveexec_b64 s[8:9], s[6:7]
	s_cbranch_execz .LBB102_5
; %bb.19:                               ;   in Loop: Header=BB102_6 Depth=1
	ds_read_b128 v[5:8], v0
	v_mov_b32_e32 v13, 0
	s_mov_b64 s[28:29], exec
	v_bfrev_b32_e32 v14, 1
	s_waitcnt lgkmcnt(0)
	v_mul_f64 v[9:10], v[7:8], -v[3:4]
	v_fma_f64 v[9:10], v[1:2], v[5:6], v[9:10]
.LBB102_20:                             ;   Parent Loop BB102_6 Depth=1
                                        ; =>  This Inner Loop Header: Depth=2
	s_ff1_i32_b64 s11, s[28:29]
	v_readlane_b32 s31, v10, s11
	v_readlane_b32 s30, v9, s11
	v_add_f64 v[13:14], v[13:14], s[30:31]
	s_lshl_b64 s[30:31], 1, s11
	s_andn2_b64 s[28:29], s[28:29], s[30:31]
	s_cmp_lg_u64 s[28:29], 0
	s_cbranch_scc1 .LBB102_20
; %bb.21:                               ;   in Loop: Header=BB102_6 Depth=1
	s_lshl_b64 s[28:29], s[26:27], 4
	v_mbcnt_lo_u32_b32 v9, exec_lo, 0
	s_add_u32 s28, s22, s28
	v_mbcnt_hi_u32_b32 v9, exec_hi, v9
	s_addc_u32 s29, s23, s29
	v_cmp_eq_u32_e32 vcc, 0, v9
	s_and_saveexec_b64 s[30:31], vcc
	s_xor_b64 s[30:31], exec, s[30:31]
	s_cbranch_execz .LBB102_25
; %bb.22:                               ;   in Loop: Header=BB102_6 Depth=1
	global_load_dwordx2 v[11:12], v0, s[28:29]
	s_mov_b64 s[34:35], 0
.LBB102_23:                             ;   Parent Loop BB102_6 Depth=1
                                        ; =>  This Inner Loop Header: Depth=2
	s_waitcnt vmcnt(0)
	v_add_f64 v[9:10], v[11:12], v[13:14]
	global_atomic_cmpswap_x2 v[9:10], v0, v[9:12], s[28:29] glc
	s_waitcnt vmcnt(0)
	v_cmp_eq_u64_e32 vcc, v[9:10], v[11:12]
	v_mov_b32_e32 v12, v10
	s_or_b64 s[34:35], vcc, s[34:35]
	v_mov_b32_e32 v11, v9
	s_andn2_b64 exec, exec, s[34:35]
	s_cbranch_execnz .LBB102_23
; %bb.24:                               ;   in Loop: Header=BB102_6 Depth=1
	s_or_b64 exec, exec, s[34:35]
.LBB102_25:                             ;   in Loop: Header=BB102_6 Depth=1
	s_or_b64 exec, exec, s[30:31]
	v_mul_f64 v[7:8], v[1:2], v[7:8]
	v_mov_b32_e32 v9, 0
	s_mov_b64 s[30:31], exec
	v_bfrev_b32_e32 v10, 1
	v_fma_f64 v[5:6], v[3:4], v[5:6], v[7:8]
.LBB102_26:                             ;   Parent Loop BB102_6 Depth=1
                                        ; =>  This Inner Loop Header: Depth=2
	s_ff1_i32_b64 s11, s[30:31]
	v_readlane_b32 s35, v6, s11
	v_readlane_b32 s34, v5, s11
	v_add_f64 v[9:10], v[9:10], s[34:35]
	s_lshl_b64 s[34:35], 1, s11
	s_andn2_b64 s[30:31], s[30:31], s[34:35]
	s_cmp_lg_u64 s[30:31], 0
	s_cbranch_scc1 .LBB102_26
; %bb.27:                               ;   in Loop: Header=BB102_6 Depth=1
	v_mbcnt_lo_u32_b32 v5, exec_lo, 0
	v_mbcnt_hi_u32_b32 v5, exec_hi, v5
	v_cmp_eq_u32_e32 vcc, 0, v5
	s_and_saveexec_b64 s[30:31], vcc
	s_xor_b64 s[30:31], exec, s[30:31]
	s_cbranch_execz .LBB102_5
; %bb.28:                               ;   in Loop: Header=BB102_6 Depth=1
	global_load_dwordx2 v[7:8], v0, s[28:29] offset:8
	s_mov_b64 s[30:31], 0
.LBB102_29:                             ;   Parent Loop BB102_6 Depth=1
                                        ; =>  This Inner Loop Header: Depth=2
	s_waitcnt vmcnt(0)
	v_add_f64 v[5:6], v[7:8], v[9:10]
	global_atomic_cmpswap_x2 v[5:6], v0, v[5:8], s[28:29] offset:8 glc
	s_waitcnt vmcnt(0)
	v_cmp_eq_u64_e32 vcc, v[5:6], v[7:8]
	v_mov_b32_e32 v8, v6
	s_or_b64 s[30:31], vcc, s[30:31]
	v_mov_b32_e32 v7, v5
	s_andn2_b64 exec, exec, s[30:31]
	s_cbranch_execnz .LBB102_29
; %bb.30:                               ;   in Loop: Header=BB102_6 Depth=1
	s_or_b64 exec, exec, s[30:31]
	s_branch .LBB102_5
.LBB102_31:
	s_ashr_i32 s1, s20, 31
	s_mov_b32 s0, s20
	s_lshl_b64 s[0:1], s[0:1], 2
	s_add_u32 s0, s12, s0
	s_addc_u32 s1, s13, s1
	s_ashr_i32 s3, s21, 31
	s_mov_b32 s2, s21
	s_lshl_b64 s[2:3], s[2:3], 2
	s_add_u32 s2, s12, s2
	s_addc_u32 s3, s13, s3
	s_load_dword s4, s[2:3], 0x0
	s_load_dword s5, s[0:1], 0x0
	s_waitcnt lgkmcnt(0)
	s_sub_i32 s8, s4, s10
	v_add_u32_e32 v13, s5, v16
	v_cmp_gt_i32_e32 vcc, s8, v13
	s_and_b64 exec, exec, vcc
	s_cbranch_execz .LBB102_43
; %bb.32:
	s_add_i32 s9, s21, -1
	s_cmp_lt_i32 s20, s9
	s_cselect_b64 s[0:1], -1, 0
	s_add_i32 s2, s21, -2
	s_cmp_lg_u32 s20, s2
	s_mov_b32 s2, 0
	s_brev_b32 s3, 1
	v_mul_f64 v[15:16], v[3:4], s[2:3]
	v_mul_f64 v[17:18], v[1:2], 0
	s_cselect_b64 s[2:3], -1, 0
	s_and_b64 s[0:1], s[0:1], s[2:3]
	v_cndmask_b32_e64 v0, 0, 1, s[0:1]
	s_mov_b64 s[4:5], 0
	v_cmp_ne_u32_e64 s[0:1], 1, v0
	v_mov_b32_e32 v0, s13
	v_mov_b32_e32 v27, s15
	s_branch .LBB102_34
.LBB102_33:                             ;   in Loop: Header=BB102_34 Depth=1
	s_or_b64 exec, exec, s[2:3]
	v_add_u32_e32 v13, 0x100, v13
	v_cmp_le_i32_e32 vcc, s8, v13
	s_or_b64 s[4:5], vcc, s[4:5]
	s_andn2_b64 exec, exec, s[4:5]
	s_cbranch_execz .LBB102_43
.LBB102_34:                             ; =>This Loop Header: Depth=1
                                        ;     Child Loop BB102_36 Depth 2
                                        ;     Child Loop BB102_40 Depth 2
	;; [unrolled: 1-line block ×3, first 2 shown]
	s_and_b64 vcc, exec, s[0:1]
	v_mov_b32_e32 v7, s20
	v_mov_b32_e32 v5, s9
	s_cbranch_vccnz .LBB102_38
; %bb.35:                               ;   in Loop: Header=BB102_34 Depth=1
	s_mov_b64 s[6:7], 0
	v_mov_b32_e32 v7, s20
	v_mov_b32_e32 v5, s9
.LBB102_36:                             ;   Parent Loop BB102_34 Depth=1
                                        ; =>  This Inner Loop Header: Depth=2
	v_add_u32_e32 v6, v5, v7
	v_lshrrev_b32_e32 v8, 31, v6
	v_add_u32_e32 v6, v6, v8
	v_ashrrev_i32_e32 v8, 1, v6
	v_ashrrev_i32_e32 v9, 31, v8
	v_lshlrev_b64 v[9:10], 2, v[8:9]
	v_mov_b32_e32 v11, s13
	v_add_co_u32_e32 v9, vcc, s12, v9
	v_addc_co_u32_e32 v10, vcc, v11, v10, vcc
	global_load_dword v6, v[9:10], off
	s_waitcnt vmcnt(0)
	v_subrev_u32_e32 v6, s10, v6
	v_cmp_lt_i32_e32 vcc, v13, v6
	v_cndmask_b32_e32 v5, v5, v8, vcc
	v_cndmask_b32_e32 v7, v8, v7, vcc
	v_add_u32_e32 v6, -1, v5
	v_cmp_ge_i32_e32 vcc, v7, v5
	v_cmp_eq_u32_e64 s[2:3], v7, v6
	s_or_b64 s[2:3], vcc, s[2:3]
	s_and_b64 s[2:3], exec, s[2:3]
	s_or_b64 s[6:7], s[2:3], s[6:7]
	s_andn2_b64 exec, exec, s[6:7]
	s_cbranch_execnz .LBB102_36
; %bb.37:                               ;   in Loop: Header=BB102_34 Depth=1
	s_or_b64 exec, exec, s[6:7]
.LBB102_38:                             ;   in Loop: Header=BB102_34 Depth=1
	v_ashrrev_i32_e32 v6, 31, v5
	v_lshlrev_b64 v[8:9], 2, v[5:6]
	v_ashrrev_i32_e32 v14, 31, v13
	v_add_co_u32_e32 v8, vcc, s12, v8
	v_addc_co_u32_e32 v9, vcc, v0, v9, vcc
	global_load_dword v6, v[8:9], off
	v_lshlrev_b64 v[8:9], 2, v[13:14]
	v_add_co_u32_e32 v8, vcc, s14, v8
	v_addc_co_u32_e32 v9, vcc, v27, v9, vcc
	global_load_dword v8, v[8:9], off
	s_waitcnt vmcnt(1)
	v_subrev_u32_e32 v6, s10, v6
	v_cmp_lt_i32_e32 vcc, v13, v6
	v_cndmask_b32_e32 v5, v5, v7, vcc
	s_waitcnt vmcnt(0)
	v_subrev_u32_e32 v9, s10, v8
	v_cmp_ne_u32_e32 vcc, v9, v5
	s_and_saveexec_b64 s[2:3], vcc
	s_cbranch_execz .LBB102_33
; %bb.39:                               ;   in Loop: Header=BB102_34 Depth=1
	v_lshlrev_b64 v[6:7], 3, v[13:14]
	v_mov_b32_e32 v8, s17
	v_add_co_u32_e32 v6, vcc, s16, v6
	v_addc_co_u32_e32 v7, vcc, v8, v7, vcc
	global_load_dwordx2 v[23:24], v[6:7], off
	v_ashrrev_i32_e32 v6, 31, v5
	v_lshlrev_b64 v[5:6], 4, v[5:6]
	v_mov_b32_e32 v7, s19
	v_add_co_u32_e32 v5, vcc, s18, v5
	v_addc_co_u32_e32 v6, vcc, v7, v6, vcc
	global_load_dwordx4 v[5:8], v[5:6], off
	v_ashrrev_i32_e32 v10, 31, v9
	v_lshlrev_b64 v[9:10], 4, v[9:10]
	v_mov_b32_e32 v11, s23
	v_add_co_u32_e32 v19, vcc, s22, v9
	v_addc_co_u32_e32 v20, vcc, v11, v10, vcc
	global_load_dwordx2 v[11:12], v[19:20], off
	s_mov_b64 s[6:7], 0
	s_waitcnt vmcnt(2)
	v_fma_f64 v[21:22], v[3:4], v[23:24], v[17:18]
	v_fma_f64 v[23:24], v[1:2], v[23:24], v[15:16]
	s_waitcnt vmcnt(1)
	v_mul_f64 v[9:10], v[7:8], -v[21:22]
	v_fma_f64 v[25:26], v[23:24], v[5:6], v[9:10]
.LBB102_40:                             ;   Parent Loop BB102_34 Depth=1
                                        ; =>  This Inner Loop Header: Depth=2
	s_waitcnt vmcnt(0)
	v_add_f64 v[9:10], v[11:12], v[25:26]
	global_atomic_cmpswap_x2 v[9:10], v[19:20], v[9:12], off glc
	s_waitcnt vmcnt(0)
	v_cmp_eq_u64_e32 vcc, v[9:10], v[11:12]
	v_mov_b32_e32 v12, v10
	s_or_b64 s[6:7], vcc, s[6:7]
	v_mov_b32_e32 v11, v9
	s_andn2_b64 exec, exec, s[6:7]
	s_cbranch_execnz .LBB102_40
; %bb.41:                               ;   in Loop: Header=BB102_34 Depth=1
	s_or_b64 exec, exec, s[6:7]
	global_load_dwordx2 v[9:10], v[19:20], off offset:8
	v_mul_f64 v[7:8], v[23:24], v[7:8]
	s_mov_b64 s[6:7], 0
	v_fma_f64 v[5:6], v[21:22], v[5:6], v[7:8]
.LBB102_42:                             ;   Parent Loop BB102_34 Depth=1
                                        ; =>  This Inner Loop Header: Depth=2
	s_waitcnt vmcnt(0)
	v_add_f64 v[7:8], v[9:10], v[5:6]
	global_atomic_cmpswap_x2 v[7:8], v[19:20], v[7:10], off offset:8 glc
	s_waitcnt vmcnt(0)
	v_cmp_eq_u64_e32 vcc, v[7:8], v[9:10]
	v_mov_b32_e32 v10, v8
	s_or_b64 s[6:7], vcc, s[6:7]
	v_mov_b32_e32 v9, v7
	s_andn2_b64 exec, exec, s[6:7]
	s_cbranch_execnz .LBB102_42
	s_branch .LBB102_33
.LBB102_43:
	s_endpgm
	.section	.rodata,"a",@progbits
	.p2align	6, 0x0
	.amdhsa_kernel _ZL33csrmvn_symm_large_adaptive_kernelIiid21rocsparse_complex_numIdES1_S1_EvbT_PKS2_N9rocsparse24const_host_device_scalarIT4_EES4_PKT0_PKT1_PKT2_S8_PT3_21rocsparse_index_base_b
		.amdhsa_group_segment_fixed_size 16384
		.amdhsa_private_segment_fixed_size 0
		.amdhsa_kernarg_size 96
		.amdhsa_user_sgpr_count 6
		.amdhsa_user_sgpr_private_segment_buffer 1
		.amdhsa_user_sgpr_dispatch_ptr 0
		.amdhsa_user_sgpr_queue_ptr 0
		.amdhsa_user_sgpr_kernarg_segment_ptr 1
		.amdhsa_user_sgpr_dispatch_id 0
		.amdhsa_user_sgpr_flat_scratch_init 0
		.amdhsa_user_sgpr_private_segment_size 0
		.amdhsa_uses_dynamic_stack 0
		.amdhsa_system_sgpr_private_segment_wavefront_offset 0
		.amdhsa_system_sgpr_workgroup_id_x 1
		.amdhsa_system_sgpr_workgroup_id_y 0
		.amdhsa_system_sgpr_workgroup_id_z 0
		.amdhsa_system_sgpr_workgroup_info 0
		.amdhsa_system_vgpr_workitem_id 0
		.amdhsa_next_free_vgpr 49
		.amdhsa_next_free_sgpr 98
		.amdhsa_reserve_vcc 1
		.amdhsa_reserve_flat_scratch 0
		.amdhsa_float_round_mode_32 0
		.amdhsa_float_round_mode_16_64 0
		.amdhsa_float_denorm_mode_32 3
		.amdhsa_float_denorm_mode_16_64 3
		.amdhsa_dx10_clamp 1
		.amdhsa_ieee_mode 1
		.amdhsa_fp16_overflow 0
		.amdhsa_exception_fp_ieee_invalid_op 0
		.amdhsa_exception_fp_denorm_src 0
		.amdhsa_exception_fp_ieee_div_zero 0
		.amdhsa_exception_fp_ieee_overflow 0
		.amdhsa_exception_fp_ieee_underflow 0
		.amdhsa_exception_fp_ieee_inexact 0
		.amdhsa_exception_int_div_zero 0
	.end_amdhsa_kernel
	.section	.text._ZL33csrmvn_symm_large_adaptive_kernelIiid21rocsparse_complex_numIdES1_S1_EvbT_PKS2_N9rocsparse24const_host_device_scalarIT4_EES4_PKT0_PKT1_PKT2_S8_PT3_21rocsparse_index_base_b,"axG",@progbits,_ZL33csrmvn_symm_large_adaptive_kernelIiid21rocsparse_complex_numIdES1_S1_EvbT_PKS2_N9rocsparse24const_host_device_scalarIT4_EES4_PKT0_PKT1_PKT2_S8_PT3_21rocsparse_index_base_b,comdat
.Lfunc_end102:
	.size	_ZL33csrmvn_symm_large_adaptive_kernelIiid21rocsparse_complex_numIdES1_S1_EvbT_PKS2_N9rocsparse24const_host_device_scalarIT4_EES4_PKT0_PKT1_PKT2_S8_PT3_21rocsparse_index_base_b, .Lfunc_end102-_ZL33csrmvn_symm_large_adaptive_kernelIiid21rocsparse_complex_numIdES1_S1_EvbT_PKS2_N9rocsparse24const_host_device_scalarIT4_EES4_PKT0_PKT1_PKT2_S8_PT3_21rocsparse_index_base_b
                                        ; -- End function
	.set _ZL33csrmvn_symm_large_adaptive_kernelIiid21rocsparse_complex_numIdES1_S1_EvbT_PKS2_N9rocsparse24const_host_device_scalarIT4_EES4_PKT0_PKT1_PKT2_S8_PT3_21rocsparse_index_base_b.num_vgpr, 28
	.set _ZL33csrmvn_symm_large_adaptive_kernelIiid21rocsparse_complex_numIdES1_S1_EvbT_PKS2_N9rocsparse24const_host_device_scalarIT4_EES4_PKT0_PKT1_PKT2_S8_PT3_21rocsparse_index_base_b.num_agpr, 0
	.set _ZL33csrmvn_symm_large_adaptive_kernelIiid21rocsparse_complex_numIdES1_S1_EvbT_PKS2_N9rocsparse24const_host_device_scalarIT4_EES4_PKT0_PKT1_PKT2_S8_PT3_21rocsparse_index_base_b.numbered_sgpr, 36
	.set _ZL33csrmvn_symm_large_adaptive_kernelIiid21rocsparse_complex_numIdES1_S1_EvbT_PKS2_N9rocsparse24const_host_device_scalarIT4_EES4_PKT0_PKT1_PKT2_S8_PT3_21rocsparse_index_base_b.num_named_barrier, 0
	.set _ZL33csrmvn_symm_large_adaptive_kernelIiid21rocsparse_complex_numIdES1_S1_EvbT_PKS2_N9rocsparse24const_host_device_scalarIT4_EES4_PKT0_PKT1_PKT2_S8_PT3_21rocsparse_index_base_b.private_seg_size, 0
	.set _ZL33csrmvn_symm_large_adaptive_kernelIiid21rocsparse_complex_numIdES1_S1_EvbT_PKS2_N9rocsparse24const_host_device_scalarIT4_EES4_PKT0_PKT1_PKT2_S8_PT3_21rocsparse_index_base_b.uses_vcc, 1
	.set _ZL33csrmvn_symm_large_adaptive_kernelIiid21rocsparse_complex_numIdES1_S1_EvbT_PKS2_N9rocsparse24const_host_device_scalarIT4_EES4_PKT0_PKT1_PKT2_S8_PT3_21rocsparse_index_base_b.uses_flat_scratch, 0
	.set _ZL33csrmvn_symm_large_adaptive_kernelIiid21rocsparse_complex_numIdES1_S1_EvbT_PKS2_N9rocsparse24const_host_device_scalarIT4_EES4_PKT0_PKT1_PKT2_S8_PT3_21rocsparse_index_base_b.has_dyn_sized_stack, 0
	.set _ZL33csrmvn_symm_large_adaptive_kernelIiid21rocsparse_complex_numIdES1_S1_EvbT_PKS2_N9rocsparse24const_host_device_scalarIT4_EES4_PKT0_PKT1_PKT2_S8_PT3_21rocsparse_index_base_b.has_recursion, 0
	.set _ZL33csrmvn_symm_large_adaptive_kernelIiid21rocsparse_complex_numIdES1_S1_EvbT_PKS2_N9rocsparse24const_host_device_scalarIT4_EES4_PKT0_PKT1_PKT2_S8_PT3_21rocsparse_index_base_b.has_indirect_call, 0
	.section	.AMDGPU.csdata,"",@progbits
; Kernel info:
; codeLenInByte = 2344
; TotalNumSgprs: 40
; NumVgprs: 28
; ScratchSize: 0
; MemoryBound: 0
; FloatMode: 240
; IeeeMode: 1
; LDSByteSize: 16384 bytes/workgroup (compile time only)
; SGPRBlocks: 12
; VGPRBlocks: 12
; NumSGPRsForWavesPerEU: 102
; NumVGPRsForWavesPerEU: 49
; Occupancy: 4
; WaveLimiterHint : 1
; COMPUTE_PGM_RSRC2:SCRATCH_EN: 0
; COMPUTE_PGM_RSRC2:USER_SGPR: 6
; COMPUTE_PGM_RSRC2:TRAP_HANDLER: 0
; COMPUTE_PGM_RSRC2:TGID_X_EN: 1
; COMPUTE_PGM_RSRC2:TGID_Y_EN: 0
; COMPUTE_PGM_RSRC2:TGID_Z_EN: 0
; COMPUTE_PGM_RSRC2:TIDIG_COMP_CNT: 0
	.section	.text._ZN9rocsparseL22csrmvn_adaptive_kernelIlid21rocsparse_complex_numIdES2_S2_EEvbT_PKS3_PjPKT0_NS_24const_host_device_scalarIT4_EES5_S9_PKT1_PKT2_SC_PT3_21rocsparse_index_base_b,"axG",@progbits,_ZN9rocsparseL22csrmvn_adaptive_kernelIlid21rocsparse_complex_numIdES2_S2_EEvbT_PKS3_PjPKT0_NS_24const_host_device_scalarIT4_EES5_S9_PKT1_PKT2_SC_PT3_21rocsparse_index_base_b,comdat
	.globl	_ZN9rocsparseL22csrmvn_adaptive_kernelIlid21rocsparse_complex_numIdES2_S2_EEvbT_PKS3_PjPKT0_NS_24const_host_device_scalarIT4_EES5_S9_PKT1_PKT2_SC_PT3_21rocsparse_index_base_b ; -- Begin function _ZN9rocsparseL22csrmvn_adaptive_kernelIlid21rocsparse_complex_numIdES2_S2_EEvbT_PKS3_PjPKT0_NS_24const_host_device_scalarIT4_EES5_S9_PKT1_PKT2_SC_PT3_21rocsparse_index_base_b
	.p2align	8
	.type	_ZN9rocsparseL22csrmvn_adaptive_kernelIlid21rocsparse_complex_numIdES2_S2_EEvbT_PKS3_PjPKT0_NS_24const_host_device_scalarIT4_EES5_S9_PKT1_PKT2_SC_PT3_21rocsparse_index_base_b,@function
_ZN9rocsparseL22csrmvn_adaptive_kernelIlid21rocsparse_complex_numIdES2_S2_EEvbT_PKS3_PjPKT0_NS_24const_host_device_scalarIT4_EES5_S9_PKT1_PKT2_SC_PT3_21rocsparse_index_base_b: ; @_ZN9rocsparseL22csrmvn_adaptive_kernelIlid21rocsparse_complex_numIdES2_S2_EEvbT_PKS3_PjPKT0_NS_24const_host_device_scalarIT4_EES5_S9_PKT1_PKT2_SC_PT3_21rocsparse_index_base_b
; %bb.0:
	s_load_dwordx2 s[0:1], s[4:5], 0x28
	s_load_dwordx2 s[42:43], s[4:5], 0x70
	s_add_u32 s7, s4, 40
	s_addc_u32 s8, s5, 0
	s_add_u32 s9, s4, 0x58
	s_addc_u32 s10, s5, 0
	s_waitcnt lgkmcnt(0)
	s_bitcmp1_b32 s43, 0
	s_cselect_b32 s1, s8, s1
	s_cselect_b32 s0, s7, s0
	v_mov_b32_e32 v1, s0
	v_mov_b32_e32 v2, s1
	flat_load_dwordx4 v[5:8], v[1:2]
	s_load_dwordx2 s[2:3], s[4:5], 0x58
	s_waitcnt lgkmcnt(0)
	s_cselect_b32 s0, s10, s3
	s_cselect_b32 s1, s9, s2
	v_mov_b32_e32 v1, s1
	v_mov_b32_e32 v2, s0
	flat_load_dwordx4 v[1:4], v[1:2]
	s_waitcnt vmcnt(0)
	v_cmp_eq_f64_e32 vcc, 0, v[5:6]
	v_cmp_eq_f64_e64 s[0:1], 0, v[7:8]
	s_and_b64 s[8:9], vcc, s[0:1]
	s_mov_b64 s[0:1], -1
	s_and_saveexec_b64 s[2:3], s[8:9]
	s_cbranch_execz .LBB103_2
; %bb.1:
	s_waitcnt lgkmcnt(0)
	v_cmp_neq_f64_e32 vcc, 1.0, v[1:2]
	v_cmp_neq_f64_e64 s[0:1], 0, v[3:4]
	s_or_b64 s[0:1], vcc, s[0:1]
	s_orn2_b64 s[0:1], s[0:1], exec
.LBB103_2:
	s_or_b64 exec, exec, s[2:3]
	s_and_saveexec_b64 s[2:3], s[0:1]
	s_cbranch_execz .LBB103_117
; %bb.3:
	s_load_dwordx2 s[0:1], s[4:5], 0x10
	s_load_dwordx2 s[8:9], s[4:5], 0x20
	s_ashr_i32 s7, s6, 31
	s_lshl_b64 s[2:3], s[6:7], 3
	s_waitcnt lgkmcnt(0)
	s_add_u32 s0, s0, s2
	s_addc_u32 s1, s1, s3
	s_load_dwordx4 s[36:39], s[0:1], 0x0
	s_load_dwordx2 s[22:23], s[4:5], 0x68
	s_load_dwordx8 s[24:31], s[4:5], 0x38
	s_lshl_b64 s[44:45], s[6:7], 2
	s_waitcnt lgkmcnt(0)
	s_sub_i32 s2, s38, s36
	s_add_u32 s0, s8, s44
	s_addc_u32 s1, s9, s45
	s_lshl_b64 s[8:9], s[36:37], 3
	s_add_u32 s40, s24, s8
	s_addc_u32 s41, s25, s9
	s_load_dword s33, s[0:1], 0x0
	s_load_dwordx2 s[34:35], s[40:41], 0x0
	s_cmp_lt_i32 s2, 2
	s_mov_b64 s[0:1], -1
	s_cbranch_scc0 .LBB103_73
; %bb.4:
	s_cmp_lg_u32 s2, 1
	s_cselect_b64 s[0:1], -1, 0
	s_waitcnt lgkmcnt(0)
	s_cmp_lg_u32 s33, 0
	s_cselect_b64 s[2:3], -1, 0
	s_or_b64 s[2:3], s[0:1], s[2:3]
	s_mov_b64 s[0:1], -1
	s_and_b64 vcc, exec, s[2:3]
	s_cbranch_vccnz .LBB103_33
; %bb.5:
	v_mov_b32_e32 v9, s36
	v_mov_b32_e32 v10, s37
	v_cmp_le_i64_e32 vcc, s[38:39], v[9:10]
	s_cbranch_vccnz .LBB103_32
; %bb.6:
	v_subrev_co_u32_e32 v26, vcc, s42, v0
	v_subb_co_u32_e64 v27, s[0:1], 0, 0, vcc
	s_mov_b32 s0, 0
	s_brev_b32 s1, 1
	v_cmp_neq_f64_e32 vcc, 0, v[1:2]
	v_cmp_neq_f64_e64 s[20:21], 0, v[3:4]
	v_mul_f64 v[13:14], v[7:8], s[0:1]
	v_mul_f64 v[15:16], v[5:6], 0
	s_movk_i32 s0, 0x80
	v_mov_b32_e32 v17, s38
	v_mov_b32_e32 v25, 0
	v_lshlrev_b32_e32 v28, 4, v0
	v_cmp_gt_u32_e64 s[0:1], s0, v0
	v_cmp_gt_u32_e64 s[2:3], 64, v0
	;; [unrolled: 1-line block ×7, first 2 shown]
	v_cmp_eq_u32_e64 s[18:19], 0, v0
	s_or_b64 s[46:47], vcc, s[20:21]
	s_movk_i32 s7, 0x100
	v_mov_b32_e32 v18, s39
	s_mov_b64 s[48:49], s[36:37]
	s_branch .LBB103_9
.LBB103_7:                              ;   in Loop: Header=BB103_9 Depth=1
	s_or_b64 exec, exec, s[50:51]
	s_lshl_b64 s[50:51], s[48:49], 4
	s_add_u32 s50, s22, s50
	s_addc_u32 s51, s23, s51
	s_waitcnt lgkmcnt(0)
	global_store_dwordx4 v25, v[9:12], s[50:51]
.LBB103_8:                              ;   in Loop: Header=BB103_9 Depth=1
	s_or_b64 exec, exec, s[20:21]
	s_add_u32 s48, s48, 1
	s_addc_u32 s49, s49, 0
	v_cmp_ge_i64_e32 vcc, s[48:49], v[17:18]
	s_cbranch_vccnz .LBB103_32
.LBB103_9:                              ; =>This Loop Header: Depth=1
                                        ;     Child Loop BB103_11 Depth 2
	s_lshl_b64 s[20:21], s[48:49], 3
	s_add_u32 s20, s24, s20
	s_addc_u32 s21, s25, s21
	s_load_dwordx4 s[52:55], s[20:21], 0x0
	v_mov_b32_e32 v11, 0
	v_mov_b32_e32 v12, 0
	s_waitcnt lgkmcnt(0)
	s_sub_u32 s50, s54, s42
	v_mov_b32_e32 v9, s53
	v_add_co_u32_e32 v19, vcc, s52, v26
	s_subb_u32 s51, s55, 0
	v_addc_co_u32_e32 v20, vcc, v9, v27, vcc
	v_cmp_gt_i64_e32 vcc, s[50:51], v[19:20]
	v_mov_b32_e32 v9, 0
	v_mov_b32_e32 v10, 0
	s_and_saveexec_b64 s[52:53], vcc
	s_cbranch_execz .LBB103_13
; %bb.10:                               ;   in Loop: Header=BB103_9 Depth=1
	v_lshlrev_b64 v[9:10], 3, v[19:20]
	v_mov_b32_e32 v11, s29
	v_add_co_u32_e32 v21, vcc, s28, v9
	v_addc_co_u32_e32 v22, vcc, v11, v10, vcc
	v_lshlrev_b64 v[9:10], 2, v[19:20]
	v_mov_b32_e32 v11, s27
	v_add_co_u32_e32 v23, vcc, s26, v9
	v_addc_co_u32_e32 v24, vcc, v11, v10, vcc
	v_mov_b32_e32 v11, 0
	v_mov_b32_e32 v12, 0
	;; [unrolled: 1-line block ×3, first 2 shown]
	s_mov_b64 s[54:55], 0
	v_mov_b32_e32 v10, v12
.LBB103_11:                             ;   Parent Loop BB103_9 Depth=1
                                        ; =>  This Inner Loop Header: Depth=2
	global_load_dword v29, v[23:24], off
	global_load_dwordx2 v[33:34], v[21:22], off
	v_mov_b32_e32 v31, s31
	s_waitcnt vmcnt(1)
	v_subrev_u32_e32 v29, s42, v29
	v_ashrrev_i32_e32 v30, 31, v29
	v_lshlrev_b64 v[29:30], 4, v[29:30]
	s_waitcnt vmcnt(0)
	v_fma_f64 v[35:36], v[5:6], v[33:34], v[13:14]
	v_add_co_u32_e32 v29, vcc, s30, v29
	v_addc_co_u32_e32 v30, vcc, v31, v30, vcc
	global_load_dwordx4 v[29:32], v[29:30], off
	v_fma_f64 v[33:34], v[7:8], v[33:34], v[15:16]
	v_add_co_u32_e32 v19, vcc, s7, v19
	v_addc_co_u32_e32 v20, vcc, 0, v20, vcc
	v_add_co_u32_e32 v21, vcc, 0x800, v21
	v_addc_co_u32_e32 v22, vcc, 0, v22, vcc
	v_cmp_le_i64_e64 s[20:21], s[50:51], v[19:20]
	v_add_co_u32_e32 v23, vcc, 0x400, v23
	s_or_b64 s[54:55], s[20:21], s[54:55]
	v_addc_co_u32_e32 v24, vcc, 0, v24, vcc
	s_waitcnt vmcnt(0)
	v_fma_f64 v[9:10], v[35:36], v[29:30], v[9:10]
	v_fma_f64 v[11:12], v[33:34], v[29:30], v[11:12]
	v_fma_f64 v[9:10], -v[33:34], v[31:32], v[9:10]
	v_fma_f64 v[11:12], v[35:36], v[31:32], v[11:12]
	s_andn2_b64 exec, exec, s[54:55]
	s_cbranch_execnz .LBB103_11
; %bb.12:                               ;   in Loop: Header=BB103_9 Depth=1
	s_or_b64 exec, exec, s[54:55]
.LBB103_13:                             ;   in Loop: Header=BB103_9 Depth=1
	s_or_b64 exec, exec, s[52:53]
	ds_write_b128 v28, v[9:12]
	s_waitcnt vmcnt(0) lgkmcnt(0)
	s_barrier
	s_and_saveexec_b64 s[20:21], s[0:1]
	s_cbranch_execz .LBB103_15
; %bb.14:                               ;   in Loop: Header=BB103_9 Depth=1
	ds_read_b128 v[9:12], v28 offset:2048
	ds_read_b128 v[19:22], v28
	s_waitcnt lgkmcnt(0)
	v_add_f64 v[9:10], v[9:10], v[19:20]
	v_add_f64 v[11:12], v[11:12], v[21:22]
	ds_write_b128 v28, v[9:12]
.LBB103_15:                             ;   in Loop: Header=BB103_9 Depth=1
	s_or_b64 exec, exec, s[20:21]
	s_waitcnt lgkmcnt(0)
	s_barrier
	s_and_saveexec_b64 s[20:21], s[2:3]
	s_cbranch_execz .LBB103_17
; %bb.16:                               ;   in Loop: Header=BB103_9 Depth=1
	ds_read_b128 v[9:12], v28 offset:1024
	ds_read_b128 v[19:22], v28
	s_waitcnt lgkmcnt(0)
	v_add_f64 v[9:10], v[9:10], v[19:20]
	v_add_f64 v[11:12], v[11:12], v[21:22]
	ds_write_b128 v28, v[9:12]
.LBB103_17:                             ;   in Loop: Header=BB103_9 Depth=1
	s_or_b64 exec, exec, s[20:21]
	s_waitcnt lgkmcnt(0)
	;; [unrolled: 13-line block ×6, first 2 shown]
	s_barrier
	s_and_saveexec_b64 s[20:21], s[16:17]
	s_cbranch_execz .LBB103_27
; %bb.26:                               ;   in Loop: Header=BB103_9 Depth=1
	ds_read_b128 v[9:12], v28
	ds_read_b128 v[19:22], v28 offset:32
	s_waitcnt lgkmcnt(0)
	v_add_f64 v[9:10], v[19:20], v[9:10]
	v_add_f64 v[11:12], v[21:22], v[11:12]
	ds_write_b128 v28, v[9:12]
.LBB103_27:                             ;   in Loop: Header=BB103_9 Depth=1
	s_or_b64 exec, exec, s[20:21]
	s_waitcnt lgkmcnt(0)
	s_barrier
	s_and_saveexec_b64 s[20:21], s[18:19]
	s_cbranch_execz .LBB103_29
; %bb.28:                               ;   in Loop: Header=BB103_9 Depth=1
	ds_read_b128 v[9:12], v25
	ds_read_b128 v[19:22], v25 offset:16
	s_waitcnt lgkmcnt(0)
	v_add_f64 v[9:10], v[19:20], v[9:10]
	v_add_f64 v[11:12], v[21:22], v[11:12]
	ds_write_b128 v25, v[9:12]
.LBB103_29:                             ;   in Loop: Header=BB103_9 Depth=1
	s_or_b64 exec, exec, s[20:21]
	s_waitcnt lgkmcnt(0)
	s_barrier
	s_and_saveexec_b64 s[20:21], s[18:19]
	s_cbranch_execz .LBB103_8
; %bb.30:                               ;   in Loop: Header=BB103_9 Depth=1
	ds_read_b128 v[9:12], v25
	s_and_saveexec_b64 s[50:51], s[46:47]
	s_cbranch_execz .LBB103_7
; %bb.31:                               ;   in Loop: Header=BB103_9 Depth=1
	s_lshl_b64 s[52:53], s[48:49], 4
	s_add_u32 s52, s22, s52
	s_addc_u32 s53, s23, s53
	global_load_dwordx4 v[19:22], v25, s[52:53]
	s_waitcnt vmcnt(0) lgkmcnt(0)
	v_fma_f64 v[9:10], v[1:2], v[19:20], v[9:10]
	v_fma_f64 v[11:12], v[3:4], v[19:20], v[11:12]
	v_fma_f64 v[9:10], -v[3:4], v[21:22], v[9:10]
	v_fma_f64 v[11:12], v[1:2], v[21:22], v[11:12]
	s_branch .LBB103_7
.LBB103_32:
	s_mov_b64 s[0:1], 0
.LBB103_33:
	s_andn2_b64 vcc, exec, s[0:1]
	s_cbranch_vccnz .LBB103_72
; %bb.34:
	s_load_dwordx2 s[8:9], s[4:5], 0x18
	s_sub_i32 s6, s6, s33
	v_mov_b32_e32 v13, 0
	v_or_b32_e32 v14, s33, v0
	v_mov_b32_e32 v9, 0
	s_waitcnt lgkmcnt(0)
	s_add_u32 s2, s8, s44
	s_addc_u32 s3, s9, s45
	global_load_dword v23, v13, s[2:3]
	v_mov_b32_e32 v11, 0
	v_mov_b32_e32 v10, 0
	;; [unrolled: 1-line block ×3, first 2 shown]
	v_cmp_eq_u32_e32 vcc, 0, v14
	s_and_saveexec_b64 s[0:1], vcc
	s_cbranch_execz .LBB103_38
; %bb.35:
	s_lshl_b64 s[12:13], s[36:37], 4
	s_add_u32 s12, s22, s12
	s_addc_u32 s13, s23, s13
	global_load_dwordx4 v[11:14], v13, s[12:13]
	v_add_f64 v[9:10], v[1:2], -1.0
	s_mov_b64 s[10:11], exec
	v_mbcnt_lo_u32_b32 v17, s10, 0
	v_mbcnt_hi_u32_b32 v17, s11, v17
	v_cmp_eq_u32_e32 vcc, 0, v17
	s_waitcnt vmcnt(0) expcnt(0) lgkmcnt(0)
	v_mul_f64 v[15:16], v[13:14], -v[3:4]
	v_mul_f64 v[13:14], v[9:10], v[13:14]
	s_and_saveexec_b64 s[12:13], vcc
	s_cbranch_execz .LBB103_37
; %bb.36:
	s_ashr_i32 s7, s6, 31
	s_lshl_b64 s[14:15], s[6:7], 2
	s_add_u32 s14, s8, s14
	s_addc_u32 s15, s9, s15
	s_bcnt1_i32_b64 s7, s[10:11]
	s_and_b32 s7, s7, 1
	v_mov_b32_e32 v17, 0
	v_mov_b32_e32 v18, s7
	global_atomic_xor v17, v18, s[14:15]
.LBB103_37:
	s_or_b64 exec, exec, s[12:13]
	v_fma_f64 v[9:10], v[9:10], v[11:12], v[15:16]
	v_fma_f64 v[11:12], v[3:4], v[11:12], v[13:14]
.LBB103_38:
	s_or_b64 exec, exec, s[0:1]
	s_load_dwordx2 s[0:1], s[40:41], 0x8
	s_sub_u32 s11, s34, s42
	s_mul_i32 s7, s33, 0xc00
	s_subb_u32 s12, s35, 0
	s_mul_hi_i32 s10, s33, 0xc00
	s_add_u32 s7, s11, s7
	s_addc_u32 s12, s12, s10
	s_waitcnt lgkmcnt(0)
	s_sub_u32 s0, s0, s42
	v_mov_b32_e32 v14, s12
	v_add_co_u32_e32 v13, vcc, s7, v0
	s_subb_u32 s1, s1, 0
	v_addc_co_u32_e32 v14, vcc, 0, v14, vcc
	v_cmp_gt_i64_e32 vcc, s[0:1], v[13:14]
	s_and_saveexec_b64 s[10:11], vcc
	s_cbranch_execz .LBB103_42
; %bb.39:
	s_add_u32 s14, s7, 0xc00
	v_mov_b32_e32 v16, s1
	s_addc_u32 s15, s12, 0
	v_mov_b32_e32 v15, s0
	v_cmp_lt_i64_e32 vcc, s[14:15], v[15:16]
	v_mul_f64 v[17:18], v[5:6], 0
	s_and_b64 s[12:13], vcc, exec
	s_cselect_b32 s13, s15, s1
	s_cselect_b32 s12, s14, s0
	s_mov_b32 s0, 0
	s_brev_b32 s1, 1
	v_mul_f64 v[15:16], v[7:8], s[0:1]
	v_lshlrev_b64 v[19:20], 3, v[13:14]
	v_mov_b32_e32 v21, s29
	v_add_co_u32_e32 v19, vcc, s28, v19
	v_addc_co_u32_e32 v20, vcc, v21, v20, vcc
	v_lshlrev_b64 v[21:22], 2, v[13:14]
	v_mov_b32_e32 v24, s27
	v_add_co_u32_e32 v21, vcc, s26, v21
	s_mov_b64 s[14:15], 0
	v_addc_co_u32_e32 v22, vcc, v24, v22, vcc
	v_mov_b32_e32 v24, s31
	s_movk_i32 s7, 0x100
.LBB103_40:                             ; =>This Inner Loop Header: Depth=1
	global_load_dword v25, v[21:22], off
	global_load_dwordx2 v[29:30], v[19:20], off
	s_waitcnt vmcnt(1)
	v_subrev_u32_e32 v25, s42, v25
	v_ashrrev_i32_e32 v26, 31, v25
	v_lshlrev_b64 v[25:26], 4, v[25:26]
	s_waitcnt vmcnt(0)
	v_fma_f64 v[31:32], v[5:6], v[29:30], v[15:16]
	v_add_co_u32_e32 v25, vcc, s30, v25
	v_addc_co_u32_e32 v26, vcc, v24, v26, vcc
	global_load_dwordx4 v[25:28], v[25:26], off
	v_fma_f64 v[29:30], v[7:8], v[29:30], v[17:18]
	v_add_co_u32_e32 v13, vcc, s7, v13
	v_addc_co_u32_e32 v14, vcc, 0, v14, vcc
	v_add_co_u32_e32 v19, vcc, 0x800, v19
	v_addc_co_u32_e32 v20, vcc, 0, v20, vcc
	v_cmp_le_i64_e64 s[0:1], s[12:13], v[13:14]
	v_add_co_u32_e32 v21, vcc, 0x400, v21
	s_or_b64 s[14:15], s[0:1], s[14:15]
	v_addc_co_u32_e32 v22, vcc, 0, v22, vcc
	s_waitcnt vmcnt(0)
	v_fma_f64 v[9:10], v[31:32], v[25:26], v[9:10]
	v_fma_f64 v[11:12], v[29:30], v[25:26], v[11:12]
	v_fma_f64 v[9:10], -v[29:30], v[27:28], v[9:10]
	v_fma_f64 v[11:12], v[31:32], v[27:28], v[11:12]
	s_andn2_b64 exec, exec, s[14:15]
	s_cbranch_execnz .LBB103_40
; %bb.41:
	s_or_b64 exec, exec, s[14:15]
.LBB103_42:
	s_or_b64 exec, exec, s[10:11]
	s_movk_i32 s0, 0x80
	v_lshlrev_b32_e32 v13, 4, v0
	v_cmp_gt_u32_e32 vcc, s0, v0
	ds_write_b128 v13, v[9:12]
	s_waitcnt vmcnt(0) lgkmcnt(0)
	s_barrier
	s_and_saveexec_b64 s[0:1], vcc
	s_cbranch_execz .LBB103_44
; %bb.43:
	ds_read_b128 v[9:12], v13 offset:2048
	ds_read_b128 v[14:17], v13
	s_waitcnt lgkmcnt(0)
	v_add_f64 v[9:10], v[9:10], v[14:15]
	v_add_f64 v[11:12], v[11:12], v[16:17]
	ds_write_b128 v13, v[9:12]
.LBB103_44:
	s_or_b64 exec, exec, s[0:1]
	v_cmp_gt_u32_e32 vcc, 64, v0
	s_waitcnt lgkmcnt(0)
	s_barrier
	s_and_saveexec_b64 s[0:1], vcc
	s_cbranch_execz .LBB103_46
; %bb.45:
	ds_read_b128 v[9:12], v13 offset:1024
	ds_read_b128 v[14:17], v13
	s_waitcnt lgkmcnt(0)
	v_add_f64 v[9:10], v[9:10], v[14:15]
	v_add_f64 v[11:12], v[11:12], v[16:17]
	ds_write_b128 v13, v[9:12]
.LBB103_46:
	s_or_b64 exec, exec, s[0:1]
	v_cmp_gt_u32_e32 vcc, 32, v0
	s_waitcnt lgkmcnt(0)
	;; [unrolled: 14-line block ×6, first 2 shown]
	s_barrier
	s_and_saveexec_b64 s[0:1], vcc
	s_cbranch_execz .LBB103_56
; %bb.55:
	ds_read_b128 v[9:12], v13
	ds_read_b128 v[14:17], v13 offset:32
	s_waitcnt lgkmcnt(0)
	v_add_f64 v[9:10], v[14:15], v[9:10]
	v_add_f64 v[11:12], v[16:17], v[11:12]
	ds_write_b128 v13, v[9:12]
.LBB103_56:
	s_or_b64 exec, exec, s[0:1]
	v_cmp_eq_u32_e32 vcc, 0, v0
	s_waitcnt lgkmcnt(0)
	s_barrier
	s_and_saveexec_b64 s[0:1], vcc
	s_cbranch_execz .LBB103_58
; %bb.57:
	v_mov_b32_e32 v17, 0
	ds_read_b128 v[9:12], v17
	ds_read_b128 v[13:16], v17 offset:16
	s_waitcnt lgkmcnt(0)
	v_add_f64 v[9:10], v[13:14], v[9:10]
	v_add_f64 v[11:12], v[15:16], v[11:12]
	ds_write_b128 v17, v[9:12]
.LBB103_58:
	s_or_b64 exec, exec, s[0:1]
	s_waitcnt lgkmcnt(0)
	s_barrier
	s_and_saveexec_b64 s[0:1], vcc
	s_cbranch_execz .LBB103_71
; %bb.59:
	s_cmp_eq_u32 s33, 0
	s_cbranch_scc1 .LBB103_65
; %bb.60:
	s_ashr_i32 s7, s6, 31
	s_lshl_b64 s[6:7], s[6:7], 2
	s_add_u32 s6, s8, s6
	s_addc_u32 s7, s9, s7
	v_mov_b32_e32 v9, 0
	s_branch .LBB103_62
.LBB103_61:                             ;   in Loop: Header=BB103_62 Depth=1
	s_or_b64 exec, exec, s[8:9]
	s_waitcnt vmcnt(0)
	v_readfirstlane_b32 s8, v10
	v_cmp_eq_u32_e32 vcc, s8, v23
	s_cbranch_vccz .LBB103_64
.LBB103_62:                             ; =>This Inner Loop Header: Depth=1
	v_mbcnt_lo_u32_b32 v10, exec_lo, 0
	v_mbcnt_hi_u32_b32 v10, exec_hi, v10
	v_cmp_eq_u32_e32 vcc, 0, v10
                                        ; implicit-def: $vgpr10
	s_and_saveexec_b64 s[8:9], vcc
	s_cbranch_execz .LBB103_61
; %bb.63:                               ;   in Loop: Header=BB103_62 Depth=1
	global_load_dword v10, v9, s[6:7] glc
	s_branch .LBB103_61
.LBB103_64:
	v_mov_b32_e32 v9, 0
	global_load_ushort v10, v9, s[2:3]
	s_waitcnt vmcnt(0)
	v_xor_b32_e32 v10, 1, v10
	global_store_short v9, v10, s[2:3]
.LBB103_65:
	v_mov_b32_e32 v17, 0
	ds_read_b128 v[9:12], v17
	s_mov_b64 s[8:9], exec
	s_lshl_b64 s[2:3], s[36:37], 4
	v_mbcnt_lo_u32_b32 v13, s8, 0
	s_add_u32 s2, s22, s2
	v_mbcnt_hi_u32_b32 v13, s9, v13
	s_addc_u32 s3, s23, s3
	v_cmp_eq_u32_e32 vcc, 0, v13
	s_and_saveexec_b64 s[6:7], vcc
	s_cbranch_execz .LBB103_68
; %bb.66:
	global_load_dwordx2 v[15:16], v17, s[2:3]
	s_bcnt1_i32_b64 s8, s[8:9]
	v_cvt_f64_u32_e32 v[13:14], s8
	s_mov_b64 s[8:9], 0
	s_waitcnt lgkmcnt(0)
	v_mul_f64 v[9:10], v[9:10], v[13:14]
.LBB103_67:                             ; =>This Inner Loop Header: Depth=1
	s_waitcnt vmcnt(0)
	v_add_f64 v[13:14], v[15:16], v[9:10]
	global_atomic_cmpswap_x2 v[13:14], v17, v[13:16], s[2:3] glc
	s_waitcnt vmcnt(0)
	v_cmp_eq_u64_e32 vcc, v[13:14], v[15:16]
	v_mov_b32_e32 v16, v14
	s_or_b64 s[8:9], vcc, s[8:9]
	v_mov_b32_e32 v15, v13
	s_andn2_b64 exec, exec, s[8:9]
	s_cbranch_execnz .LBB103_67
.LBB103_68:
	s_or_b64 exec, exec, s[6:7]
	s_mov_b64 s[6:7], exec
	s_waitcnt lgkmcnt(0)
	v_mbcnt_lo_u32_b32 v9, s6, 0
	v_mbcnt_hi_u32_b32 v9, s7, v9
	v_cmp_eq_u32_e32 vcc, 0, v9
	s_and_b64 s[8:9], exec, vcc
	s_mov_b64 exec, s[8:9]
	s_cbranch_execz .LBB103_71
; %bb.69:
	v_mov_b32_e32 v15, 0
	global_load_dwordx2 v[13:14], v15, s[2:3] offset:8
	s_bcnt1_i32_b64 s6, s[6:7]
	v_cvt_f64_u32_e32 v[9:10], s6
	s_mov_b64 s[6:7], 0
	v_mul_f64 v[9:10], v[11:12], v[9:10]
.LBB103_70:                             ; =>This Inner Loop Header: Depth=1
	s_waitcnt vmcnt(0)
	v_add_f64 v[11:12], v[13:14], v[9:10]
	global_atomic_cmpswap_x2 v[11:12], v15, v[11:14], s[2:3] offset:8 glc
	s_waitcnt vmcnt(0)
	v_cmp_eq_u64_e32 vcc, v[11:12], v[13:14]
	v_mov_b32_e32 v14, v12
	s_or_b64 s[6:7], vcc, s[6:7]
	v_mov_b32_e32 v13, v11
	s_andn2_b64 exec, exec, s[6:7]
	s_cbranch_execnz .LBB103_70
.LBB103_71:
	s_or_b64 exec, exec, s[0:1]
.LBB103_72:
	s_mov_b64 s[0:1], 0
.LBB103_73:
	s_andn2_b64 vcc, exec, s[0:1]
	s_cbranch_vccnz .LBB103_117
; %bb.74:
	s_load_dwordx2 s[0:1], s[4:5], 0x8
	v_subrev_co_u32_e32 v9, vcc, s42, v0
	v_subb_co_u32_e64 v10, s[2:3], 0, 0, vcc
	s_waitcnt lgkmcnt(0)
	v_mov_b32_e32 v11, s35
	v_add_co_u32_e32 v9, vcc, s34, v9
	v_addc_co_u32_e32 v10, vcc, v11, v10, vcc
	v_add_co_u32_e32 v11, vcc, 0x300, v9
	v_addc_co_u32_e32 v12, vcc, 0, v10, vcc
	v_cmp_le_i64_e32 vcc, s[0:1], v[11:12]
	s_and_saveexec_b64 s[0:1], vcc
	s_xor_b64 s[2:3], exec, s[0:1]
	s_cbranch_execz .LBB103_79
; %bb.75:
	s_lshl_b64 s[0:1], s[38:39], 3
	s_add_u32 s0, s24, s0
	s_addc_u32 s1, s25, s1
	s_load_dwordx2 s[0:1], s[0:1], 0x0
	s_waitcnt lgkmcnt(0)
	s_sub_u32 s4, s0, s42
	s_subb_u32 s5, s1, 0
	v_cmp_gt_i64_e32 vcc, s[4:5], v[9:10]
	s_and_saveexec_b64 s[6:7], vcc
	s_cbranch_execz .LBB103_78
; %bb.76:
	s_mov_b32 s0, 0
	s_brev_b32 s1, 1
	v_mul_f64 v[11:12], v[7:8], s[0:1]
	v_mul_f64 v[13:14], v[5:6], 0
	v_lshlrev_b64 v[15:16], 3, v[9:10]
	v_mov_b32_e32 v17, s29
	v_add_co_u32_e32 v15, vcc, s28, v15
	v_addc_co_u32_e32 v16, vcc, v17, v16, vcc
	v_lshlrev_b64 v[17:18], 2, v[9:10]
	v_mov_b32_e32 v20, s27
	v_add_co_u32_e32 v17, vcc, s26, v17
	v_lshlrev_b32_e32 v19, 4, v0
	s_mov_b64 s[8:9], 0
	v_addc_co_u32_e32 v18, vcc, v20, v18, vcc
	v_mov_b32_e32 v20, s31
	s_movk_i32 s10, 0x100
.LBB103_77:                             ; =>This Inner Loop Header: Depth=1
	global_load_dword v21, v[17:18], off
	global_load_dwordx2 v[25:26], v[15:16], off
	s_waitcnt vmcnt(1)
	v_subrev_u32_e32 v21, s42, v21
	v_ashrrev_i32_e32 v22, 31, v21
	v_lshlrev_b64 v[21:22], 4, v[21:22]
	s_waitcnt vmcnt(0)
	v_fma_f64 v[27:28], v[7:8], v[25:26], v[13:14]
	v_add_co_u32_e32 v21, vcc, s30, v21
	v_addc_co_u32_e32 v22, vcc, v20, v22, vcc
	global_load_dwordx4 v[21:24], v[21:22], off
	v_fma_f64 v[25:26], v[5:6], v[25:26], v[11:12]
	v_add_co_u32_e32 v9, vcc, s10, v9
	v_addc_co_u32_e32 v10, vcc, 0, v10, vcc
	v_add_co_u32_e32 v15, vcc, 0x800, v15
	v_addc_co_u32_e32 v16, vcc, 0, v16, vcc
	v_cmp_le_i64_e64 s[0:1], s[4:5], v[9:10]
	v_add_co_u32_e32 v17, vcc, 0x400, v17
	v_addc_co_u32_e32 v18, vcc, 0, v18, vcc
	s_or_b64 s[8:9], s[0:1], s[8:9]
	s_waitcnt vmcnt(0)
	v_mul_f64 v[29:30], v[23:24], -v[27:28]
	v_mul_f64 v[31:32], v[25:26], v[23:24]
	v_fma_f64 v[23:24], v[25:26], v[21:22], v[29:30]
	v_fma_f64 v[25:26], v[27:28], v[21:22], v[31:32]
	ds_write_b128 v19, v[23:26]
	v_add_u32_e32 v19, 0x1000, v19
	s_andn2_b64 exec, exec, s[8:9]
	s_cbranch_execnz .LBB103_77
.LBB103_78:
	s_or_b64 exec, exec, s[6:7]
                                        ; implicit-def: $vgpr7_vgpr8
                                        ; implicit-def: $vgpr9_vgpr10
.LBB103_79:
	s_or_saveexec_b64 s[0:1], s[2:3]
	v_lshlrev_b32_e32 v15, 4, v0
	s_xor_b64 exec, exec, s[0:1]
	s_cbranch_execz .LBB103_81
; %bb.80:
	v_lshlrev_b64 v[11:12], 2, v[9:10]
	v_mov_b32_e32 v13, s27
	v_add_co_u32_e32 v11, vcc, s26, v11
	v_addc_co_u32_e32 v12, vcc, v13, v12, vcc
	global_load_dword v16, v[11:12], off
	global_load_dword v17, v[11:12], off offset:1024
	global_load_dword v18, v[11:12], off offset:2048
	;; [unrolled: 1-line block ×3, first 2 shown]
	v_lshlrev_b64 v[9:10], 3, v[9:10]
	v_mov_b32_e32 v11, s29
	v_add_co_u32_e32 v9, vcc, s28, v9
	s_movk_i32 s2, 0x1000
	v_addc_co_u32_e32 v10, vcc, v11, v10, vcc
	global_load_dwordx2 v[13:14], v[9:10], off
	global_load_dwordx2 v[28:29], v[9:10], off offset:2048
	v_add_co_u32_e32 v9, vcc, s2, v9
	v_addc_co_u32_e32 v10, vcc, 0, v10, vcc
	global_load_dwordx2 v[30:31], v[9:10], off
	global_load_dwordx2 v[32:33], v[9:10], off offset:2048
	v_mov_b32_e32 v20, s31
	v_mov_b32_e32 v21, s31
	;; [unrolled: 1-line block ×4, first 2 shown]
	s_mov_b32 s2, 0
	s_brev_b32 s3, 1
	s_waitcnt vmcnt(7)
	v_subrev_u32_e32 v9, s42, v16
	v_ashrrev_i32_e32 v10, 31, v9
	s_waitcnt vmcnt(6)
	v_subrev_u32_e32 v11, s42, v17
	v_lshlrev_b64 v[9:10], 4, v[9:10]
	v_ashrrev_i32_e32 v12, 31, v11
	s_waitcnt vmcnt(5)
	v_subrev_u32_e32 v16, s42, v18
	v_lshlrev_b64 v[11:12], 4, v[11:12]
	v_add_co_u32_e32 v26, vcc, s30, v9
	v_ashrrev_i32_e32 v17, 31, v16
	v_addc_co_u32_e32 v27, vcc, v20, v10, vcc
	s_waitcnt vmcnt(4)
	v_subrev_u32_e32 v18, s42, v19
	v_lshlrev_b64 v[16:17], 4, v[16:17]
	v_add_co_u32_e32 v34, vcc, s30, v11
	v_ashrrev_i32_e32 v19, 31, v18
	v_addc_co_u32_e32 v35, vcc, v21, v12, vcc
	v_lshlrev_b64 v[24:25], 4, v[18:19]
	v_add_co_u32_e32 v36, vcc, s30, v16
	v_addc_co_u32_e32 v37, vcc, v22, v17, vcc
	v_add_co_u32_e32 v24, vcc, s30, v24
	global_load_dwordx4 v[9:12], v[26:27], off
	global_load_dwordx4 v[16:19], v[34:35], off
	;; [unrolled: 1-line block ×3, first 2 shown]
	v_addc_co_u32_e32 v25, vcc, v38, v25, vcc
	global_load_dwordx4 v[24:27], v[24:25], off
	v_mul_f64 v[34:35], v[5:6], 0
	v_mul_f64 v[36:37], v[7:8], s[2:3]
	s_waitcnt vmcnt(7)
	v_fma_f64 v[38:39], v[7:8], v[13:14], v[34:35]
	v_fma_f64 v[13:14], v[5:6], v[13:14], v[36:37]
	s_waitcnt vmcnt(6)
	v_fma_f64 v[40:41], v[7:8], v[28:29], v[34:35]
	v_fma_f64 v[28:29], v[5:6], v[28:29], v[36:37]
	;; [unrolled: 3-line block ×4, first 2 shown]
	s_waitcnt vmcnt(3)
	v_mul_f64 v[5:6], v[11:12], -v[38:39]
	v_mul_f64 v[7:8], v[13:14], v[11:12]
	s_waitcnt vmcnt(2)
	v_mul_f64 v[11:12], v[18:19], -v[40:41]
	v_mul_f64 v[18:19], v[28:29], v[18:19]
	;; [unrolled: 3-line block ×4, first 2 shown]
	v_fma_f64 v[5:6], v[13:14], v[9:10], v[5:6]
	v_fma_f64 v[7:8], v[38:39], v[9:10], v[7:8]
	v_fma_f64 v[9:10], v[28:29], v[16:17], v[11:12]
	v_fma_f64 v[11:12], v[40:41], v[16:17], v[18:19]
	v_fma_f64 v[16:17], v[30:31], v[20:21], v[36:37]
	v_fma_f64 v[18:19], v[42:43], v[20:21], v[22:23]
	v_fma_f64 v[20:21], v[32:33], v[24:25], v[44:45]
	v_fma_f64 v[22:23], v[34:35], v[24:25], v[26:27]
	ds_write_b128 v15, v[5:8]
	ds_write_b128 v15, v[9:12] offset:4096
	ds_write_b128 v15, v[16:19] offset:8192
	;; [unrolled: 1-line block ×3, first 2 shown]
.LBB103_81:
	s_or_b64 exec, exec, s[0:1]
	s_cmp_lt_i32 s33, 2
	s_mov_b64 s[0:1], -1
	s_waitcnt vmcnt(0) lgkmcnt(0)
	s_barrier
	s_cbranch_scc0 .LBB103_92
; %bb.82:
	v_mov_b32_e32 v5, s37
	v_add_co_u32_e32 v13, vcc, s36, v0
	v_addc_co_u32_e32 v14, vcc, 0, v5, vcc
	v_cmp_gt_i64_e32 vcc, s[38:39], v[13:14]
	s_and_saveexec_b64 s[2:3], vcc
	s_cbranch_execz .LBB103_91
; %bb.83:
	v_cmp_neq_f64_e32 vcc, 0, v[1:2]
	v_cmp_neq_f64_e64 s[0:1], 0, v[3:4]
	s_lshl_b32 s6, s34, 4
	s_mov_b64 s[4:5], 0
	v_mov_b32_e32 v16, s25
	s_sub_i32 s10, 0, s6
	v_mov_b32_e32 v17, s23
	s_or_b64 s[6:7], vcc, s[0:1]
	s_branch .LBB103_85
.LBB103_84:                             ;   in Loop: Header=BB103_85 Depth=1
	s_or_b64 exec, exec, s[0:1]
	v_add_co_u32_e32 v13, vcc, 0x100, v13
	v_addc_co_u32_e32 v14, vcc, 0, v14, vcc
	v_cmp_le_i64_e32 vcc, s[38:39], v[13:14]
	v_add_co_u32_e64 v9, s[0:1], s22, v9
	v_addc_co_u32_e64 v10, s[0:1], v17, v10, s[0:1]
	s_or_b64 s[4:5], vcc, s[4:5]
	global_store_dwordx4 v[9:10], v[5:8], off
	s_andn2_b64 exec, exec, s[4:5]
	s_cbranch_execz .LBB103_91
.LBB103_85:                             ; =>This Loop Header: Depth=1
                                        ;     Child Loop BB103_87 Depth 2
	v_lshlrev_b64 v[5:6], 3, v[13:14]
	v_mov_b32_e32 v7, 0
	v_add_co_u32_e32 v5, vcc, s24, v5
	v_addc_co_u32_e32 v6, vcc, v16, v6, vcc
	global_load_dwordx4 v[9:12], v[5:6], off
	v_mov_b32_e32 v5, 0
	v_mov_b32_e32 v8, 0
	;; [unrolled: 1-line block ×3, first 2 shown]
	s_waitcnt vmcnt(0)
	v_subrev_u32_e32 v10, s34, v9
	v_subrev_u32_e32 v11, s34, v11
	v_cmp_lt_i32_e32 vcc, v10, v11
	s_and_saveexec_b64 s[0:1], vcc
	s_cbranch_execz .LBB103_89
; %bb.86:                               ;   in Loop: Header=BB103_85 Depth=1
	v_mov_b32_e32 v7, 0
	v_mov_b32_e32 v8, 0
	;; [unrolled: 1-line block ×3, first 2 shown]
	v_lshl_add_u32 v9, v9, 4, s10
	s_mov_b64 s[8:9], 0
	v_mov_b32_e32 v6, v8
.LBB103_87:                             ;   Parent Loop BB103_85 Depth=1
                                        ; =>  This Inner Loop Header: Depth=2
	ds_read_b128 v[18:21], v9
	v_add_u32_e32 v10, 1, v10
	v_cmp_ge_i32_e32 vcc, v10, v11
	s_or_b64 s[8:9], vcc, s[8:9]
	v_add_u32_e32 v9, 16, v9
	s_waitcnt lgkmcnt(0)
	v_add_f64 v[5:6], v[5:6], v[18:19]
	v_add_f64 v[7:8], v[7:8], v[20:21]
	s_andn2_b64 exec, exec, s[8:9]
	s_cbranch_execnz .LBB103_87
; %bb.88:                               ;   in Loop: Header=BB103_85 Depth=1
	s_or_b64 exec, exec, s[8:9]
.LBB103_89:                             ;   in Loop: Header=BB103_85 Depth=1
	s_or_b64 exec, exec, s[0:1]
	v_lshlrev_b64 v[9:10], 4, v[13:14]
	s_and_saveexec_b64 s[0:1], s[6:7]
	s_cbranch_execz .LBB103_84
; %bb.90:                               ;   in Loop: Header=BB103_85 Depth=1
	v_mov_b32_e32 v12, s23
	v_add_co_u32_e32 v11, vcc, s22, v9
	v_addc_co_u32_e32 v12, vcc, v12, v10, vcc
	global_load_dwordx4 v[18:21], v[11:12], off
	s_waitcnt vmcnt(0)
	v_fma_f64 v[5:6], v[1:2], v[18:19], v[5:6]
	v_fma_f64 v[7:8], v[3:4], v[18:19], v[7:8]
	v_fma_f64 v[5:6], -v[3:4], v[20:21], v[5:6]
	v_fma_f64 v[7:8], v[1:2], v[20:21], v[7:8]
	s_branch .LBB103_84
.LBB103_91:
	s_or_b64 exec, exec, s[2:3]
	s_mov_b64 s[0:1], 0
.LBB103_92:
	s_andn2_b64 vcc, exec, s[0:1]
	s_cbranch_vccnz .LBB103_117
; %bb.93:
	s_flbit_i32_b32 s0, s33
	s_xor_b32 s0, s0, 31
	v_lshrrev_b32_e32 v11, s0, v0
	v_mov_b32_e32 v5, s37
	v_add_co_u32_e32 v9, vcc, s36, v11
	v_addc_co_u32_e32 v10, vcc, 0, v5, vcc
	v_mov_b32_e32 v5, 0
	s_add_i32 s0, s33, -1
	v_mov_b32_e32 v6, 0
	v_and_b32_e32 v0, s0, v0
	v_cmp_le_i64_e32 vcc, s[38:39], v[9:10]
	v_cmp_gt_i64_e64 s[0:1], s[38:39], v[9:10]
	v_mov_b32_e32 v8, v6
	v_mov_b32_e32 v7, v5
	s_and_saveexec_b64 s[2:3], s[0:1]
	s_cbranch_execz .LBB103_99
; %bb.94:
	v_lshlrev_b32_e32 v5, 3, v11
	global_load_dword v6, v5, s[40:41] offset:8
	global_load_dword v12, v5, s[40:41]
	v_mov_b32_e32 v7, 0
	v_mov_b32_e32 v8, 0
	s_waitcnt vmcnt(1)
	v_subrev_u32_e32 v11, s34, v6
	s_waitcnt vmcnt(0)
	v_subrev_u32_e32 v5, s34, v12
	v_add_u32_e32 v12, v0, v5
	v_mov_b32_e32 v5, 0
	v_mov_b32_e32 v6, 0
	v_cmp_lt_i32_e64 s[0:1], v12, v11
	s_and_saveexec_b64 s[4:5], s[0:1]
	s_cbranch_execz .LBB103_98
; %bb.95:
	v_mov_b32_e32 v7, 0
	v_mov_b32_e32 v8, 0
	;; [unrolled: 1-line block ×3, first 2 shown]
	v_lshlrev_b32_e32 v13, 4, v12
	s_lshl_b32 s8, s33, 4
	s_mov_b64 s[6:7], 0
	v_mov_b32_e32 v6, v8
.LBB103_96:                             ; =>This Inner Loop Header: Depth=1
	ds_read_b128 v[16:19], v13
	v_add_u32_e32 v12, s33, v12
	v_cmp_ge_i32_e64 s[0:1], v12, v11
	s_or_b64 s[6:7], s[0:1], s[6:7]
	v_add_u32_e32 v13, s8, v13
	s_waitcnt lgkmcnt(0)
	v_add_f64 v[5:6], v[5:6], v[16:17]
	v_add_f64 v[7:8], v[7:8], v[18:19]
	s_andn2_b64 exec, exec, s[6:7]
	s_cbranch_execnz .LBB103_96
; %bb.97:
	s_or_b64 exec, exec, s[6:7]
.LBB103_98:
	s_or_b64 exec, exec, s[4:5]
.LBB103_99:
	s_or_b64 exec, exec, s[2:3]
	s_cmpk_lt_u32 s33, 0x81
	s_waitcnt vmcnt(0)
	s_barrier
	ds_write_b128 v15, v[5:8]
	s_waitcnt lgkmcnt(0)
	s_barrier
	s_cbranch_scc1 .LBB103_101
; %bb.100:
	ds_read_b128 v[11:14], v15 offset:2048
	s_waitcnt lgkmcnt(0)
	s_barrier
	v_add_f64 v[5:6], v[5:6], v[11:12]
	v_add_f64 v[7:8], v[7:8], v[13:14]
	ds_write_b128 v15, v[5:8]
.LBB103_101:
	s_cmpk_lt_u32 s33, 0x41
	s_waitcnt lgkmcnt(0)
	s_barrier
	s_cbranch_scc1 .LBB103_103
; %bb.102:
	ds_read_b128 v[11:14], v15 offset:1024
	s_waitcnt lgkmcnt(0)
	s_barrier
	v_add_f64 v[5:6], v[5:6], v[11:12]
	v_add_f64 v[7:8], v[7:8], v[13:14]
	ds_write_b128 v15, v[5:8]
.LBB103_103:
	s_cmp_lt_u32 s33, 33
	s_waitcnt lgkmcnt(0)
	s_barrier
	s_cbranch_scc1 .LBB103_105
; %bb.104:
	ds_read_b128 v[11:14], v15 offset:512
	s_waitcnt lgkmcnt(0)
	s_barrier
	v_add_f64 v[5:6], v[5:6], v[11:12]
	v_add_f64 v[7:8], v[7:8], v[13:14]
	ds_write_b128 v15, v[5:8]
.LBB103_105:
	s_cmp_lt_u32 s33, 17
	;; [unrolled: 12-line block ×4, first 2 shown]
	s_waitcnt lgkmcnt(0)
	s_barrier
	s_cbranch_scc1 .LBB103_111
; %bb.110:
	ds_read_b128 v[11:14], v15 offset:64
	s_waitcnt lgkmcnt(0)
	s_barrier
	v_add_f64 v[5:6], v[5:6], v[11:12]
	v_add_f64 v[7:8], v[7:8], v[13:14]
	ds_write_b128 v15, v[5:8]
.LBB103_111:
	s_cmp_eq_u32 s33, 2
	s_waitcnt lgkmcnt(0)
	s_barrier
	s_cbranch_scc1 .LBB103_113
; %bb.112:
	ds_read_b128 v[11:14], v15 offset:32
	s_waitcnt lgkmcnt(0)
	s_barrier
	v_add_f64 v[5:6], v[5:6], v[11:12]
	v_add_f64 v[7:8], v[7:8], v[13:14]
	ds_write_b128 v15, v[5:8]
.LBB103_113:
	s_waitcnt lgkmcnt(0)
	s_barrier
	ds_read_b128 v[11:14], v15 offset:16
	v_cmp_eq_u32_e64 s[0:1], 0, v0
	s_xor_b64 s[2:3], vcc, -1
	s_and_b64 s[0:1], s[0:1], s[2:3]
	s_waitcnt lgkmcnt(0)
	v_add_f64 v[5:6], v[5:6], v[11:12]
	v_add_f64 v[7:8], v[7:8], v[13:14]
	s_barrier
	ds_write_b128 v15, v[5:8]
	s_and_b64 exec, exec, s[0:1]
	s_cbranch_execz .LBB103_117
; %bb.114:
	v_cmp_neq_f64_e32 vcc, 0, v[1:2]
	v_cmp_neq_f64_e64 s[0:1], 0, v[3:4]
	v_lshlrev_b64 v[9:10], 4, v[9:10]
	s_or_b64 s[2:3], vcc, s[0:1]
	s_and_saveexec_b64 s[0:1], s[2:3]
	s_cbranch_execz .LBB103_116
; %bb.115:
	v_mov_b32_e32 v0, s23
	v_add_co_u32_e32 v11, vcc, s22, v9
	v_addc_co_u32_e32 v12, vcc, v0, v10, vcc
	global_load_dwordx4 v[11:14], v[11:12], off
	s_waitcnt vmcnt(0)
	v_fma_f64 v[5:6], v[1:2], v[11:12], v[5:6]
	v_fma_f64 v[7:8], v[3:4], v[11:12], v[7:8]
	v_fma_f64 v[5:6], -v[3:4], v[13:14], v[5:6]
	v_fma_f64 v[7:8], v[1:2], v[13:14], v[7:8]
.LBB103_116:
	s_or_b64 exec, exec, s[0:1]
	v_mov_b32_e32 v1, s23
	v_add_co_u32_e32 v0, vcc, s22, v9
	v_addc_co_u32_e32 v1, vcc, v1, v10, vcc
	global_store_dwordx4 v[0:1], v[5:8], off
.LBB103_117:
	s_endpgm
	.section	.rodata,"a",@progbits
	.p2align	6, 0x0
	.amdhsa_kernel _ZN9rocsparseL22csrmvn_adaptive_kernelIlid21rocsparse_complex_numIdES2_S2_EEvbT_PKS3_PjPKT0_NS_24const_host_device_scalarIT4_EES5_S9_PKT1_PKT2_SC_PT3_21rocsparse_index_base_b
		.amdhsa_group_segment_fixed_size 16384
		.amdhsa_private_segment_fixed_size 0
		.amdhsa_kernarg_size 120
		.amdhsa_user_sgpr_count 6
		.amdhsa_user_sgpr_private_segment_buffer 1
		.amdhsa_user_sgpr_dispatch_ptr 0
		.amdhsa_user_sgpr_queue_ptr 0
		.amdhsa_user_sgpr_kernarg_segment_ptr 1
		.amdhsa_user_sgpr_dispatch_id 0
		.amdhsa_user_sgpr_flat_scratch_init 0
		.amdhsa_user_sgpr_private_segment_size 0
		.amdhsa_uses_dynamic_stack 0
		.amdhsa_system_sgpr_private_segment_wavefront_offset 0
		.amdhsa_system_sgpr_workgroup_id_x 1
		.amdhsa_system_sgpr_workgroup_id_y 0
		.amdhsa_system_sgpr_workgroup_id_z 0
		.amdhsa_system_sgpr_workgroup_info 0
		.amdhsa_system_vgpr_workitem_id 0
		.amdhsa_next_free_vgpr 49
		.amdhsa_next_free_sgpr 98
		.amdhsa_reserve_vcc 1
		.amdhsa_reserve_flat_scratch 0
		.amdhsa_float_round_mode_32 0
		.amdhsa_float_round_mode_16_64 0
		.amdhsa_float_denorm_mode_32 3
		.amdhsa_float_denorm_mode_16_64 3
		.amdhsa_dx10_clamp 1
		.amdhsa_ieee_mode 1
		.amdhsa_fp16_overflow 0
		.amdhsa_exception_fp_ieee_invalid_op 0
		.amdhsa_exception_fp_denorm_src 0
		.amdhsa_exception_fp_ieee_div_zero 0
		.amdhsa_exception_fp_ieee_overflow 0
		.amdhsa_exception_fp_ieee_underflow 0
		.amdhsa_exception_fp_ieee_inexact 0
		.amdhsa_exception_int_div_zero 0
	.end_amdhsa_kernel
	.section	.text._ZN9rocsparseL22csrmvn_adaptive_kernelIlid21rocsparse_complex_numIdES2_S2_EEvbT_PKS3_PjPKT0_NS_24const_host_device_scalarIT4_EES5_S9_PKT1_PKT2_SC_PT3_21rocsparse_index_base_b,"axG",@progbits,_ZN9rocsparseL22csrmvn_adaptive_kernelIlid21rocsparse_complex_numIdES2_S2_EEvbT_PKS3_PjPKT0_NS_24const_host_device_scalarIT4_EES5_S9_PKT1_PKT2_SC_PT3_21rocsparse_index_base_b,comdat
.Lfunc_end103:
	.size	_ZN9rocsparseL22csrmvn_adaptive_kernelIlid21rocsparse_complex_numIdES2_S2_EEvbT_PKS3_PjPKT0_NS_24const_host_device_scalarIT4_EES5_S9_PKT1_PKT2_SC_PT3_21rocsparse_index_base_b, .Lfunc_end103-_ZN9rocsparseL22csrmvn_adaptive_kernelIlid21rocsparse_complex_numIdES2_S2_EEvbT_PKS3_PjPKT0_NS_24const_host_device_scalarIT4_EES5_S9_PKT1_PKT2_SC_PT3_21rocsparse_index_base_b
                                        ; -- End function
	.set _ZN9rocsparseL22csrmvn_adaptive_kernelIlid21rocsparse_complex_numIdES2_S2_EEvbT_PKS3_PjPKT0_NS_24const_host_device_scalarIT4_EES5_S9_PKT1_PKT2_SC_PT3_21rocsparse_index_base_b.num_vgpr, 46
	.set _ZN9rocsparseL22csrmvn_adaptive_kernelIlid21rocsparse_complex_numIdES2_S2_EEvbT_PKS3_PjPKT0_NS_24const_host_device_scalarIT4_EES5_S9_PKT1_PKT2_SC_PT3_21rocsparse_index_base_b.num_agpr, 0
	.set _ZN9rocsparseL22csrmvn_adaptive_kernelIlid21rocsparse_complex_numIdES2_S2_EEvbT_PKS3_PjPKT0_NS_24const_host_device_scalarIT4_EES5_S9_PKT1_PKT2_SC_PT3_21rocsparse_index_base_b.numbered_sgpr, 56
	.set _ZN9rocsparseL22csrmvn_adaptive_kernelIlid21rocsparse_complex_numIdES2_S2_EEvbT_PKS3_PjPKT0_NS_24const_host_device_scalarIT4_EES5_S9_PKT1_PKT2_SC_PT3_21rocsparse_index_base_b.num_named_barrier, 0
	.set _ZN9rocsparseL22csrmvn_adaptive_kernelIlid21rocsparse_complex_numIdES2_S2_EEvbT_PKS3_PjPKT0_NS_24const_host_device_scalarIT4_EES5_S9_PKT1_PKT2_SC_PT3_21rocsparse_index_base_b.private_seg_size, 0
	.set _ZN9rocsparseL22csrmvn_adaptive_kernelIlid21rocsparse_complex_numIdES2_S2_EEvbT_PKS3_PjPKT0_NS_24const_host_device_scalarIT4_EES5_S9_PKT1_PKT2_SC_PT3_21rocsparse_index_base_b.uses_vcc, 1
	.set _ZN9rocsparseL22csrmvn_adaptive_kernelIlid21rocsparse_complex_numIdES2_S2_EEvbT_PKS3_PjPKT0_NS_24const_host_device_scalarIT4_EES5_S9_PKT1_PKT2_SC_PT3_21rocsparse_index_base_b.uses_flat_scratch, 0
	.set _ZN9rocsparseL22csrmvn_adaptive_kernelIlid21rocsparse_complex_numIdES2_S2_EEvbT_PKS3_PjPKT0_NS_24const_host_device_scalarIT4_EES5_S9_PKT1_PKT2_SC_PT3_21rocsparse_index_base_b.has_dyn_sized_stack, 0
	.set _ZN9rocsparseL22csrmvn_adaptive_kernelIlid21rocsparse_complex_numIdES2_S2_EEvbT_PKS3_PjPKT0_NS_24const_host_device_scalarIT4_EES5_S9_PKT1_PKT2_SC_PT3_21rocsparse_index_base_b.has_recursion, 0
	.set _ZN9rocsparseL22csrmvn_adaptive_kernelIlid21rocsparse_complex_numIdES2_S2_EEvbT_PKS3_PjPKT0_NS_24const_host_device_scalarIT4_EES5_S9_PKT1_PKT2_SC_PT3_21rocsparse_index_base_b.has_indirect_call, 0
	.section	.AMDGPU.csdata,"",@progbits
; Kernel info:
; codeLenInByte = 5172
; TotalNumSgprs: 60
; NumVgprs: 46
; ScratchSize: 0
; MemoryBound: 0
; FloatMode: 240
; IeeeMode: 1
; LDSByteSize: 16384 bytes/workgroup (compile time only)
; SGPRBlocks: 12
; VGPRBlocks: 12
; NumSGPRsForWavesPerEU: 102
; NumVGPRsForWavesPerEU: 49
; Occupancy: 4
; WaveLimiterHint : 1
; COMPUTE_PGM_RSRC2:SCRATCH_EN: 0
; COMPUTE_PGM_RSRC2:USER_SGPR: 6
; COMPUTE_PGM_RSRC2:TRAP_HANDLER: 0
; COMPUTE_PGM_RSRC2:TGID_X_EN: 1
; COMPUTE_PGM_RSRC2:TGID_Y_EN: 0
; COMPUTE_PGM_RSRC2:TGID_Z_EN: 0
; COMPUTE_PGM_RSRC2:TIDIG_COMP_CNT: 0
	.section	.text._ZN9rocsparseL27csrmvn_symm_adaptive_kernelIlid21rocsparse_complex_numIdES2_S2_EEvbT_S3_PKS3_NS_24const_host_device_scalarIT4_EES5_PKT0_PKT1_PKT2_S8_PT3_21rocsparse_index_base_b,"axG",@progbits,_ZN9rocsparseL27csrmvn_symm_adaptive_kernelIlid21rocsparse_complex_numIdES2_S2_EEvbT_S3_PKS3_NS_24const_host_device_scalarIT4_EES5_PKT0_PKT1_PKT2_S8_PT3_21rocsparse_index_base_b,comdat
	.globl	_ZN9rocsparseL27csrmvn_symm_adaptive_kernelIlid21rocsparse_complex_numIdES2_S2_EEvbT_S3_PKS3_NS_24const_host_device_scalarIT4_EES5_PKT0_PKT1_PKT2_S8_PT3_21rocsparse_index_base_b ; -- Begin function _ZN9rocsparseL27csrmvn_symm_adaptive_kernelIlid21rocsparse_complex_numIdES2_S2_EEvbT_S3_PKS3_NS_24const_host_device_scalarIT4_EES5_PKT0_PKT1_PKT2_S8_PT3_21rocsparse_index_base_b
	.p2align	8
	.type	_ZN9rocsparseL27csrmvn_symm_adaptive_kernelIlid21rocsparse_complex_numIdES2_S2_EEvbT_S3_PKS3_NS_24const_host_device_scalarIT4_EES5_PKT0_PKT1_PKT2_S8_PT3_21rocsparse_index_base_b,@function
_ZN9rocsparseL27csrmvn_symm_adaptive_kernelIlid21rocsparse_complex_numIdES2_S2_EEvbT_S3_PKS3_NS_24const_host_device_scalarIT4_EES5_PKT0_PKT1_PKT2_S8_PT3_21rocsparse_index_base_b: ; @_ZN9rocsparseL27csrmvn_symm_adaptive_kernelIlid21rocsparse_complex_numIdES2_S2_EEvbT_S3_PKS3_NS_24const_host_device_scalarIT4_EES5_PKT0_PKT1_PKT2_S8_PT3_21rocsparse_index_base_b
; %bb.0:
	s_load_dwordx2 s[30:31], s[4:5], 0x68
	s_load_dwordx2 s[0:1], s[4:5], 0x20
	s_add_u32 s7, s4, 32
	s_addc_u32 s10, s5, 0
	s_waitcnt lgkmcnt(0)
	s_bitcmp1_b32 s31, 0
	s_cselect_b64 s[8:9], -1, 0
	s_and_b64 s[2:3], s[8:9], exec
	s_cselect_b32 s1, s10, s1
	s_cselect_b32 s0, s7, s0
	v_mov_b32_e32 v1, s0
	v_mov_b32_e32 v2, s1
	flat_load_dwordx4 v[2:5], v[1:2]
	s_waitcnt vmcnt(0) lgkmcnt(0)
	v_cmp_eq_f64_e32 vcc, 0, v[2:3]
	v_cmp_eq_f64_e64 s[0:1], 0, v[4:5]
	s_and_b64 s[10:11], vcc, s[0:1]
	s_mov_b64 s[0:1], -1
	s_and_saveexec_b64 s[2:3], s[10:11]
	s_cbranch_execz .LBB104_2
; %bb.1:
	s_load_dwordx2 s[0:1], s[4:5], 0x50
	s_add_u32 s7, s4, 0x50
	s_addc_u32 s10, s5, 0
	s_and_b64 s[8:9], s[8:9], exec
	s_waitcnt lgkmcnt(0)
	s_cselect_b32 s1, s10, s1
	s_cselect_b32 s0, s7, s0
	v_mov_b32_e32 v6, s0
	v_mov_b32_e32 v7, s1
	flat_load_dwordx4 v[6:9], v[6:7]
	s_waitcnt vmcnt(0) lgkmcnt(0)
	v_cmp_neq_f64_e32 vcc, 1.0, v[6:7]
	v_cmp_neq_f64_e64 s[0:1], 0, v[8:9]
	s_or_b64 s[0:1], vcc, s[0:1]
	s_orn2_b64 s[0:1], s[0:1], exec
.LBB104_2:
	s_or_b64 exec, exec, s[2:3]
	s_and_saveexec_b64 s[2:3], s[0:1]
	s_cbranch_execz .LBB104_199
; %bb.3:
	s_load_dwordx2 s[8:9], s[4:5], 0x18
	s_mov_b32 s0, 0
	s_mov_b32 s3, s0
	;; [unrolled: 1-line block ×4, first 2 shown]
	v_mov_b32_e32 v9, s3
	s_ashr_i32 s7, s6, 31
	v_mov_b32_e32 v8, s2
	v_mov_b32_e32 v7, s1
	;; [unrolled: 1-line block ×3, first 2 shown]
	s_lshl_b64 s[0:1], s[6:7], 3
	s_waitcnt lgkmcnt(0)
	s_add_u32 s0, s8, s0
	v_lshlrev_b32_e32 v28, 4, v0
	s_addc_u32 s1, s9, s1
	ds_write_b128 v28, v[6:9]
	ds_write_b128 v28, v[6:9] offset:4096
	ds_write_b128 v28, v[6:9] offset:8192
	;; [unrolled: 1-line block ×3, first 2 shown]
	s_waitcnt lgkmcnt(0)
	s_barrier
	s_load_dwordx4 s[24:27], s[0:1], 0x0
	s_load_dwordx2 s[14:15], s[4:5], 0x60
	s_load_dwordx8 s[16:23], s[4:5], 0x30
	s_mov_b64 s[0:1], -1
	s_waitcnt lgkmcnt(0)
	s_sub_u32 s28, s26, s24
	s_subb_u32 s29, s27, s25
	v_cmp_gt_i64_e64 s[2:3], s[28:29], 2
	s_and_b64 vcc, exec, s[2:3]
	s_cbranch_vccnz .LBB104_47
; %bb.4:
	v_mov_b32_e32 v6, s24
	v_mov_b32_e32 v7, s25
	v_cmp_le_i64_e32 vcc, s[26:27], v[6:7]
	v_subrev_co_u32_e64 v1, s[0:1], s30, v0
	v_mov_b32_e32 v19, 0
	v_subb_co_u32_e64 v18, s[0:1], 0, 0, s[0:1]
	s_cbranch_vccnz .LBB104_34
; %bb.5:
	s_movk_i32 s31, 0x100
	s_mov_b32 s34, 0
	v_mov_b32_e32 v14, s26
	v_cmp_gt_u32_e64 s[0:1], s31, v0
	v_cmp_gt_u32_e64 s[2:3], 64, v0
	;; [unrolled: 1-line block ×4, first 2 shown]
	v_cmp_eq_u32_e64 s[10:11], 0, v0
	s_brev_b32 s35, 1
	v_mov_b32_e32 v15, s27
	s_mov_b64 s[36:37], s[24:25]
	s_branch .LBB104_7
.LBB104_6:                              ;   in Loop: Header=BB104_7 Depth=1
	s_or_b64 exec, exec, s[12:13]
	s_add_u32 s36, s36, 1
	s_addc_u32 s37, s37, 0
	v_cmp_ge_i64_e32 vcc, s[36:37], v[14:15]
	s_cbranch_vccnz .LBB104_34
.LBB104_7:                              ; =>This Loop Header: Depth=1
                                        ;     Child Loop BB104_9 Depth 2
                                        ;     Child Loop BB104_23 Depth 2
	;; [unrolled: 1-line block ×5, first 2 shown]
	s_lshl_b64 s[12:13], s[36:37], 3
	s_add_u32 s12, s16, s12
	s_addc_u32 s13, s17, s13
	s_load_dwordx4 s[40:43], s[12:13], 0x0
	v_mov_b32_e32 v8, 0
	v_mov_b32_e32 v9, 0
	s_waitcnt lgkmcnt(0)
	s_sub_u32 s38, s42, s30
	v_mov_b32_e32 v6, s41
	v_add_co_u32_e32 v10, vcc, s40, v1
	s_subb_u32 s39, s43, 0
	v_addc_co_u32_e32 v11, vcc, v6, v18, vcc
	v_cmp_gt_i64_e32 vcc, s[38:39], v[10:11]
	v_mov_b32_e32 v6, 0
	v_mov_b32_e32 v7, 0
	s_and_saveexec_b64 s[40:41], vcc
	s_cbranch_execz .LBB104_11
; %bb.8:                                ;   in Loop: Header=BB104_7 Depth=1
	v_lshlrev_b64 v[6:7], 2, v[10:11]
	v_mov_b32_e32 v8, s19
	v_add_co_u32_e32 v12, vcc, s18, v6
	v_addc_co_u32_e32 v13, vcc, v8, v7, vcc
	v_lshlrev_b64 v[6:7], 3, v[10:11]
	v_mov_b32_e32 v8, s21
	v_add_co_u32_e32 v16, vcc, s20, v6
	v_addc_co_u32_e32 v17, vcc, v8, v7, vcc
	v_mov_b32_e32 v8, 0
	v_mov_b32_e32 v9, 0
	;; [unrolled: 1-line block ×3, first 2 shown]
	s_mov_b64 s[42:43], 0
	v_mov_b32_e32 v7, v9
.LBB104_9:                              ;   Parent Loop BB104_7 Depth=1
                                        ; =>  This Inner Loop Header: Depth=2
	global_load_dword v20, v[12:13], off
	global_load_dwordx2 v[24:25], v[16:17], off
	v_mov_b32_e32 v22, s23
	s_waitcnt vmcnt(1)
	v_subrev_u32_e32 v20, s30, v20
	v_ashrrev_i32_e32 v21, 31, v20
	v_lshlrev_b64 v[20:21], 4, v[20:21]
	v_add_co_u32_e32 v20, vcc, s22, v20
	v_addc_co_u32_e32 v21, vcc, v22, v21, vcc
	global_load_dwordx4 v[20:23], v[20:21], off
	v_add_co_u32_e32 v10, vcc, s31, v10
	v_addc_co_u32_e32 v11, vcc, 0, v11, vcc
	v_add_co_u32_e32 v12, vcc, 0x400, v12
	v_addc_co_u32_e32 v13, vcc, 0, v13, vcc
	v_cmp_le_i64_e64 s[12:13], s[38:39], v[10:11]
	v_add_co_u32_e32 v16, vcc, 0x800, v16
	s_or_b64 s[42:43], s[12:13], s[42:43]
	v_addc_co_u32_e32 v17, vcc, 0, v17, vcc
	s_waitcnt vmcnt(0)
	v_fma_f64 v[6:7], v[24:25], v[20:21], v[6:7]
	v_fma_f64 v[8:9], v[20:21], 0, v[8:9]
	;; [unrolled: 1-line block ×4, first 2 shown]
	s_andn2_b64 exec, exec, s[42:43]
	s_cbranch_execnz .LBB104_9
; %bb.10:                               ;   in Loop: Header=BB104_7 Depth=1
	s_or_b64 exec, exec, s[42:43]
.LBB104_11:                             ;   in Loop: Header=BB104_7 Depth=1
	s_or_b64 exec, exec, s[40:41]
	ds_write_b128 v28, v[6:9]
	s_waitcnt lgkmcnt(0)
	s_barrier
	s_and_saveexec_b64 s[12:13], s[0:1]
	s_cbranch_execz .LBB104_13
; %bb.12:                               ;   in Loop: Header=BB104_7 Depth=1
	ds_read_b128 v[6:9], v28 offset:4096
	ds_read_b128 v[10:13], v28 offset:8192
	ds_read_b128 v[20:23], v28 offset:12288
	ds_read_b128 v[24:27], v28
	s_waitcnt lgkmcnt(2)
	v_add_f64 v[6:7], v[10:11], v[6:7]
	v_add_f64 v[8:9], v[12:13], v[8:9]
	s_waitcnt lgkmcnt(1)
	v_add_f64 v[6:7], v[6:7], v[20:21]
	v_add_f64 v[8:9], v[8:9], v[22:23]
	s_waitcnt lgkmcnt(0)
	v_add_f64 v[6:7], v[6:7], v[24:25]
	v_add_f64 v[8:9], v[8:9], v[26:27]
	ds_write_b128 v28, v[6:9]
.LBB104_13:                             ;   in Loop: Header=BB104_7 Depth=1
	s_or_b64 exec, exec, s[12:13]
	s_waitcnt lgkmcnt(0)
	s_barrier
	s_and_saveexec_b64 s[12:13], s[2:3]
	s_cbranch_execz .LBB104_15
; %bb.14:                               ;   in Loop: Header=BB104_7 Depth=1
	ds_read_b128 v[6:9], v28 offset:1024
	ds_read_b128 v[10:13], v28 offset:2048
	ds_read_b128 v[20:23], v28 offset:3072
	ds_read_b128 v[24:27], v28
	s_waitcnt lgkmcnt(2)
	v_add_f64 v[6:7], v[10:11], v[6:7]
	v_add_f64 v[8:9], v[12:13], v[8:9]
	s_waitcnt lgkmcnt(1)
	v_add_f64 v[6:7], v[6:7], v[20:21]
	v_add_f64 v[8:9], v[8:9], v[22:23]
	s_waitcnt lgkmcnt(0)
	v_add_f64 v[6:7], v[6:7], v[24:25]
	v_add_f64 v[8:9], v[8:9], v[26:27]
	ds_write_b128 v28, v[6:9]
.LBB104_15:                             ;   in Loop: Header=BB104_7 Depth=1
	s_or_b64 exec, exec, s[12:13]
	;; [unrolled: 21-line block ×5, first 2 shown]
	s_waitcnt lgkmcnt(0)
	s_barrier
	s_and_saveexec_b64 s[12:13], s[10:11]
	s_cbranch_execz .LBB104_6
; %bb.22:                               ;   in Loop: Header=BB104_7 Depth=1
	ds_read_b128 v[6:9], v19
	v_mov_b32_e32 v16, 0
	s_mov_b64 s[38:39], exec
	v_bfrev_b32_e32 v17, 1
	s_waitcnt lgkmcnt(0)
	v_mul_f64 v[10:11], v[8:9], -v[4:5]
	v_fma_f64 v[10:11], v[2:3], v[6:7], v[10:11]
.LBB104_23:                             ;   Parent Loop BB104_7 Depth=1
                                        ; =>  This Inner Loop Header: Depth=2
	s_ff1_i32_b64 s33, s[38:39]
	v_readlane_b32 s41, v11, s33
	v_readlane_b32 s40, v10, s33
	v_add_f64 v[16:17], v[16:17], s[40:41]
	s_lshl_b64 s[40:41], 1, s33
	s_andn2_b64 s[38:39], s[38:39], s[40:41]
	s_cmp_lg_u64 s[38:39], 0
	s_cbranch_scc1 .LBB104_23
; %bb.24:                               ;   in Loop: Header=BB104_7 Depth=1
	s_lshl_b64 s[38:39], s[36:37], 4
	v_mbcnt_lo_u32_b32 v10, exec_lo, 0
	s_add_u32 s38, s14, s38
	v_mbcnt_hi_u32_b32 v10, exec_hi, v10
	s_addc_u32 s39, s15, s39
	v_cmp_eq_u32_e32 vcc, 0, v10
	s_and_saveexec_b64 s[40:41], vcc
	s_xor_b64 s[40:41], exec, s[40:41]
	s_cbranch_execz .LBB104_28
; %bb.25:                               ;   in Loop: Header=BB104_7 Depth=1
	global_load_dwordx2 v[12:13], v19, s[38:39]
	s_mov_b64 s[42:43], 0
.LBB104_26:                             ;   Parent Loop BB104_7 Depth=1
                                        ; =>  This Inner Loop Header: Depth=2
	s_waitcnt vmcnt(0)
	v_add_f64 v[10:11], v[12:13], v[16:17]
	global_atomic_cmpswap_x2 v[10:11], v19, v[10:13], s[38:39] glc
	s_waitcnt vmcnt(0)
	v_cmp_eq_u64_e32 vcc, v[10:11], v[12:13]
	v_mov_b32_e32 v13, v11
	s_or_b64 s[42:43], vcc, s[42:43]
	v_mov_b32_e32 v12, v10
	s_andn2_b64 exec, exec, s[42:43]
	s_cbranch_execnz .LBB104_26
; %bb.27:                               ;   in Loop: Header=BB104_7 Depth=1
	s_or_b64 exec, exec, s[42:43]
.LBB104_28:                             ;   in Loop: Header=BB104_7 Depth=1
	s_or_b64 exec, exec, s[40:41]
	v_mul_f64 v[8:9], v[2:3], v[8:9]
	v_mov_b32_e32 v10, 0
	s_mov_b64 s[40:41], exec
	v_bfrev_b32_e32 v11, 1
	v_fma_f64 v[6:7], v[4:5], v[6:7], v[8:9]
.LBB104_29:                             ;   Parent Loop BB104_7 Depth=1
                                        ; =>  This Inner Loop Header: Depth=2
	s_ff1_i32_b64 s33, s[40:41]
	v_readlane_b32 s43, v7, s33
	v_readlane_b32 s42, v6, s33
	v_add_f64 v[10:11], v[10:11], s[42:43]
	s_lshl_b64 s[42:43], 1, s33
	s_andn2_b64 s[40:41], s[40:41], s[42:43]
	s_cmp_lg_u64 s[40:41], 0
	s_cbranch_scc1 .LBB104_29
; %bb.30:                               ;   in Loop: Header=BB104_7 Depth=1
	v_mbcnt_lo_u32_b32 v6, exec_lo, 0
	v_mbcnt_hi_u32_b32 v6, exec_hi, v6
	v_cmp_eq_u32_e32 vcc, 0, v6
	s_and_saveexec_b64 s[40:41], vcc
	s_xor_b64 s[40:41], exec, s[40:41]
	s_cbranch_execz .LBB104_6
; %bb.31:                               ;   in Loop: Header=BB104_7 Depth=1
	global_load_dwordx2 v[8:9], v19, s[38:39] offset:8
	s_mov_b64 s[40:41], 0
.LBB104_32:                             ;   Parent Loop BB104_7 Depth=1
                                        ; =>  This Inner Loop Header: Depth=2
	s_waitcnt vmcnt(0)
	v_add_f64 v[6:7], v[8:9], v[10:11]
	global_atomic_cmpswap_x2 v[6:7], v19, v[6:9], s[38:39] offset:8 glc
	s_waitcnt vmcnt(0)
	v_cmp_eq_u64_e32 vcc, v[6:7], v[8:9]
	v_mov_b32_e32 v9, v7
	s_or_b64 s[40:41], vcc, s[40:41]
	v_mov_b32_e32 v8, v6
	s_andn2_b64 exec, exec, s[40:41]
	s_cbranch_execnz .LBB104_32
; %bb.33:                               ;   in Loop: Header=BB104_7 Depth=1
	s_or_b64 exec, exec, s[40:41]
	s_branch .LBB104_6
.LBB104_34:
	s_lshl_b64 s[0:1], s[24:25], 3
	s_add_u32 s0, s16, s0
	s_addc_u32 s1, s17, s1
	s_lshl_b64 s[2:3], s[26:27], 3
	s_add_u32 s2, s16, s2
	s_addc_u32 s3, s17, s3
	s_load_dwordx2 s[8:9], s[0:1], 0x0
	s_load_dwordx2 s[6:7], s[2:3], 0x0
	s_waitcnt lgkmcnt(0)
	v_mov_b32_e32 v6, s9
	s_sub_u32 s6, s6, s30
	v_add_co_u32_e32 v14, vcc, s8, v1
	s_subb_u32 s7, s7, 0
	v_addc_co_u32_e32 v15, vcc, v6, v18, vcc
	v_cmp_gt_i64_e32 vcc, s[6:7], v[14:15]
	s_and_saveexec_b64 s[8:9], vcc
	s_cbranch_execz .LBB104_46
; %bb.35:
	s_add_u32 s10, s26, -1
	s_addc_u32 s11, s27, -1
	s_add_u32 s0, s26, -2
	s_addc_u32 s1, s27, -1
	s_cmp_lg_u64 s[24:25], s[0:1]
	s_mov_b32 s0, 0
	s_brev_b32 s1, 1
	v_mul_f64 v[16:17], v[4:5], s[0:1]
	v_mul_f64 v[18:19], v[2:3], 0
	v_mov_b32_e32 v6, s10
	v_mov_b32_e32 v7, s11
	v_cmp_lt_i64_e32 vcc, s[24:25], v[6:7]
	s_cselect_b64 s[0:1], -1, 0
	s_and_b64 s[0:1], vcc, s[0:1]
	v_cndmask_b32_e64 v1, 0, 1, s[0:1]
	s_mov_b64 s[12:13], 0
	v_cmp_ne_u32_e64 s[0:1], 1, v1
	v_mov_b32_e32 v1, s17
	v_mov_b32_e32 v29, s19
	s_branch .LBB104_37
.LBB104_36:                             ;   in Loop: Header=BB104_37 Depth=1
	s_or_b64 exec, exec, s[2:3]
	v_add_co_u32_e32 v14, vcc, 0x100, v14
	v_addc_co_u32_e32 v15, vcc, 0, v15, vcc
	v_cmp_le_i64_e32 vcc, s[6:7], v[14:15]
	s_or_b64 s[12:13], vcc, s[12:13]
	s_andn2_b64 exec, exec, s[12:13]
	s_cbranch_execz .LBB104_46
.LBB104_37:                             ; =>This Loop Header: Depth=1
                                        ;     Child Loop BB104_39 Depth 2
                                        ;     Child Loop BB104_43 Depth 2
	;; [unrolled: 1-line block ×3, first 2 shown]
	v_mov_b32_e32 v6, s24
	v_mov_b32_e32 v8, s10
	s_and_b64 vcc, exec, s[0:1]
	v_mov_b32_e32 v7, s25
	v_mov_b32_e32 v9, s11
	s_cbranch_vccnz .LBB104_41
; %bb.38:                               ;   in Loop: Header=BB104_37 Depth=1
	v_mov_b32_e32 v6, s24
	v_mov_b32_e32 v8, s10
	s_mov_b64 s[34:35], 0
	v_mov_b32_e32 v7, s25
	v_mov_b32_e32 v9, s11
.LBB104_39:                             ;   Parent Loop BB104_37 Depth=1
                                        ; =>  This Inner Loop Header: Depth=2
	v_add_co_u32_e32 v10, vcc, v8, v6
	v_addc_co_u32_e32 v11, vcc, v9, v7, vcc
	v_lshrrev_b32_e32 v12, 31, v11
	v_add_co_u32_e32 v10, vcc, v10, v12
	v_addc_co_u32_e32 v11, vcc, 0, v11, vcc
	v_ashrrev_i64 v[10:11], 1, v[10:11]
	v_mov_b32_e32 v20, s17
	v_lshlrev_b64 v[12:13], 3, v[10:11]
	v_add_co_u32_e32 v12, vcc, s16, v12
	v_addc_co_u32_e32 v13, vcc, v20, v13, vcc
	global_load_dwordx2 v[12:13], v[12:13], off
	s_waitcnt vmcnt(0)
	v_subrev_co_u32_e32 v12, vcc, s30, v12
	v_subbrev_co_u32_e32 v13, vcc, 0, v13, vcc
	v_cmp_lt_i64_e32 vcc, v[14:15], v[12:13]
	v_cndmask_b32_e32 v8, v8, v10, vcc
	v_cndmask_b32_e32 v9, v9, v11, vcc
	;; [unrolled: 1-line block ×3, first 2 shown]
	v_add_co_u32_e64 v10, s[2:3], -1, v8
	v_cndmask_b32_e32 v7, v11, v7, vcc
	v_addc_co_u32_e64 v11, s[2:3], -1, v9, s[2:3]
	v_cmp_ge_i64_e32 vcc, v[6:7], v[8:9]
	v_cmp_eq_u64_e64 s[2:3], v[6:7], v[10:11]
	s_or_b64 s[2:3], vcc, s[2:3]
	s_and_b64 s[2:3], exec, s[2:3]
	s_or_b64 s[34:35], s[2:3], s[34:35]
	s_andn2_b64 exec, exec, s[34:35]
	s_cbranch_execnz .LBB104_39
; %bb.40:                               ;   in Loop: Header=BB104_37 Depth=1
	s_or_b64 exec, exec, s[34:35]
.LBB104_41:                             ;   in Loop: Header=BB104_37 Depth=1
	v_lshlrev_b64 v[10:11], 3, v[8:9]
	v_lshlrev_b64 v[12:13], 2, v[14:15]
	v_add_co_u32_e32 v10, vcc, s16, v10
	v_addc_co_u32_e32 v11, vcc, v1, v11, vcc
	global_load_dwordx2 v[10:11], v[10:11], off
	v_add_co_u32_e32 v12, vcc, s18, v12
	v_addc_co_u32_e32 v13, vcc, v29, v13, vcc
	global_load_dword v20, v[12:13], off
	s_waitcnt vmcnt(1)
	v_subrev_co_u32_e32 v12, vcc, s30, v10
	v_subbrev_co_u32_e32 v13, vcc, 0, v11, vcc
	v_cmp_lt_i64_e32 vcc, v[14:15], v[12:13]
	s_waitcnt vmcnt(0)
	v_subrev_u32_e32 v10, s30, v20
	v_cndmask_b32_e32 v7, v9, v7, vcc
	v_cndmask_b32_e32 v6, v8, v6, vcc
	v_ashrrev_i32_e32 v11, 31, v10
	v_cmp_ne_u64_e32 vcc, v[6:7], v[10:11]
	s_and_saveexec_b64 s[2:3], vcc
	s_cbranch_execz .LBB104_36
; %bb.42:                               ;   in Loop: Header=BB104_37 Depth=1
	v_lshlrev_b64 v[8:9], 3, v[14:15]
	v_mov_b32_e32 v12, s21
	v_add_co_u32_e32 v8, vcc, s20, v8
	v_addc_co_u32_e32 v9, vcc, v12, v9, vcc
	global_load_dwordx2 v[24:25], v[8:9], off
	v_lshlrev_b64 v[6:7], 4, v[6:7]
	v_mov_b32_e32 v8, s23
	v_add_co_u32_e32 v6, vcc, s22, v6
	v_addc_co_u32_e32 v7, vcc, v8, v7, vcc
	global_load_dwordx4 v[6:9], v[6:7], off
	v_lshlrev_b64 v[10:11], 4, v[10:11]
	v_mov_b32_e32 v12, s15
	v_add_co_u32_e32 v20, vcc, s14, v10
	v_addc_co_u32_e32 v21, vcc, v12, v11, vcc
	global_load_dwordx2 v[12:13], v[20:21], off
	s_mov_b64 s[34:35], 0
	s_waitcnt vmcnt(2)
	v_fma_f64 v[22:23], v[4:5], v[24:25], v[18:19]
	v_fma_f64 v[24:25], v[2:3], v[24:25], v[16:17]
	s_waitcnt vmcnt(1)
	v_mul_f64 v[10:11], v[8:9], -v[22:23]
	v_fma_f64 v[26:27], v[24:25], v[6:7], v[10:11]
.LBB104_43:                             ;   Parent Loop BB104_37 Depth=1
                                        ; =>  This Inner Loop Header: Depth=2
	s_waitcnt vmcnt(0)
	v_add_f64 v[10:11], v[12:13], v[26:27]
	global_atomic_cmpswap_x2 v[10:11], v[20:21], v[10:13], off glc
	s_waitcnt vmcnt(0)
	v_cmp_eq_u64_e32 vcc, v[10:11], v[12:13]
	v_mov_b32_e32 v13, v11
	s_or_b64 s[34:35], vcc, s[34:35]
	v_mov_b32_e32 v12, v10
	s_andn2_b64 exec, exec, s[34:35]
	s_cbranch_execnz .LBB104_43
; %bb.44:                               ;   in Loop: Header=BB104_37 Depth=1
	s_or_b64 exec, exec, s[34:35]
	global_load_dwordx2 v[10:11], v[20:21], off offset:8
	v_mul_f64 v[8:9], v[24:25], v[8:9]
	s_mov_b64 s[34:35], 0
	v_fma_f64 v[6:7], v[22:23], v[6:7], v[8:9]
.LBB104_45:                             ;   Parent Loop BB104_37 Depth=1
                                        ; =>  This Inner Loop Header: Depth=2
	s_waitcnt vmcnt(0)
	v_add_f64 v[8:9], v[10:11], v[6:7]
	global_atomic_cmpswap_x2 v[8:9], v[20:21], v[8:11], off offset:8 glc
	s_waitcnt vmcnt(0)
	v_cmp_eq_u64_e32 vcc, v[8:9], v[10:11]
	v_mov_b32_e32 v11, v9
	s_or_b64 s[34:35], vcc, s[34:35]
	v_mov_b32_e32 v10, v8
	s_andn2_b64 exec, exec, s[34:35]
	s_cbranch_execnz .LBB104_45
	s_branch .LBB104_36
.LBB104_46:
	s_or_b64 exec, exec, s[8:9]
	s_mov_b64 s[0:1], 0
.LBB104_47:
	s_and_b64 vcc, exec, s[0:1]
	s_cbranch_vccz .LBB104_199
; %bb.48:
	s_load_dword s0, s[4:5], 0x7c
	v_mov_b32_e32 v6, s28
	s_mov_b32 s13, 0
	v_mov_b32_e32 v7, s29
	s_mov_b64 s[36:37], 0
	s_waitcnt lgkmcnt(0)
	s_and_b32 s12, s0, 0xffff
	v_cmp_lt_u64_e32 vcc, s[12:13], v[6:7]
	s_cbranch_vccnz .LBB104_50
; %bb.49:
	v_cvt_f32_u32_e32 v1, s28
	s_sub_i32 s0, 0, s28
	v_rcp_iflag_f32_e32 v1, v1
	v_mul_f32_e32 v1, 0x4f7ffffe, v1
	v_cvt_u32_f32_e32 v1, v1
	v_readfirstlane_b32 s1, v1
	s_mul_i32 s0, s0, s1
	s_mul_hi_u32 s0, s1, s0
	s_add_i32 s1, s1, s0
	s_mul_hi_u32 s0, s12, s1
	s_mul_i32 s2, s0, s28
	s_sub_i32 s2, s12, s2
	s_add_i32 s1, s0, 1
	s_sub_i32 s3, s2, s28
	s_cmp_ge_u32 s2, s28
	s_cselect_b32 s0, s1, s0
	s_cselect_b32 s2, s3, s2
	s_add_i32 s1, s0, 1
	s_cmp_ge_u32 s2, s28
	s_cselect_b32 s36, s1, s0
.LBB104_50:
	s_lshl_b64 s[0:1], s[24:25], 3
	s_add_u32 s34, s16, s0
	s_addc_u32 s35, s17, s1
	s_load_dwordx2 s[6:7], s[34:35], 0x0
	s_load_dwordx4 s[8:11], s[4:5], 0x8
	v_subrev_co_u32_e32 v1, vcc, s30, v0
	v_subb_co_u32_e64 v6, s[0:1], 0, 0, vcc
	s_waitcnt lgkmcnt(0)
	v_mov_b32_e32 v7, s7
	v_add_co_u32_e32 v14, vcc, s6, v1
	v_addc_co_u32_e32 v15, vcc, v7, v6, vcc
	v_add_co_u32_e32 v16, vcc, 0x300, v14
	v_addc_co_u32_e32 v17, vcc, 0, v15, vcc
	v_cmp_le_i64_e64 s[0:1], s[8:9], v[16:17]
	v_mov_b32_e32 v1, 0
	s_and_saveexec_b64 s[2:3], s[0:1]
	s_xor_b64 s[2:3], exec, s[2:3]
	s_cbranch_execnz .LBB104_53
; %bb.51:
	s_andn2_saveexec_b64 s[2:3], s[2:3]
	s_cbranch_execnz .LBB104_57
.LBB104_52:
	s_or_b64 exec, exec, s[2:3]
	v_cmp_gt_i64_e32 vcc, s[10:11], v[0:1]
	s_and_saveexec_b64 s[2:3], vcc
	s_cbranch_execnz .LBB104_58
	s_branch .LBB104_60
.LBB104_53:
	s_lshl_b64 s[4:5], s[26:27], 3
	s_add_u32 s4, s16, s4
	s_addc_u32 s5, s17, s5
	s_load_dwordx2 s[4:5], s[4:5], 0x0
	s_waitcnt lgkmcnt(0)
	s_sub_u32 s4, s4, s6
	s_subb_u32 s5, s5, s7
	v_cmp_gt_i64_e32 vcc, s[4:5], v[0:1]
	s_and_saveexec_b64 s[8:9], vcc
	s_cbranch_execz .LBB104_56
; %bb.54:
	s_mov_b32 s38, 0
	s_brev_b32 s39, 1
	v_mul_f64 v[6:7], v[4:5], s[38:39]
	v_mul_f64 v[8:9], v[2:3], 0
	v_lshlrev_b64 v[10:11], 3, v[14:15]
	v_mov_b32_e32 v12, s21
	v_add_co_u32_e32 v10, vcc, s20, v10
	v_addc_co_u32_e32 v11, vcc, v12, v11, vcc
	v_mov_b32_e32 v13, v1
	s_mov_b64 s[38:39], 0
	v_mov_b32_e32 v18, v28
	v_mov_b32_e32 v12, v0
.LBB104_55:                             ; =>This Inner Loop Header: Depth=1
	global_load_dwordx2 v[21:22], v[10:11], off
	v_add_co_u32_e32 v10, vcc, 0x800, v10
	v_addc_co_u32_e32 v11, vcc, 0, v11, vcc
	v_add_co_u32_e32 v12, vcc, 0x100, v12
	v_addc_co_u32_e32 v13, vcc, 0, v13, vcc
	v_cmp_le_i64_e32 vcc, s[4:5], v[12:13]
	s_or_b64 s[38:39], vcc, s[38:39]
	s_waitcnt vmcnt(0)
	v_fma_f64 v[19:20], v[2:3], v[21:22], v[6:7]
	v_fma_f64 v[21:22], v[4:5], v[21:22], v[8:9]
	ds_write_b128 v18, v[19:22]
	v_add_u32_e32 v18, 0x1000, v18
	s_andn2_b64 exec, exec, s[38:39]
	s_cbranch_execnz .LBB104_55
.LBB104_56:
	s_or_b64 exec, exec, s[8:9]
                                        ; implicit-def: $vgpr4_vgpr5
	s_andn2_saveexec_b64 s[2:3], s[2:3]
	s_cbranch_execz .LBB104_52
.LBB104_57:
	v_lshlrev_b64 v[6:7], 3, v[14:15]
	v_mov_b32_e32 v8, s21
	v_add_co_u32_e32 v6, vcc, s20, v6
	v_addc_co_u32_e32 v7, vcc, v8, v7, vcc
	s_movk_i32 s4, 0x1000
	global_load_dwordx2 v[8:9], v[6:7], off
	global_load_dwordx2 v[12:13], v[6:7], off offset:2048
	v_add_co_u32_e32 v6, vcc, s4, v6
	v_addc_co_u32_e32 v7, vcc, 0, v7, vcc
	global_load_dwordx2 v[20:21], v[6:7], off
	global_load_dwordx2 v[22:23], v[6:7], off offset:2048
	s_mov_b32 s4, 0
	s_brev_b32 s5, 1
	v_mul_f64 v[24:25], v[4:5], s[4:5]
	v_mul_f64 v[26:27], v[2:3], 0
	s_waitcnt vmcnt(3)
	v_fma_f64 v[6:7], v[2:3], v[8:9], v[24:25]
	v_fma_f64 v[8:9], v[4:5], v[8:9], v[26:27]
	s_waitcnt vmcnt(2)
	v_fma_f64 v[10:11], v[2:3], v[12:13], v[24:25]
	v_fma_f64 v[12:13], v[4:5], v[12:13], v[26:27]
	;; [unrolled: 3-line block ×4, first 2 shown]
	ds_write_b128 v28, v[6:9]
	ds_write_b128 v28, v[10:13] offset:4096
	ds_write_b128 v28, v[18:21] offset:8192
	;; [unrolled: 1-line block ×3, first 2 shown]
	s_or_b64 exec, exec, s[2:3]
	v_cmp_gt_i64_e32 vcc, s[10:11], v[0:1]
	s_and_saveexec_b64 s[2:3], vcc
	s_cbranch_execz .LBB104_60
.LBB104_58:
	s_mov_b32 s8, 0
	v_mov_b32_e32 v2, 0x4000
	s_mov_b32 s20, s8
	v_lshl_add_u32 v8, v0, 4, v2
	s_mov_b32 s9, s8
	s_mov_b32 s21, s8
	v_mov_b32_e32 v2, s8
	v_mov_b32_e32 v4, s20
	;; [unrolled: 1-line block ×3, first 2 shown]
	s_mov_b64 s[4:5], 0
	v_mov_b32_e32 v3, s9
	v_mov_b32_e32 v5, s21
	;; [unrolled: 1-line block ×3, first 2 shown]
.LBB104_59:                             ; =>This Inner Loop Header: Depth=1
	v_add_co_u32_e32 v6, vcc, 0x100, v6
	v_addc_co_u32_e32 v7, vcc, 0, v7, vcc
	v_cmp_le_i64_e32 vcc, s[10:11], v[6:7]
	ds_write2_b64 v8, v[2:3], v[4:5] offset1:1
	s_or_b64 s[4:5], vcc, s[4:5]
	v_add_u32_e32 v8, 0x1000, v8
	s_andn2_b64 exec, exec, s[4:5]
	s_cbranch_execnz .LBB104_59
.LBB104_60:
	s_or_b64 exec, exec, s[2:3]
	v_mov_b32_e32 v2, s10
	v_mov_b32_e32 v3, s11
	s_sub_u32 s4, s26, s10
	v_cmp_ge_i64_e32 vcc, s[26:27], v[2:3]
	s_subb_u32 s5, s27, s11
	s_and_b64 s[2:3], vcc, exec
	s_cselect_b32 s9, s5, 0
	s_cselect_b32 s8, s4, 0
	s_waitcnt lgkmcnt(0)
	s_barrier
	s_and_saveexec_b64 s[2:3], s[0:1]
	s_xor_b64 s[20:21], exec, s[2:3]
	s_cbranch_execz .LBB104_85
; %bb.61:
	s_lshl_b64 s[0:1], s[26:27], 3
	s_add_u32 s0, s16, s0
	s_addc_u32 s1, s17, s1
	s_load_dwordx2 s[0:1], s[0:1], 0x0
	s_waitcnt lgkmcnt(0)
	s_sub_u32 s38, s0, s6
	s_subb_u32 s39, s1, s7
	v_cmp_gt_i64_e32 vcc, s[38:39], v[0:1]
	s_and_saveexec_b64 s[40:41], vcc
	s_cbranch_execz .LBB104_84
; %bb.62:
	s_add_u32 s42, s26, -1
	s_addc_u32 s43, s27, -1
	s_add_u32 s2, s26, -2
	s_addc_u32 s3, s27, -1
	s_cmp_lg_u64 s[24:25], s[2:3]
	s_cselect_b64 s[2:3], -1, 0
	s_sub_u32 s44, s0, s30
	v_cndmask_b32_e64 v2, 0, 1, s[2:3]
	s_subb_u32 s45, s1, 0
	s_mov_b64 s[46:47], 0
	v_cmp_ne_u32_e64 s[0:1], 1, v2
	v_mov_b32_e32 v24, s17
	v_mov_b32_e32 v25, s19
	;; [unrolled: 1-line block ×4, first 2 shown]
	s_mov_b64 s[48:49], 0
	s_branch .LBB104_65
.LBB104_63:                             ;   in Loop: Header=BB104_65 Depth=1
	s_or_b64 exec, exec, s[2:3]
.LBB104_64:                             ;   in Loop: Header=BB104_65 Depth=1
	s_or_b64 exec, exec, s[4:5]
	v_lshlrev_b64 v[6:7], 4, v[16:17]
	s_add_u32 s48, s48, 0x100
	v_add_co_u32_e32 v6, vcc, s22, v6
	v_addc_co_u32_e32 v7, vcc, v26, v7, vcc
	global_load_dwordx4 v[6:9], v[6:7], off
	s_addc_u32 s49, s49, 0
	s_waitcnt vmcnt(0)
	v_mul_f64 v[10:11], v[8:9], v[18:19]
	v_mul_f64 v[8:9], v[8:9], v[2:3]
	v_fma_f64 v[2:3], v[2:3], v[6:7], v[10:11]
	v_fma_f64 v[4:5], v[4:5], v[6:7], v[8:9]
	v_mov_b32_e32 v7, s49
	v_add_co_u32_e32 v6, vcc, s48, v0
	v_addc_co_u32_e32 v7, vcc, 0, v7, vcc
	v_cmp_le_i64_e32 vcc, s[38:39], v[6:7]
	v_lshlrev_b32_e32 v6, 4, v29
	s_or_b64 s[46:47], vcc, s[46:47]
	ds_write_b128 v6, v[2:5]
	s_andn2_b64 exec, exec, s[46:47]
	s_cbranch_execz .LBB104_84
.LBB104_65:                             ; =>This Loop Header: Depth=1
                                        ;     Child Loop BB104_67 Depth 2
                                        ;     Child Loop BB104_74 Depth 2
	;; [unrolled: 1-line block ×5, first 2 shown]
	v_mov_b32_e32 v3, s49
	v_add_co_u32_e32 v2, vcc, s48, v14
	v_addc_co_u32_e32 v3, vcc, v3, v15, vcc
	v_mov_b32_e32 v4, s24
	v_mov_b32_e32 v6, s42
	s_and_b64 vcc, exec, s[0:1]
	v_mov_b32_e32 v5, s25
	v_mov_b32_e32 v7, s43
	s_cbranch_vccnz .LBB104_69
; %bb.66:                               ;   in Loop: Header=BB104_65 Depth=1
	v_mov_b32_e32 v4, s24
	v_mov_b32_e32 v6, s42
	s_mov_b64 s[4:5], 0
	v_mov_b32_e32 v5, s25
	v_mov_b32_e32 v7, s43
.LBB104_67:                             ;   Parent Loop BB104_65 Depth=1
                                        ; =>  This Inner Loop Header: Depth=2
	v_add_co_u32_e32 v8, vcc, v6, v4
	v_addc_co_u32_e32 v9, vcc, v7, v5, vcc
	v_lshrrev_b32_e32 v10, 31, v9
	v_add_co_u32_e32 v8, vcc, v8, v10
	v_addc_co_u32_e32 v9, vcc, 0, v9, vcc
	v_ashrrev_i64 v[8:9], 1, v[8:9]
	v_mov_b32_e32 v12, s17
	v_lshlrev_b64 v[10:11], 3, v[8:9]
	v_add_co_u32_e32 v10, vcc, s16, v10
	v_addc_co_u32_e32 v11, vcc, v12, v11, vcc
	global_load_dwordx2 v[10:11], v[10:11], off
	s_waitcnt vmcnt(0)
	v_subrev_co_u32_e32 v10, vcc, s30, v10
	v_subbrev_co_u32_e32 v11, vcc, 0, v11, vcc
	v_cmp_lt_i64_e32 vcc, v[2:3], v[10:11]
	v_cndmask_b32_e32 v6, v6, v8, vcc
	v_cndmask_b32_e32 v7, v7, v9, vcc
	;; [unrolled: 1-line block ×3, first 2 shown]
	v_add_co_u32_e64 v8, s[2:3], -1, v6
	v_cndmask_b32_e32 v5, v9, v5, vcc
	v_addc_co_u32_e64 v9, s[2:3], -1, v7, s[2:3]
	v_cmp_ge_i64_e32 vcc, v[4:5], v[6:7]
	v_cmp_eq_u64_e64 s[2:3], v[4:5], v[8:9]
	s_or_b64 s[2:3], vcc, s[2:3]
	s_and_b64 s[2:3], exec, s[2:3]
	s_or_b64 s[4:5], s[2:3], s[4:5]
	s_andn2_b64 exec, exec, s[4:5]
	s_cbranch_execnz .LBB104_67
; %bb.68:                               ;   in Loop: Header=BB104_65 Depth=1
	s_or_b64 exec, exec, s[4:5]
.LBB104_69:                             ;   in Loop: Header=BB104_65 Depth=1
	v_lshlrev_b64 v[8:9], 3, v[6:7]
	v_lshlrev_b64 v[10:11], 2, v[2:3]
	v_add_co_u32_e32 v8, vcc, s16, v8
	v_addc_co_u32_e32 v9, vcc, v24, v9, vcc
	global_load_dwordx2 v[8:9], v[8:9], off
	v_add_co_u32_e32 v10, vcc, s18, v10
	v_addc_co_u32_e32 v11, vcc, v25, v11, vcc
	global_load_dword v10, v[10:11], off
	v_cmp_le_i64_e32 vcc, s[44:45], v[2:3]
	v_add_co_u32_e64 v29, s[4:5], s48, v0
                                        ; implicit-def: $vgpr18_vgpr19
	s_waitcnt vmcnt(1)
	v_subrev_co_u32_e64 v8, s[2:3], s30, v8
	v_subbrev_co_u32_e64 v9, s[2:3], 0, v9, s[2:3]
	v_cmp_lt_i64_e64 s[2:3], v[2:3], v[8:9]
	s_waitcnt vmcnt(0)
	v_subrev_u32_e32 v16, s30, v10
	v_cndmask_b32_e64 v7, v7, v5, s[2:3]
	v_ashrrev_i32_e32 v17, 31, v16
	v_cndmask_b32_e64 v6, v6, v4, s[2:3]
	v_cmp_eq_u64_e64 s[2:3], v[6:7], v[16:17]
	v_lshlrev_b32_e32 v10, 4, v29
	s_or_b64 s[2:3], s[2:3], vcc
                                        ; implicit-def: $vgpr2_vgpr3
	s_and_saveexec_b64 s[4:5], s[2:3]
	s_xor_b64 s[2:3], exec, s[4:5]
	s_cbranch_execz .LBB104_71
; %bb.70:                               ;   in Loop: Header=BB104_65 Depth=1
	ds_read_b128 v[2:5], v10
                                        ; implicit-def: $vgpr6_vgpr7
                                        ; implicit-def: $vgpr10
	s_waitcnt lgkmcnt(0)
	v_xor_b32_e32 v19, 0x80000000, v5
	v_mov_b32_e32 v18, v4
.LBB104_71:                             ;   in Loop: Header=BB104_65 Depth=1
	s_andn2_saveexec_b64 s[4:5], s[2:3]
	s_cbranch_execz .LBB104_64
; %bb.72:                               ;   in Loop: Header=BB104_65 Depth=1
	v_cmp_gt_i64_e32 vcc, s[8:9], v[16:17]
	v_cmp_le_i64_e64 s[2:3], s[26:27], v[16:17]
	v_lshlrev_b64 v[6:7], 4, v[6:7]
	s_or_b64 s[2:3], vcc, s[2:3]
                                        ; implicit-def: $vgpr2_vgpr3
                                        ; implicit-def: $vgpr18_vgpr19
	s_and_saveexec_b64 s[50:51], s[2:3]
	s_xor_b64 s[2:3], exec, s[50:51]
	s_cbranch_execz .LBB104_78
; %bb.73:                               ;   in Loop: Header=BB104_65 Depth=1
	v_mov_b32_e32 v3, s23
	v_add_co_u32_e32 v2, vcc, s22, v6
	v_addc_co_u32_e32 v3, vcc, v3, v7, vcc
	global_load_dwordx4 v[6:9], v[2:3], off
	v_lshlrev_b64 v[2:3], 4, v[16:17]
	v_mov_b32_e32 v4, s15
	v_add_co_u32_e32 v20, vcc, s14, v2
	v_addc_co_u32_e32 v21, vcc, v4, v3, vcc
	global_load_dwordx2 v[12:13], v[20:21], off
	ds_read_b128 v[2:5], v10
	s_mov_b64 s[50:51], 0
	s_waitcnt lgkmcnt(0)
	v_xor_b32_e32 v19, 0x80000000, v5
	v_mov_b32_e32 v18, v4
	s_waitcnt vmcnt(1)
	v_mul_f64 v[10:11], v[8:9], -v[4:5]
	v_fma_f64 v[22:23], v[2:3], v[6:7], v[10:11]
.LBB104_74:                             ;   Parent Loop BB104_65 Depth=1
                                        ; =>  This Inner Loop Header: Depth=2
	s_waitcnt vmcnt(0)
	v_add_f64 v[10:11], v[12:13], v[22:23]
	global_atomic_cmpswap_x2 v[10:11], v[20:21], v[10:13], off glc
	s_waitcnt vmcnt(0)
	v_cmp_eq_u64_e32 vcc, v[10:11], v[12:13]
	v_mov_b32_e32 v13, v11
	s_or_b64 s[50:51], vcc, s[50:51]
	v_mov_b32_e32 v12, v10
	s_andn2_b64 exec, exec, s[50:51]
	s_cbranch_execnz .LBB104_74
; %bb.75:                               ;   in Loop: Header=BB104_65 Depth=1
	s_or_b64 exec, exec, s[50:51]
	global_load_dwordx2 v[10:11], v[20:21], off offset:8
	v_mul_f64 v[8:9], v[8:9], v[2:3]
	s_mov_b64 s[50:51], 0
	v_fma_f64 v[6:7], v[4:5], v[6:7], v[8:9]
.LBB104_76:                             ;   Parent Loop BB104_65 Depth=1
                                        ; =>  This Inner Loop Header: Depth=2
	s_waitcnt vmcnt(0)
	v_add_f64 v[8:9], v[10:11], v[6:7]
	global_atomic_cmpswap_x2 v[8:9], v[20:21], v[8:11], off offset:8 glc
	s_waitcnt vmcnt(0)
	v_cmp_eq_u64_e32 vcc, v[8:9], v[10:11]
	v_mov_b32_e32 v11, v9
	s_or_b64 s[50:51], vcc, s[50:51]
	v_mov_b32_e32 v10, v8
	s_andn2_b64 exec, exec, s[50:51]
	s_cbranch_execnz .LBB104_76
; %bb.77:                               ;   in Loop: Header=BB104_65 Depth=1
	s_or_b64 exec, exec, s[50:51]
                                        ; implicit-def: $vgpr6_vgpr7
                                        ; implicit-def: $vgpr10
.LBB104_78:                             ;   in Loop: Header=BB104_65 Depth=1
	s_andn2_saveexec_b64 s[2:3], s[2:3]
	s_cbranch_execz .LBB104_63
; %bb.79:                               ;   in Loop: Header=BB104_65 Depth=1
	v_add_co_u32_e32 v2, vcc, s22, v6
	v_addc_co_u32_e32 v3, vcc, v26, v7, vcc
	global_load_dwordx4 v[6:9], v[2:3], off
	ds_read_b128 v[2:5], v10
	v_subrev_u32_e32 v12, s8, v16
	v_lshl_add_u32 v20, v12, 4, v27
	ds_read_b64 v[12:13], v20
	s_mov_b64 s[50:51], 0
	s_waitcnt lgkmcnt(1)
	v_xor_b32_e32 v19, 0x80000000, v5
	v_mov_b32_e32 v18, v4
	s_waitcnt vmcnt(0)
	v_mul_f64 v[10:11], v[8:9], -v[4:5]
	v_fma_f64 v[10:11], v[2:3], v[6:7], v[10:11]
.LBB104_80:                             ;   Parent Loop BB104_65 Depth=1
                                        ; =>  This Inner Loop Header: Depth=2
	s_waitcnt lgkmcnt(0)
	v_add_f64 v[21:22], v[12:13], v[10:11]
	ds_cmpst_rtn_b64 v[21:22], v20, v[12:13], v[21:22]
	s_waitcnt lgkmcnt(0)
	v_cmp_eq_u64_e32 vcc, v[21:22], v[12:13]
	v_mov_b32_e32 v12, v21
	s_or_b64 s[50:51], vcc, s[50:51]
	v_mov_b32_e32 v13, v22
	s_andn2_b64 exec, exec, s[50:51]
	s_cbranch_execnz .LBB104_80
; %bb.81:                               ;   in Loop: Header=BB104_65 Depth=1
	s_or_b64 exec, exec, s[50:51]
	v_mul_f64 v[8:9], v[8:9], v[2:3]
	s_mov_b64 s[50:51], 0
	v_fma_f64 v[6:7], v[4:5], v[6:7], v[8:9]
	ds_read_b64 v[8:9], v20 offset:8
.LBB104_82:                             ;   Parent Loop BB104_65 Depth=1
                                        ; =>  This Inner Loop Header: Depth=2
	s_waitcnt lgkmcnt(0)
	v_add_f64 v[10:11], v[8:9], v[6:7]
	ds_cmpst_rtn_b64 v[10:11], v20, v[8:9], v[10:11] offset:8
	s_waitcnt lgkmcnt(0)
	v_cmp_eq_u64_e32 vcc, v[10:11], v[8:9]
	v_mov_b32_e32 v8, v10
	s_or_b64 s[50:51], vcc, s[50:51]
	v_mov_b32_e32 v9, v11
	s_andn2_b64 exec, exec, s[50:51]
	s_cbranch_execnz .LBB104_82
; %bb.83:                               ;   in Loop: Header=BB104_65 Depth=1
	s_or_b64 exec, exec, s[50:51]
	s_branch .LBB104_63
.LBB104_84:
	s_or_b64 exec, exec, s[40:41]
                                        ; implicit-def: $vgpr16_vgpr17
                                        ; implicit-def: $vgpr14
.LBB104_85:
	s_andn2_saveexec_b64 s[4:5], s[20:21]
	s_cbranch_execz .LBB104_159
; %bb.86:
	s_add_u32 s20, s26, -1
	s_addc_u32 s21, s27, -1
	s_add_u32 s0, s26, -2
	s_addc_u32 s1, s27, -1
	s_cmp_lg_u64 s[24:25], s[0:1]
	v_mov_b32_e32 v2, s24
	v_mov_b32_e32 v4, s20
	s_cselect_b64 s[2:3], -1, 0
	s_cmp_eq_u64 s[24:25], s[0:1]
	v_mov_b32_e32 v3, s25
	v_mov_b32_e32 v5, s21
	s_cbranch_scc1 .LBB104_90
; %bb.87:
	v_mov_b32_e32 v2, s24
	v_mov_b32_e32 v4, s20
	s_mov_b64 s[38:39], 0
	v_mov_b32_e32 v3, s25
	v_mov_b32_e32 v5, s21
	;; [unrolled: 1-line block ×3, first 2 shown]
.LBB104_88:                             ; =>This Inner Loop Header: Depth=1
	v_add_co_u32_e32 v7, vcc, v4, v2
	v_addc_co_u32_e32 v8, vcc, v5, v3, vcc
	v_lshrrev_b32_e32 v9, 31, v8
	v_add_co_u32_e32 v7, vcc, v7, v9
	v_addc_co_u32_e32 v8, vcc, 0, v8, vcc
	v_ashrrev_i64 v[7:8], 1, v[7:8]
	v_lshlrev_b64 v[9:10], 3, v[7:8]
	v_add_co_u32_e32 v9, vcc, s16, v9
	v_addc_co_u32_e32 v10, vcc, v6, v10, vcc
	global_load_dwordx2 v[9:10], v[9:10], off
	s_waitcnt vmcnt(0)
	v_subrev_co_u32_e32 v9, vcc, s30, v9
	v_subbrev_co_u32_e32 v10, vcc, 0, v10, vcc
	v_cmp_lt_i64_e32 vcc, v[14:15], v[9:10]
	v_cndmask_b32_e32 v4, v4, v7, vcc
	v_cndmask_b32_e32 v5, v5, v8, vcc
	;; [unrolled: 1-line block ×3, first 2 shown]
	v_add_co_u32_e64 v7, s[0:1], -1, v4
	v_cndmask_b32_e32 v3, v8, v3, vcc
	v_addc_co_u32_e64 v8, s[0:1], -1, v5, s[0:1]
	v_cmp_ge_i64_e32 vcc, v[2:3], v[4:5]
	v_cmp_eq_u64_e64 s[0:1], v[2:3], v[7:8]
	s_or_b64 s[0:1], vcc, s[0:1]
	s_and_b64 s[0:1], exec, s[0:1]
	s_or_b64 s[38:39], s[0:1], s[38:39]
	s_andn2_b64 exec, exec, s[38:39]
	s_cbranch_execnz .LBB104_88
; %bb.89:
	s_or_b64 exec, exec, s[38:39]
.LBB104_90:
	v_lshlrev_b64 v[6:7], 3, v[4:5]
	v_mov_b32_e32 v8, s17
	v_add_co_u32_e32 v6, vcc, s16, v6
	v_addc_co_u32_e32 v7, vcc, v8, v7, vcc
	v_lshlrev_b64 v[8:9], 2, v[14:15]
	global_load_dwordx2 v[6:7], v[6:7], off
	v_mov_b32_e32 v10, s19
	v_add_co_u32_e32 v18, vcc, s18, v8
	v_addc_co_u32_e32 v19, vcc, v10, v9, vcc
	global_load_dword v8, v[18:19], off
	s_lshl_b64 s[0:1], s[26:27], 3
	s_add_u32 s18, s16, s0
	s_addc_u32 s19, s17, s1
	s_waitcnt vmcnt(1)
	v_subrev_co_u32_e32 v6, vcc, s30, v6
	v_subbrev_co_u32_e32 v7, vcc, 0, v7, vcc
	v_cmp_lt_i64_e32 vcc, v[14:15], v[6:7]
	s_waitcnt vmcnt(0)
	v_subrev_u32_e32 v20, s30, v8
	v_cndmask_b32_e32 v3, v5, v3, vcc
	v_cndmask_b32_e32 v2, v4, v2, vcc
	v_ashrrev_i32_e32 v21, 31, v20
	v_cmp_ne_u64_e32 vcc, v[2:3], v[20:21]
	s_and_saveexec_b64 s[38:39], vcc
	s_cbranch_execz .LBB104_104
; %bb.91:
	s_load_dwordx2 s[0:1], s[18:19], 0x0
	s_waitcnt lgkmcnt(0)
	s_sub_u32 s0, s0, s30
	s_subb_u32 s1, s1, 0
	v_cmp_gt_i64_e32 vcc, s[0:1], v[14:15]
	s_and_b64 exec, exec, vcc
	s_cbranch_execz .LBB104_104
; %bb.92:
	v_cmp_gt_i64_e32 vcc, s[8:9], v[20:21]
	v_cmp_le_i64_e64 s[0:1], s[26:27], v[20:21]
	v_lshlrev_b64 v[2:3], 4, v[2:3]
	s_or_b64 s[0:1], vcc, s[0:1]
	s_and_saveexec_b64 s[40:41], s[0:1]
	s_xor_b64 s[0:1], exec, s[40:41]
	s_cbranch_execz .LBB104_98
; %bb.93:
	v_mov_b32_e32 v4, s23
	v_add_co_u32_e32 v2, vcc, s22, v2
	v_addc_co_u32_e32 v3, vcc, v4, v3, vcc
	global_load_dwordx4 v[2:5], v[2:3], off
	v_lshlrev_b64 v[6:7], 4, v[20:21]
	v_mov_b32_e32 v8, s15
	v_add_co_u32_e32 v22, vcc, s14, v6
	v_addc_co_u32_e32 v23, vcc, v8, v7, vcc
	global_load_dwordx2 v[12:13], v[22:23], off
	ds_read_b128 v[6:9], v28
	s_mov_b64 s[40:41], 0
	s_waitcnt vmcnt(1) lgkmcnt(0)
	v_mul_f64 v[10:11], v[4:5], -v[8:9]
	v_fma_f64 v[24:25], v[6:7], v[2:3], v[10:11]
.LBB104_94:                             ; =>This Inner Loop Header: Depth=1
	s_waitcnt vmcnt(0)
	v_add_f64 v[10:11], v[12:13], v[24:25]
	global_atomic_cmpswap_x2 v[10:11], v[22:23], v[10:13], off glc
	s_waitcnt vmcnt(0)
	v_cmp_eq_u64_e32 vcc, v[10:11], v[12:13]
	v_mov_b32_e32 v13, v11
	s_or_b64 s[40:41], vcc, s[40:41]
	v_mov_b32_e32 v12, v10
	s_andn2_b64 exec, exec, s[40:41]
	s_cbranch_execnz .LBB104_94
; %bb.95:
	s_or_b64 exec, exec, s[40:41]
	global_load_dwordx2 v[10:11], v[22:23], off offset:8
	v_mul_f64 v[4:5], v[4:5], v[6:7]
	s_mov_b64 s[40:41], 0
	v_fma_f64 v[2:3], v[8:9], v[2:3], v[4:5]
.LBB104_96:                             ; =>This Inner Loop Header: Depth=1
	s_waitcnt vmcnt(0)
	v_add_f64 v[8:9], v[10:11], v[2:3]
	global_atomic_cmpswap_x2 v[4:5], v[22:23], v[8:11], off offset:8 glc
	s_waitcnt vmcnt(0)
	v_cmp_eq_u64_e32 vcc, v[4:5], v[10:11]
	v_mov_b32_e32 v11, v5
	s_or_b64 s[40:41], vcc, s[40:41]
	v_mov_b32_e32 v10, v4
	s_andn2_b64 exec, exec, s[40:41]
	s_cbranch_execnz .LBB104_96
; %bb.97:
	s_or_b64 exec, exec, s[40:41]
                                        ; implicit-def: $vgpr2_vgpr3
.LBB104_98:
	s_andn2_saveexec_b64 s[0:1], s[0:1]
	s_cbranch_execz .LBB104_104
; %bb.99:
	v_mov_b32_e32 v4, s23
	v_add_co_u32_e32 v2, vcc, s22, v2
	v_addc_co_u32_e32 v3, vcc, v4, v3, vcc
	global_load_dwordx4 v[2:5], v[2:3], off
	ds_read_b128 v[6:9], v28
	v_subrev_u32_e32 v12, s8, v20
	v_mov_b32_e32 v13, 0x4000
	v_lshl_add_u32 v22, v12, 4, v13
	ds_read_b64 v[12:13], v22
	s_mov_b64 s[0:1], 0
	s_waitcnt vmcnt(0) lgkmcnt(1)
	v_mul_f64 v[10:11], v[4:5], -v[8:9]
	v_fma_f64 v[10:11], v[6:7], v[2:3], v[10:11]
.LBB104_100:                            ; =>This Inner Loop Header: Depth=1
	s_waitcnt lgkmcnt(0)
	v_add_f64 v[23:24], v[12:13], v[10:11]
	ds_cmpst_rtn_b64 v[23:24], v22, v[12:13], v[23:24]
	s_waitcnt lgkmcnt(0)
	v_cmp_eq_u64_e32 vcc, v[23:24], v[12:13]
	v_mov_b32_e32 v12, v23
	s_or_b64 s[0:1], vcc, s[0:1]
	v_mov_b32_e32 v13, v24
	s_andn2_b64 exec, exec, s[0:1]
	s_cbranch_execnz .LBB104_100
; %bb.101:
	s_or_b64 exec, exec, s[0:1]
	v_mul_f64 v[4:5], v[4:5], v[6:7]
	s_mov_b64 s[0:1], 0
	v_fma_f64 v[2:3], v[8:9], v[2:3], v[4:5]
	ds_read_b64 v[4:5], v22 offset:8
.LBB104_102:                            ; =>This Inner Loop Header: Depth=1
	s_waitcnt lgkmcnt(0)
	v_add_f64 v[6:7], v[4:5], v[2:3]
	ds_cmpst_rtn_b64 v[6:7], v22, v[4:5], v[6:7] offset:8
	s_waitcnt lgkmcnt(0)
	v_cmp_eq_u64_e32 vcc, v[6:7], v[4:5]
	v_mov_b32_e32 v4, v6
	s_or_b64 s[0:1], vcc, s[0:1]
	v_mov_b32_e32 v5, v7
	s_andn2_b64 exec, exec, s[0:1]
	s_cbranch_execnz .LBB104_102
; %bb.103:
	s_or_b64 exec, exec, s[0:1]
.LBB104_104:
	s_or_b64 exec, exec, s[38:39]
	v_lshlrev_b64 v[2:3], 4, v[20:21]
	v_mov_b32_e32 v4, s23
	v_add_co_u32_e32 v2, vcc, s22, v2
	v_addc_co_u32_e32 v3, vcc, v4, v3, vcc
	global_load_dwordx4 v[3:6], v[2:3], off
	ds_read_b128 v[7:10], v28
	v_add_co_u32_e32 v2, vcc, 0x100, v14
	s_waitcnt vmcnt(0) lgkmcnt(0)
	v_mul_f64 v[11:12], v[5:6], -v[9:10]
	v_mul_f64 v[20:21], v[5:6], v[7:8]
	v_fma_f64 v[6:7], v[7:8], v[3:4], v[11:12]
	v_fma_f64 v[8:9], v[9:10], v[3:4], v[20:21]
	v_cndmask_b32_e64 v10, 0, 1, s[2:3]
	v_mov_b32_e32 v4, s24
	v_addc_co_u32_e32 v3, vcc, 0, v15, vcc
	v_mov_b32_e32 v5, s25
	v_cmp_ne_u32_e64 s[0:1], 1, v10
	s_andn2_b64 vcc, exec, s[2:3]
	ds_write_b128 v28, v[6:9]
	v_mov_b32_e32 v6, s20
	v_mov_b32_e32 v7, s21
	s_cbranch_vccnz .LBB104_108
; %bb.105:
	v_mov_b32_e32 v4, s24
	v_mov_b32_e32 v6, s20
	s_mov_b64 s[38:39], 0
	v_mov_b32_e32 v5, s25
	v_mov_b32_e32 v7, s21
	;; [unrolled: 1-line block ×3, first 2 shown]
.LBB104_106:                            ; =>This Inner Loop Header: Depth=1
	v_add_co_u32_e32 v9, vcc, v6, v4
	v_addc_co_u32_e32 v10, vcc, v7, v5, vcc
	v_lshrrev_b32_e32 v11, 31, v10
	v_add_co_u32_e32 v9, vcc, v9, v11
	v_addc_co_u32_e32 v10, vcc, 0, v10, vcc
	v_ashrrev_i64 v[9:10], 1, v[9:10]
	v_lshlrev_b64 v[11:12], 3, v[9:10]
	v_add_co_u32_e32 v11, vcc, s16, v11
	v_addc_co_u32_e32 v12, vcc, v8, v12, vcc
	global_load_dwordx2 v[11:12], v[11:12], off
	s_waitcnt vmcnt(0)
	v_subrev_co_u32_e32 v11, vcc, s30, v11
	v_subbrev_co_u32_e32 v12, vcc, 0, v12, vcc
	v_cmp_lt_i64_e32 vcc, v[2:3], v[11:12]
	v_cndmask_b32_e32 v6, v6, v9, vcc
	v_cndmask_b32_e32 v7, v7, v10, vcc
	;; [unrolled: 1-line block ×3, first 2 shown]
	v_add_co_u32_e64 v9, s[2:3], -1, v6
	v_cndmask_b32_e32 v5, v10, v5, vcc
	v_addc_co_u32_e64 v10, s[2:3], -1, v7, s[2:3]
	v_cmp_ge_i64_e32 vcc, v[4:5], v[6:7]
	v_cmp_eq_u64_e64 s[2:3], v[4:5], v[9:10]
	s_or_b64 s[2:3], vcc, s[2:3]
	s_and_b64 s[2:3], exec, s[2:3]
	s_or_b64 s[38:39], s[2:3], s[38:39]
	s_andn2_b64 exec, exec, s[38:39]
	s_cbranch_execnz .LBB104_106
; %bb.107:
	s_or_b64 exec, exec, s[38:39]
.LBB104_108:
	v_lshlrev_b64 v[8:9], 3, v[6:7]
	v_mov_b32_e32 v10, s17
	v_add_co_u32_e32 v8, vcc, s16, v8
	v_addc_co_u32_e32 v9, vcc, v10, v9, vcc
	global_load_dwordx2 v[8:9], v[8:9], off
	s_waitcnt vmcnt(0)
	v_subrev_co_u32_e32 v8, vcc, s30, v8
	global_load_dword v11, v[18:19], off offset:1024
	v_subbrev_co_u32_e32 v9, vcc, 0, v9, vcc
	v_cmp_lt_i64_e32 vcc, v[2:3], v[8:9]
	v_cndmask_b32_e32 v5, v7, v5, vcc
	v_cndmask_b32_e32 v4, v6, v4, vcc
	s_waitcnt vmcnt(0)
	v_subrev_u32_e32 v20, s30, v11
	v_ashrrev_i32_e32 v21, 31, v20
	v_cmp_ne_u64_e32 vcc, v[4:5], v[20:21]
	s_and_saveexec_b64 s[38:39], vcc
	s_cbranch_execz .LBB104_122
; %bb.109:
	s_load_dwordx2 s[2:3], s[18:19], 0x0
	s_waitcnt lgkmcnt(0)
	s_sub_u32 s2, s2, s30
	s_subb_u32 s3, s3, 0
	v_cmp_gt_i64_e32 vcc, s[2:3], v[2:3]
	s_and_b64 exec, exec, vcc
	s_cbranch_execz .LBB104_122
; %bb.110:
	v_cmp_gt_i64_e32 vcc, s[8:9], v[20:21]
	v_cmp_le_i64_e64 s[2:3], s[26:27], v[20:21]
	v_lshlrev_b64 v[2:3], 4, v[4:5]
	s_or_b64 s[2:3], vcc, s[2:3]
	s_and_saveexec_b64 s[40:41], s[2:3]
	s_xor_b64 s[2:3], exec, s[40:41]
	s_cbranch_execz .LBB104_116
; %bb.111:
	v_mov_b32_e32 v4, s23
	v_add_co_u32_e32 v2, vcc, s22, v2
	v_addc_co_u32_e32 v3, vcc, v4, v3, vcc
	global_load_dwordx4 v[2:5], v[2:3], off
	v_lshlrev_b64 v[6:7], 4, v[20:21]
	v_mov_b32_e32 v8, s15
	v_add_co_u32_e32 v22, vcc, s14, v6
	v_addc_co_u32_e32 v23, vcc, v8, v7, vcc
	global_load_dwordx2 v[12:13], v[22:23], off
	ds_read_b128 v[6:9], v28 offset:4096
	s_mov_b64 s[40:41], 0
	s_waitcnt vmcnt(1) lgkmcnt(0)
	v_mul_f64 v[10:11], v[4:5], -v[8:9]
	v_fma_f64 v[24:25], v[6:7], v[2:3], v[10:11]
.LBB104_112:                            ; =>This Inner Loop Header: Depth=1
	s_waitcnt vmcnt(0)
	v_add_f64 v[10:11], v[12:13], v[24:25]
	global_atomic_cmpswap_x2 v[10:11], v[22:23], v[10:13], off glc
	s_waitcnt vmcnt(0)
	v_cmp_eq_u64_e32 vcc, v[10:11], v[12:13]
	v_mov_b32_e32 v13, v11
	s_or_b64 s[40:41], vcc, s[40:41]
	v_mov_b32_e32 v12, v10
	s_andn2_b64 exec, exec, s[40:41]
	s_cbranch_execnz .LBB104_112
; %bb.113:
	s_or_b64 exec, exec, s[40:41]
	global_load_dwordx2 v[10:11], v[22:23], off offset:8
	v_mul_f64 v[4:5], v[4:5], v[6:7]
	s_mov_b64 s[40:41], 0
	v_fma_f64 v[2:3], v[8:9], v[2:3], v[4:5]
.LBB104_114:                            ; =>This Inner Loop Header: Depth=1
	s_waitcnt vmcnt(0)
	v_add_f64 v[8:9], v[10:11], v[2:3]
	global_atomic_cmpswap_x2 v[4:5], v[22:23], v[8:11], off offset:8 glc
	s_waitcnt vmcnt(0)
	v_cmp_eq_u64_e32 vcc, v[4:5], v[10:11]
	v_mov_b32_e32 v11, v5
	s_or_b64 s[40:41], vcc, s[40:41]
	v_mov_b32_e32 v10, v4
	s_andn2_b64 exec, exec, s[40:41]
	s_cbranch_execnz .LBB104_114
; %bb.115:
	s_or_b64 exec, exec, s[40:41]
                                        ; implicit-def: $vgpr2_vgpr3
.LBB104_116:
	s_andn2_saveexec_b64 s[2:3], s[2:3]
	s_cbranch_execz .LBB104_122
; %bb.117:
	v_mov_b32_e32 v4, s23
	v_add_co_u32_e32 v2, vcc, s22, v2
	v_addc_co_u32_e32 v3, vcc, v4, v3, vcc
	global_load_dwordx4 v[2:5], v[2:3], off
	ds_read_b128 v[6:9], v28 offset:4096
	v_subrev_u32_e32 v12, s8, v20
	v_mov_b32_e32 v13, 0x4000
	v_lshl_add_u32 v22, v12, 4, v13
	ds_read_b64 v[12:13], v22
	s_mov_b64 s[2:3], 0
	s_waitcnt vmcnt(0) lgkmcnt(1)
	v_mul_f64 v[10:11], v[4:5], -v[8:9]
	v_fma_f64 v[10:11], v[6:7], v[2:3], v[10:11]
.LBB104_118:                            ; =>This Inner Loop Header: Depth=1
	s_waitcnt lgkmcnt(0)
	v_add_f64 v[23:24], v[12:13], v[10:11]
	ds_cmpst_rtn_b64 v[23:24], v22, v[12:13], v[23:24]
	s_waitcnt lgkmcnt(0)
	v_cmp_eq_u64_e32 vcc, v[23:24], v[12:13]
	v_mov_b32_e32 v12, v23
	s_or_b64 s[2:3], vcc, s[2:3]
	v_mov_b32_e32 v13, v24
	s_andn2_b64 exec, exec, s[2:3]
	s_cbranch_execnz .LBB104_118
; %bb.119:
	s_or_b64 exec, exec, s[2:3]
	v_mul_f64 v[4:5], v[4:5], v[6:7]
	s_mov_b64 s[2:3], 0
	v_fma_f64 v[2:3], v[8:9], v[2:3], v[4:5]
	ds_read_b64 v[4:5], v22 offset:8
.LBB104_120:                            ; =>This Inner Loop Header: Depth=1
	s_waitcnt lgkmcnt(0)
	v_add_f64 v[6:7], v[4:5], v[2:3]
	ds_cmpst_rtn_b64 v[6:7], v22, v[4:5], v[6:7] offset:8
	s_waitcnt lgkmcnt(0)
	v_cmp_eq_u64_e32 vcc, v[6:7], v[4:5]
	v_mov_b32_e32 v4, v6
	s_or_b64 s[2:3], vcc, s[2:3]
	v_mov_b32_e32 v5, v7
	s_andn2_b64 exec, exec, s[2:3]
	s_cbranch_execnz .LBB104_120
; %bb.121:
	s_or_b64 exec, exec, s[2:3]
.LBB104_122:
	s_or_b64 exec, exec, s[38:39]
	v_lshlrev_b64 v[2:3], 4, v[20:21]
	v_mov_b32_e32 v4, s23
	v_add_co_u32_e32 v2, vcc, s22, v2
	v_addc_co_u32_e32 v3, vcc, v4, v3, vcc
	global_load_dwordx4 v[2:5], v[2:3], off
	ds_read_b128 v[6:9], v28 offset:4096
	s_waitcnt vmcnt(0) lgkmcnt(0)
	v_mul_f64 v[10:11], v[4:5], -v[8:9]
	v_mul_f64 v[4:5], v[4:5], v[6:7]
	v_fma_f64 v[6:7], v[6:7], v[2:3], v[10:11]
	v_fma_f64 v[8:9], v[8:9], v[2:3], v[4:5]
	v_add_co_u32_e32 v2, vcc, 0x200, v14
	v_mov_b32_e32 v4, s24
	v_addc_co_u32_e32 v3, vcc, 0, v15, vcc
	v_mov_b32_e32 v5, s25
	s_and_b64 vcc, exec, s[0:1]
	ds_write_b128 v28, v[6:9] offset:4096
	v_mov_b32_e32 v6, s20
	v_mov_b32_e32 v7, s21
	s_cbranch_vccnz .LBB104_126
; %bb.123:
	v_mov_b32_e32 v4, s24
	v_mov_b32_e32 v6, s20
	s_mov_b64 s[38:39], 0
	v_mov_b32_e32 v5, s25
	v_mov_b32_e32 v7, s21
	v_mov_b32_e32 v8, s17
.LBB104_124:                            ; =>This Inner Loop Header: Depth=1
	v_add_co_u32_e32 v9, vcc, v6, v4
	v_addc_co_u32_e32 v10, vcc, v7, v5, vcc
	v_lshrrev_b32_e32 v11, 31, v10
	v_add_co_u32_e32 v9, vcc, v9, v11
	v_addc_co_u32_e32 v10, vcc, 0, v10, vcc
	v_ashrrev_i64 v[9:10], 1, v[9:10]
	v_lshlrev_b64 v[11:12], 3, v[9:10]
	v_add_co_u32_e32 v11, vcc, s16, v11
	v_addc_co_u32_e32 v12, vcc, v8, v12, vcc
	global_load_dwordx2 v[11:12], v[11:12], off
	s_waitcnt vmcnt(0)
	v_subrev_co_u32_e32 v11, vcc, s30, v11
	v_subbrev_co_u32_e32 v12, vcc, 0, v12, vcc
	v_cmp_lt_i64_e32 vcc, v[2:3], v[11:12]
	v_cndmask_b32_e32 v6, v6, v9, vcc
	v_cndmask_b32_e32 v7, v7, v10, vcc
	;; [unrolled: 1-line block ×3, first 2 shown]
	v_add_co_u32_e64 v9, s[2:3], -1, v6
	v_cndmask_b32_e32 v5, v10, v5, vcc
	v_addc_co_u32_e64 v10, s[2:3], -1, v7, s[2:3]
	v_cmp_ge_i64_e32 vcc, v[4:5], v[6:7]
	v_cmp_eq_u64_e64 s[2:3], v[4:5], v[9:10]
	s_or_b64 s[2:3], vcc, s[2:3]
	s_and_b64 s[2:3], exec, s[2:3]
	s_or_b64 s[38:39], s[2:3], s[38:39]
	s_andn2_b64 exec, exec, s[38:39]
	s_cbranch_execnz .LBB104_124
; %bb.125:
	s_or_b64 exec, exec, s[38:39]
.LBB104_126:
	v_lshlrev_b64 v[8:9], 3, v[6:7]
	v_mov_b32_e32 v10, s17
	v_add_co_u32_e32 v8, vcc, s16, v8
	v_addc_co_u32_e32 v9, vcc, v10, v9, vcc
	global_load_dwordx2 v[8:9], v[8:9], off
	s_waitcnt vmcnt(0)
	v_subrev_co_u32_e32 v8, vcc, s30, v8
	global_load_dword v11, v[18:19], off offset:2048
	v_subbrev_co_u32_e32 v9, vcc, 0, v9, vcc
	v_cmp_lt_i64_e32 vcc, v[2:3], v[8:9]
	v_cndmask_b32_e32 v5, v7, v5, vcc
	v_cndmask_b32_e32 v4, v6, v4, vcc
	s_waitcnt vmcnt(0)
	v_subrev_u32_e32 v14, s30, v11
	v_ashrrev_i32_e32 v15, 31, v14
	v_cmp_ne_u64_e32 vcc, v[4:5], v[14:15]
	s_and_saveexec_b64 s[38:39], vcc
	s_cbranch_execz .LBB104_140
; %bb.127:
	s_load_dwordx2 s[2:3], s[18:19], 0x0
	s_waitcnt lgkmcnt(0)
	s_sub_u32 s2, s2, s30
	s_subb_u32 s3, s3, 0
	v_cmp_gt_i64_e32 vcc, s[2:3], v[2:3]
	s_and_b64 exec, exec, vcc
	s_cbranch_execz .LBB104_140
; %bb.128:
	v_cmp_gt_i64_e32 vcc, s[8:9], v[14:15]
	v_cmp_le_i64_e64 s[2:3], s[26:27], v[14:15]
	v_lshlrev_b64 v[2:3], 4, v[4:5]
	s_or_b64 s[2:3], vcc, s[2:3]
	s_and_saveexec_b64 s[40:41], s[2:3]
	s_xor_b64 s[2:3], exec, s[40:41]
	s_cbranch_execz .LBB104_134
; %bb.129:
	v_mov_b32_e32 v4, s23
	v_add_co_u32_e32 v2, vcc, s22, v2
	v_addc_co_u32_e32 v3, vcc, v4, v3, vcc
	global_load_dwordx4 v[2:5], v[2:3], off
	v_lshlrev_b64 v[6:7], 4, v[14:15]
	v_mov_b32_e32 v8, s15
	v_add_co_u32_e32 v20, vcc, s14, v6
	v_addc_co_u32_e32 v21, vcc, v8, v7, vcc
	global_load_dwordx2 v[12:13], v[20:21], off
	ds_read_b128 v[6:9], v28 offset:8192
	s_mov_b64 s[40:41], 0
	s_waitcnt vmcnt(1) lgkmcnt(0)
	v_mul_f64 v[10:11], v[4:5], -v[8:9]
	v_fma_f64 v[22:23], v[6:7], v[2:3], v[10:11]
.LBB104_130:                            ; =>This Inner Loop Header: Depth=1
	s_waitcnt vmcnt(0)
	v_add_f64 v[10:11], v[12:13], v[22:23]
	global_atomic_cmpswap_x2 v[10:11], v[20:21], v[10:13], off glc
	s_waitcnt vmcnt(0)
	v_cmp_eq_u64_e32 vcc, v[10:11], v[12:13]
	v_mov_b32_e32 v13, v11
	s_or_b64 s[40:41], vcc, s[40:41]
	v_mov_b32_e32 v12, v10
	s_andn2_b64 exec, exec, s[40:41]
	s_cbranch_execnz .LBB104_130
; %bb.131:
	s_or_b64 exec, exec, s[40:41]
	global_load_dwordx2 v[10:11], v[20:21], off offset:8
	v_mul_f64 v[4:5], v[4:5], v[6:7]
	s_mov_b64 s[40:41], 0
	v_fma_f64 v[2:3], v[8:9], v[2:3], v[4:5]
.LBB104_132:                            ; =>This Inner Loop Header: Depth=1
	s_waitcnt vmcnt(0)
	v_add_f64 v[8:9], v[10:11], v[2:3]
	global_atomic_cmpswap_x2 v[4:5], v[20:21], v[8:11], off offset:8 glc
	s_waitcnt vmcnt(0)
	v_cmp_eq_u64_e32 vcc, v[4:5], v[10:11]
	v_mov_b32_e32 v11, v5
	s_or_b64 s[40:41], vcc, s[40:41]
	v_mov_b32_e32 v10, v4
	s_andn2_b64 exec, exec, s[40:41]
	s_cbranch_execnz .LBB104_132
; %bb.133:
	s_or_b64 exec, exec, s[40:41]
                                        ; implicit-def: $vgpr2_vgpr3
.LBB104_134:
	s_andn2_saveexec_b64 s[2:3], s[2:3]
	s_cbranch_execz .LBB104_140
; %bb.135:
	v_mov_b32_e32 v4, s23
	v_add_co_u32_e32 v2, vcc, s22, v2
	v_addc_co_u32_e32 v3, vcc, v4, v3, vcc
	global_load_dwordx4 v[2:5], v[2:3], off
	ds_read_b128 v[6:9], v28 offset:8192
	v_subrev_u32_e32 v12, s8, v14
	v_mov_b32_e32 v13, 0x4000
	v_lshl_add_u32 v20, v12, 4, v13
	ds_read_b64 v[12:13], v20
	s_mov_b64 s[2:3], 0
	s_waitcnt vmcnt(0) lgkmcnt(1)
	v_mul_f64 v[10:11], v[4:5], -v[8:9]
	v_fma_f64 v[10:11], v[6:7], v[2:3], v[10:11]
.LBB104_136:                            ; =>This Inner Loop Header: Depth=1
	s_waitcnt lgkmcnt(0)
	v_add_f64 v[21:22], v[12:13], v[10:11]
	ds_cmpst_rtn_b64 v[21:22], v20, v[12:13], v[21:22]
	s_waitcnt lgkmcnt(0)
	v_cmp_eq_u64_e32 vcc, v[21:22], v[12:13]
	v_mov_b32_e32 v12, v21
	s_or_b64 s[2:3], vcc, s[2:3]
	v_mov_b32_e32 v13, v22
	s_andn2_b64 exec, exec, s[2:3]
	s_cbranch_execnz .LBB104_136
; %bb.137:
	s_or_b64 exec, exec, s[2:3]
	v_mul_f64 v[4:5], v[4:5], v[6:7]
	s_mov_b64 s[2:3], 0
	v_fma_f64 v[2:3], v[8:9], v[2:3], v[4:5]
	ds_read_b64 v[4:5], v20 offset:8
.LBB104_138:                            ; =>This Inner Loop Header: Depth=1
	s_waitcnt lgkmcnt(0)
	v_add_f64 v[6:7], v[4:5], v[2:3]
	ds_cmpst_rtn_b64 v[6:7], v20, v[4:5], v[6:7] offset:8
	s_waitcnt lgkmcnt(0)
	v_cmp_eq_u64_e32 vcc, v[6:7], v[4:5]
	v_mov_b32_e32 v4, v6
	s_or_b64 s[2:3], vcc, s[2:3]
	v_mov_b32_e32 v5, v7
	s_andn2_b64 exec, exec, s[2:3]
	s_cbranch_execnz .LBB104_138
; %bb.139:
	s_or_b64 exec, exec, s[2:3]
.LBB104_140:
	s_or_b64 exec, exec, s[38:39]
	v_lshlrev_b64 v[2:3], 4, v[14:15]
	v_mov_b32_e32 v4, s23
	v_add_co_u32_e32 v2, vcc, s22, v2
	v_addc_co_u32_e32 v3, vcc, v4, v3, vcc
	global_load_dwordx4 v[2:5], v[2:3], off
	ds_read_b128 v[6:9], v28 offset:8192
	s_and_b64 vcc, exec, s[0:1]
	s_waitcnt vmcnt(0) lgkmcnt(0)
	v_mul_f64 v[10:11], v[4:5], -v[8:9]
	v_mul_f64 v[12:13], v[4:5], v[6:7]
	v_fma_f64 v[4:5], v[6:7], v[2:3], v[10:11]
	v_fma_f64 v[6:7], v[8:9], v[2:3], v[12:13]
	v_mov_b32_e32 v2, s24
	v_mov_b32_e32 v3, s25
	ds_write_b128 v28, v[4:7] offset:8192
	v_mov_b32_e32 v4, s20
	v_mov_b32_e32 v5, s21
	s_cbranch_vccnz .LBB104_144
; %bb.141:
	v_mov_b32_e32 v2, s24
	v_mov_b32_e32 v4, s20
	s_mov_b64 s[2:3], 0
	v_mov_b32_e32 v3, s25
	v_mov_b32_e32 v5, s21
	;; [unrolled: 1-line block ×3, first 2 shown]
.LBB104_142:                            ; =>This Inner Loop Header: Depth=1
	v_add_co_u32_e32 v7, vcc, v4, v2
	v_addc_co_u32_e32 v8, vcc, v5, v3, vcc
	v_lshrrev_b32_e32 v9, 31, v8
	v_add_co_u32_e32 v7, vcc, v7, v9
	v_addc_co_u32_e32 v8, vcc, 0, v8, vcc
	v_ashrrev_i64 v[7:8], 1, v[7:8]
	v_lshlrev_b64 v[9:10], 3, v[7:8]
	v_add_co_u32_e32 v9, vcc, s16, v9
	v_addc_co_u32_e32 v10, vcc, v6, v10, vcc
	global_load_dwordx2 v[9:10], v[9:10], off
	s_waitcnt vmcnt(0)
	v_subrev_co_u32_e32 v9, vcc, s30, v9
	v_subbrev_co_u32_e32 v10, vcc, 0, v10, vcc
	v_cmp_lt_i64_e32 vcc, v[16:17], v[9:10]
	v_cndmask_b32_e32 v4, v4, v7, vcc
	v_cndmask_b32_e32 v5, v5, v8, vcc
	;; [unrolled: 1-line block ×3, first 2 shown]
	v_add_co_u32_e64 v7, s[0:1], -1, v4
	v_cndmask_b32_e32 v3, v8, v3, vcc
	v_addc_co_u32_e64 v8, s[0:1], -1, v5, s[0:1]
	v_cmp_ge_i64_e32 vcc, v[2:3], v[4:5]
	v_cmp_eq_u64_e64 s[0:1], v[2:3], v[7:8]
	s_or_b64 s[0:1], vcc, s[0:1]
	s_and_b64 s[0:1], exec, s[0:1]
	s_or_b64 s[2:3], s[0:1], s[2:3]
	s_andn2_b64 exec, exec, s[2:3]
	s_cbranch_execnz .LBB104_142
; %bb.143:
	s_or_b64 exec, exec, s[2:3]
.LBB104_144:
	v_lshlrev_b64 v[6:7], 3, v[4:5]
	v_mov_b32_e32 v8, s17
	v_add_co_u32_e32 v6, vcc, s16, v6
	v_addc_co_u32_e32 v7, vcc, v8, v7, vcc
	global_load_dwordx2 v[6:7], v[6:7], off
	s_waitcnt vmcnt(0)
	v_subrev_co_u32_e32 v6, vcc, s30, v6
	global_load_dword v9, v[18:19], off offset:3072
	v_subbrev_co_u32_e32 v7, vcc, 0, v7, vcc
	v_cmp_lt_i64_e32 vcc, v[16:17], v[6:7]
	v_cndmask_b32_e32 v3, v5, v3, vcc
	v_cndmask_b32_e32 v2, v4, v2, vcc
	s_waitcnt vmcnt(0)
	v_subrev_u32_e32 v14, s30, v9
	v_ashrrev_i32_e32 v15, 31, v14
	v_cmp_ne_u64_e32 vcc, v[2:3], v[14:15]
	s_and_saveexec_b64 s[2:3], vcc
	s_cbranch_execz .LBB104_158
; %bb.145:
	s_load_dwordx2 s[0:1], s[18:19], 0x0
	s_waitcnt lgkmcnt(0)
	s_sub_u32 s0, s0, s30
	s_subb_u32 s1, s1, 0
	v_cmp_gt_i64_e32 vcc, s[0:1], v[16:17]
	s_and_b64 exec, exec, vcc
	s_cbranch_execz .LBB104_158
; %bb.146:
	v_cmp_gt_i64_e32 vcc, s[8:9], v[14:15]
	v_cmp_le_i64_e64 s[0:1], s[26:27], v[14:15]
	v_lshlrev_b64 v[2:3], 4, v[2:3]
	s_or_b64 s[0:1], vcc, s[0:1]
	s_and_saveexec_b64 s[18:19], s[0:1]
	s_xor_b64 s[0:1], exec, s[18:19]
	s_cbranch_execz .LBB104_152
; %bb.147:
	v_mov_b32_e32 v4, s23
	v_add_co_u32_e32 v2, vcc, s22, v2
	v_addc_co_u32_e32 v3, vcc, v4, v3, vcc
	global_load_dwordx4 v[2:5], v[2:3], off
	v_lshlrev_b64 v[6:7], 4, v[14:15]
	v_mov_b32_e32 v8, s15
	v_add_co_u32_e32 v16, vcc, s14, v6
	v_addc_co_u32_e32 v17, vcc, v8, v7, vcc
	global_load_dwordx2 v[12:13], v[16:17], off
	ds_read_b128 v[6:9], v28 offset:12288
	s_mov_b64 s[18:19], 0
	s_waitcnt vmcnt(1) lgkmcnt(0)
	v_mul_f64 v[10:11], v[4:5], -v[8:9]
	v_fma_f64 v[18:19], v[6:7], v[2:3], v[10:11]
.LBB104_148:                            ; =>This Inner Loop Header: Depth=1
	s_waitcnt vmcnt(0)
	v_add_f64 v[10:11], v[12:13], v[18:19]
	global_atomic_cmpswap_x2 v[10:11], v[16:17], v[10:13], off glc
	s_waitcnt vmcnt(0)
	v_cmp_eq_u64_e32 vcc, v[10:11], v[12:13]
	v_mov_b32_e32 v13, v11
	s_or_b64 s[18:19], vcc, s[18:19]
	v_mov_b32_e32 v12, v10
	s_andn2_b64 exec, exec, s[18:19]
	s_cbranch_execnz .LBB104_148
; %bb.149:
	s_or_b64 exec, exec, s[18:19]
	global_load_dwordx2 v[10:11], v[16:17], off offset:8
	v_mul_f64 v[4:5], v[4:5], v[6:7]
	s_mov_b64 s[18:19], 0
	v_fma_f64 v[2:3], v[8:9], v[2:3], v[4:5]
.LBB104_150:                            ; =>This Inner Loop Header: Depth=1
	s_waitcnt vmcnt(0)
	v_add_f64 v[8:9], v[10:11], v[2:3]
	global_atomic_cmpswap_x2 v[4:5], v[16:17], v[8:11], off offset:8 glc
	s_waitcnt vmcnt(0)
	v_cmp_eq_u64_e32 vcc, v[4:5], v[10:11]
	v_mov_b32_e32 v11, v5
	s_or_b64 s[18:19], vcc, s[18:19]
	v_mov_b32_e32 v10, v4
	s_andn2_b64 exec, exec, s[18:19]
	s_cbranch_execnz .LBB104_150
; %bb.151:
	s_or_b64 exec, exec, s[18:19]
                                        ; implicit-def: $vgpr2_vgpr3
.LBB104_152:
	s_andn2_saveexec_b64 s[0:1], s[0:1]
	s_cbranch_execz .LBB104_158
; %bb.153:
	v_mov_b32_e32 v4, s23
	v_add_co_u32_e32 v2, vcc, s22, v2
	v_addc_co_u32_e32 v3, vcc, v4, v3, vcc
	global_load_dwordx4 v[2:5], v[2:3], off
	ds_read_b128 v[6:9], v28 offset:12288
	v_subrev_u32_e32 v12, s8, v14
	v_mov_b32_e32 v13, 0x4000
	v_lshl_add_u32 v16, v12, 4, v13
	ds_read_b64 v[12:13], v16
	s_mov_b64 s[0:1], 0
	s_waitcnt vmcnt(0) lgkmcnt(1)
	v_mul_f64 v[10:11], v[4:5], -v[8:9]
	v_fma_f64 v[10:11], v[6:7], v[2:3], v[10:11]
.LBB104_154:                            ; =>This Inner Loop Header: Depth=1
	s_waitcnt lgkmcnt(0)
	v_add_f64 v[17:18], v[12:13], v[10:11]
	ds_cmpst_rtn_b64 v[17:18], v16, v[12:13], v[17:18]
	s_waitcnt lgkmcnt(0)
	v_cmp_eq_u64_e32 vcc, v[17:18], v[12:13]
	v_mov_b32_e32 v12, v17
	s_or_b64 s[0:1], vcc, s[0:1]
	v_mov_b32_e32 v13, v18
	s_andn2_b64 exec, exec, s[0:1]
	s_cbranch_execnz .LBB104_154
; %bb.155:
	s_or_b64 exec, exec, s[0:1]
	v_mul_f64 v[4:5], v[4:5], v[6:7]
	s_mov_b64 s[0:1], 0
	v_fma_f64 v[2:3], v[8:9], v[2:3], v[4:5]
	ds_read_b64 v[4:5], v16 offset:8
.LBB104_156:                            ; =>This Inner Loop Header: Depth=1
	s_waitcnt lgkmcnt(0)
	v_add_f64 v[6:7], v[4:5], v[2:3]
	ds_cmpst_rtn_b64 v[6:7], v16, v[4:5], v[6:7] offset:8
	s_waitcnt lgkmcnt(0)
	v_cmp_eq_u64_e32 vcc, v[6:7], v[4:5]
	v_mov_b32_e32 v4, v6
	s_or_b64 s[0:1], vcc, s[0:1]
	v_mov_b32_e32 v5, v7
	s_andn2_b64 exec, exec, s[0:1]
	s_cbranch_execnz .LBB104_156
; %bb.157:
	s_or_b64 exec, exec, s[0:1]
.LBB104_158:
	s_or_b64 exec, exec, s[2:3]
	v_lshlrev_b64 v[2:3], 4, v[14:15]
	v_mov_b32_e32 v4, s23
	v_add_co_u32_e32 v2, vcc, s22, v2
	v_addc_co_u32_e32 v3, vcc, v4, v3, vcc
	global_load_dwordx4 v[2:5], v[2:3], off
	ds_read_b128 v[6:9], v28 offset:12288
	s_waitcnt vmcnt(0) lgkmcnt(0)
	v_mul_f64 v[10:11], v[4:5], -v[8:9]
	v_mul_f64 v[12:13], v[4:5], v[6:7]
	v_fma_f64 v[4:5], v[6:7], v[2:3], v[10:11]
	v_fma_f64 v[6:7], v[8:9], v[2:3], v[12:13]
	ds_write_b128 v28, v[4:7] offset:12288
.LBB104_159:
	s_or_b64 exec, exec, s[4:5]
	v_mov_b32_e32 v2, s10
	v_mov_b32_e32 v3, s11
	v_cmp_lt_i64_e32 vcc, s[26:27], v[2:3]
	s_waitcnt lgkmcnt(0)
	s_and_b64 s[0:1], vcc, exec
	s_cselect_b32 s10, s26, s10
	s_cselect_b32 s0, s27, s11
	s_sub_u32 s2, s10, s28
	s_subb_u32 s3, s0, s29
	v_cmp_gt_i64_e32 vcc, s[2:3], v[0:1]
	s_barrier
	s_and_saveexec_b64 s[0:1], vcc
	s_cbranch_execz .LBB104_166
; %bb.160:
	s_lshl_b64 s[4:5], s[8:9], 4
	s_add_u32 s11, s14, s4
	s_addc_u32 s8, s15, s5
	v_mov_b32_e32 v11, v1
	s_mov_b64 s[4:5], 0
	v_mov_b32_e32 v14, s8
	v_mov_b32_e32 v15, 0x4000
	;; [unrolled: 1-line block ×3, first 2 shown]
.LBB104_161:                            ; =>This Loop Header: Depth=1
                                        ;     Child Loop BB104_162 Depth 2
                                        ;     Child Loop BB104_164 Depth 2
	v_lshlrev_b64 v[2:3], 4, v[10:11]
	s_mov_b64 s[8:9], 0
	v_add_co_u32_e32 v12, vcc, s11, v2
	v_addc_co_u32_e32 v13, vcc, v14, v3, vcc
	global_load_dwordx2 v[8:9], v[12:13], off
	v_lshl_add_u32 v2, v10, 4, v15
	ds_read2_b64 v[2:5], v2 offset1:1
.LBB104_162:                            ;   Parent Loop BB104_161 Depth=1
                                        ; =>  This Inner Loop Header: Depth=2
	s_waitcnt vmcnt(0) lgkmcnt(0)
	v_add_f64 v[6:7], v[8:9], v[2:3]
	global_atomic_cmpswap_x2 v[6:7], v[12:13], v[6:9], off glc
	s_waitcnt vmcnt(0)
	v_cmp_eq_u64_e32 vcc, v[6:7], v[8:9]
	v_mov_b32_e32 v9, v7
	s_or_b64 s[8:9], vcc, s[8:9]
	v_mov_b32_e32 v8, v6
	s_andn2_b64 exec, exec, s[8:9]
	s_cbranch_execnz .LBB104_162
; %bb.163:                              ;   in Loop: Header=BB104_161 Depth=1
	s_or_b64 exec, exec, s[8:9]
	global_load_dwordx2 v[8:9], v[12:13], off offset:8
	s_mov_b64 s[8:9], 0
.LBB104_164:                            ;   Parent Loop BB104_161 Depth=1
                                        ; =>  This Inner Loop Header: Depth=2
	s_waitcnt vmcnt(0)
	v_add_f64 v[6:7], v[8:9], v[4:5]
	global_atomic_cmpswap_x2 v[2:3], v[12:13], v[6:9], off offset:8 glc
	s_waitcnt vmcnt(0)
	v_cmp_eq_u64_e32 vcc, v[2:3], v[8:9]
	v_mov_b32_e32 v9, v3
	s_or_b64 s[8:9], vcc, s[8:9]
	v_mov_b32_e32 v8, v2
	s_andn2_b64 exec, exec, s[8:9]
	s_cbranch_execnz .LBB104_164
; %bb.165:                              ;   in Loop: Header=BB104_161 Depth=1
	s_or_b64 exec, exec, s[8:9]
	v_add_co_u32_e32 v10, vcc, 0x100, v10
	v_addc_co_u32_e32 v11, vcc, 0, v11, vcc
	v_cmp_le_i64_e32 vcc, s[2:3], v[10:11]
	s_or_b64 s[4:5], vcc, s[4:5]
	s_andn2_b64 exec, exec, s[4:5]
	s_cbranch_execnz .LBB104_161
.LBB104_166:
	s_or_b64 exec, exec, s[0:1]
	s_add_i32 s0, s36, -1
	s_ashr_i32 s1, s0, 1
	s_or_b32 s0, s1, s0
	s_ashr_i32 s1, s0, 2
	s_or_b32 s0, s1, s0
	s_ashr_i32 s1, s0, 4
	s_or_b32 s0, s1, s0
	s_ashr_i32 s1, s0, 8
	s_or_b32 s0, s1, s0
	s_ashr_i32 s1, s0, 16
	s_or_b32 s0, s1, s0
	s_add_i32 s0, s0, 1
	s_ashr_i32 s3, s0, 1
	v_mov_b32_e32 v2, s25
	v_add_co_u32_e32 v10, vcc, s24, v0
	v_addc_co_u32_e32 v11, vcc, 0, v2, vcc
	s_cmp_gt_i32 s3, 1
	s_mov_b64 s[0:1], -1
	s_barrier
	s_cbranch_scc1 .LBB104_179
; %bb.167:
	v_cmp_gt_i64_e32 vcc, s[26:27], v[10:11]
	s_and_saveexec_b64 s[0:1], vcc
	s_cbranch_execz .LBB104_178
; %bb.168:
	s_sub_i32 s4, s10, s26
	s_lshl_b32 s4, s4, 4
	s_add_i32 s13, s4, 0x4000
	s_lshl_b32 s4, s6, 4
	v_mov_b32_e32 v13, v11
	s_sub_i32 s18, 0, s4
	s_mov_b64 s[4:5], 0
	v_mov_b32_e32 v18, s17
	v_mov_b32_e32 v19, s15
	v_mov_b32_e32 v12, v10
.LBB104_169:                            ; =>This Loop Header: Depth=1
                                        ;     Child Loop BB104_171 Depth 2
                                        ;     Child Loop BB104_174 Depth 2
	;; [unrolled: 1-line block ×3, first 2 shown]
	v_lshlrev_b64 v[2:3], 3, v[12:13]
	v_mov_b32_e32 v14, 0
	v_add_co_u32_e32 v2, vcc, s16, v2
	v_addc_co_u32_e32 v3, vcc, v18, v3, vcc
	global_load_dwordx4 v[2:5], v[2:3], off
	v_mov_b32_e32 v6, 0
	v_mov_b32_e32 v15, 0
	;; [unrolled: 1-line block ×3, first 2 shown]
	s_waitcnt vmcnt(0)
	v_cmp_lt_i64_e32 vcc, v[2:3], v[4:5]
	s_and_saveexec_b64 s[8:9], vcc
	s_cbranch_execz .LBB104_173
; %bb.170:                              ;   in Loop: Header=BB104_169 Depth=1
	v_mov_b32_e32 v6, s7
	v_subrev_co_u32_e32 v4, vcc, s6, v4
	v_subb_co_u32_e32 v5, vcc, v5, v6, vcc
	v_subrev_co_u32_e32 v8, vcc, s6, v2
	v_subb_co_u32_e32 v9, vcc, v3, v6, vcc
	v_mov_b32_e32 v14, 0
	v_mov_b32_e32 v6, 0
	v_lshl_add_u32 v2, v2, 4, s18
	v_mov_b32_e32 v15, 0
	v_mov_b32_e32 v7, 0
	s_mov_b64 s[10:11], 0
.LBB104_171:                            ;   Parent Loop BB104_169 Depth=1
                                        ; =>  This Inner Loop Header: Depth=2
	ds_read_b128 v[20:23], v2
	v_add_co_u32_e32 v8, vcc, 1, v8
	v_addc_co_u32_e32 v9, vcc, 0, v9, vcc
	s_waitcnt lgkmcnt(0)
	v_add_f64 v[6:7], v[6:7], v[20:21]
	v_add_f64 v[14:15], v[14:15], v[22:23]
	v_cmp_ge_i64_e32 vcc, v[8:9], v[4:5]
	v_add_u32_e32 v2, 16, v2
	s_or_b64 s[10:11], vcc, s[10:11]
	s_andn2_b64 exec, exec, s[10:11]
	s_cbranch_execnz .LBB104_171
; %bb.172:                              ;   in Loop: Header=BB104_169 Depth=1
	s_or_b64 exec, exec, s[10:11]
.LBB104_173:                            ;   in Loop: Header=BB104_169 Depth=1
	s_or_b64 exec, exec, s[8:9]
	v_lshlrev_b64 v[2:3], 4, v[12:13]
	s_mov_b64 s[8:9], 0
	v_add_co_u32_e32 v16, vcc, s14, v2
	v_addc_co_u32_e32 v17, vcc, v19, v3, vcc
	global_load_dwordx2 v[8:9], v[16:17], off
	v_lshl_add_u32 v2, v12, 4, s13
	ds_read2_b64 v[2:5], v2 offset1:1
	s_waitcnt lgkmcnt(0)
	v_add_f64 v[2:3], v[6:7], v[2:3]
.LBB104_174:                            ;   Parent Loop BB104_169 Depth=1
                                        ; =>  This Inner Loop Header: Depth=2
	s_waitcnt vmcnt(0)
	v_add_f64 v[6:7], v[8:9], v[2:3]
	global_atomic_cmpswap_x2 v[6:7], v[16:17], v[6:9], off glc
	s_waitcnt vmcnt(0)
	v_cmp_eq_u64_e32 vcc, v[6:7], v[8:9]
	v_mov_b32_e32 v9, v7
	s_or_b64 s[8:9], vcc, s[8:9]
	v_mov_b32_e32 v8, v6
	s_andn2_b64 exec, exec, s[8:9]
	s_cbranch_execnz .LBB104_174
; %bb.175:                              ;   in Loop: Header=BB104_169 Depth=1
	s_or_b64 exec, exec, s[8:9]
	global_load_dwordx2 v[6:7], v[16:17], off offset:8
	v_add_f64 v[2:3], v[14:15], v[4:5]
	s_mov_b64 s[8:9], 0
.LBB104_176:                            ;   Parent Loop BB104_169 Depth=1
                                        ; =>  This Inner Loop Header: Depth=2
	s_waitcnt vmcnt(0)
	v_add_f64 v[4:5], v[6:7], v[2:3]
	global_atomic_cmpswap_x2 v[4:5], v[16:17], v[4:7], off offset:8 glc
	s_waitcnt vmcnt(0)
	v_cmp_eq_u64_e32 vcc, v[4:5], v[6:7]
	v_mov_b32_e32 v7, v5
	s_or_b64 s[8:9], vcc, s[8:9]
	v_mov_b32_e32 v6, v4
	s_andn2_b64 exec, exec, s[8:9]
	s_cbranch_execnz .LBB104_176
; %bb.177:                              ;   in Loop: Header=BB104_169 Depth=1
	s_or_b64 exec, exec, s[8:9]
	v_add_co_u32_e32 v12, vcc, s12, v12
	v_addc_co_u32_e32 v13, vcc, 0, v13, vcc
	v_cmp_le_i64_e32 vcc, s[26:27], v[12:13]
	s_or_b64 s[4:5], vcc, s[4:5]
	s_andn2_b64 exec, exec, s[4:5]
	s_cbranch_execnz .LBB104_169
.LBB104_178:
	s_or_b64 exec, exec, s[0:1]
	s_mov_b64 s[0:1], 0
.LBB104_179:
	s_andn2_b64 vcc, exec, s[0:1]
	s_cbranch_vccnz .LBB104_199
; %bb.180:
	v_cvt_f32_u32_e32 v2, s3
	s_sub_i32 s8, 0, s3
	v_mov_b32_e32 v6, s35
	v_rcp_iflag_f32_e32 v2, v2
	v_mul_f32_e32 v2, 0x4f7ffffe, v2
	v_cvt_u32_f32_e32 v2, v2
	v_mul_lo_u32 v3, s8, v2
	v_mul_hi_u32 v3, v2, v3
	v_add_u32_e32 v2, v2, v3
	v_mul_hi_u32 v2, v0, v2
	v_mov_b32_e32 v3, 0
	v_mul_lo_u32 v4, v2, s3
	v_add_u32_e32 v5, 1, v2
	v_sub_u32_e32 v4, v0, v4
	v_cmp_le_u32_e32 vcc, s3, v4
	v_cndmask_b32_e32 v2, v2, v5, vcc
	v_subrev_u32_e32 v5, s3, v4
	v_cndmask_b32_e32 v4, v4, v5, vcc
	v_add_u32_e32 v5, 1, v2
	v_cmp_le_u32_e32 vcc, s3, v4
	v_cndmask_b32_e32 v2, v2, v5, vcc
	v_lshlrev_b64 v[4:5], 3, v[2:3]
	v_add_co_u32_e32 v4, vcc, s34, v4
	v_addc_co_u32_e32 v5, vcc, v6, v5, vcc
	global_load_dwordx4 v[6:9], v[4:5], off
	v_mov_b32_e32 v4, s7
	v_mov_b32_e32 v5, s7
	s_waitcnt vmcnt(0)
	v_subrev_co_u32_e32 v6, vcc, s6, v6
	v_subb_co_u32_e32 v7, vcc, v7, v4, vcc
	v_subrev_co_u32_e32 v15, vcc, s6, v8
	v_subb_co_u32_e32 v16, vcc, v9, v5, vcc
	v_sub_co_u32_e32 v12, vcc, v15, v6
	v_subb_co_u32_e32 v5, vcc, v16, v7, vcc
	v_mov_b32_e32 v4, v3
	v_cmp_ne_u64_e32 vcc, 0, v[4:5]
                                        ; implicit-def: $vgpr8_vgpr9
	s_and_saveexec_b64 s[0:1], vcc
	s_xor_b64 s[4:5], exec, s[0:1]
	s_cbranch_execz .LBB104_182
; %bb.181:
	s_add_u32 s0, s3, 0
	s_addc_u32 s1, 0, 0
	s_xor_b64 s[6:7], s[0:1], 0
	v_cvt_f32_u32_e32 v4, s6
	v_cvt_f32_u32_e32 v8, s7
	s_sub_u32 s9, 0, s6
	s_subb_u32 s10, 0, s7
	v_ashrrev_i32_e32 v13, 31, v5
	v_madmk_f32 v4, v8, 0x4f800000, v4
	v_rcp_f32_e32 v4, v4
	v_mul_f32_e32 v4, 0x5f7ffffc, v4
	v_mul_f32_e32 v8, 0x2f800000, v4
	v_trunc_f32_e32 v8, v8
	v_madmk_f32 v4, v8, 0xcf800000, v4
	v_cvt_u32_f32_e32 v8, v8
	v_cvt_u32_f32_e32 v4, v4
	v_readfirstlane_b32 s11, v8
	v_readfirstlane_b32 s0, v4
	s_mul_i32 s1, s9, s11
	s_mul_hi_u32 s13, s9, s0
	s_mul_i32 s12, s10, s0
	s_add_i32 s1, s13, s1
	s_mul_i32 s16, s9, s0
	s_add_i32 s1, s1, s12
	s_mul_i32 s13, s0, s1
	s_mul_hi_u32 s17, s0, s16
	s_mul_hi_u32 s12, s0, s1
	s_add_u32 s13, s17, s13
	s_addc_u32 s12, 0, s12
	s_mul_hi_u32 s18, s11, s16
	s_mul_i32 s16, s11, s16
	s_add_u32 s13, s13, s16
	s_mul_hi_u32 s17, s11, s1
	s_addc_u32 s12, s12, s18
	s_addc_u32 s13, s17, 0
	s_mul_i32 s1, s11, s1
	s_add_u32 s1, s12, s1
	s_addc_u32 s12, 0, s13
	s_add_u32 s13, s0, s1
	s_cselect_b64 s[0:1], -1, 0
	s_cmp_lg_u64 s[0:1], 0
	s_addc_u32 s11, s11, s12
	s_mul_i32 s0, s9, s11
	s_mul_hi_u32 s1, s9, s13
	s_add_i32 s0, s1, s0
	s_mul_i32 s10, s10, s13
	s_add_i32 s0, s0, s10
	s_mul_i32 s9, s9, s13
	s_mul_hi_u32 s10, s11, s9
	s_mul_i32 s12, s11, s9
	s_mul_i32 s17, s13, s0
	s_mul_hi_u32 s9, s13, s9
	s_mul_hi_u32 s16, s13, s0
	s_add_u32 s9, s9, s17
	s_addc_u32 s16, 0, s16
	s_add_u32 s9, s9, s12
	s_mul_hi_u32 s1, s11, s0
	s_addc_u32 s9, s16, s10
	s_addc_u32 s1, s1, 0
	s_mul_i32 s0, s11, s0
	s_add_u32 s0, s9, s0
	s_addc_u32 s9, 0, s1
	s_add_u32 s10, s13, s0
	s_cselect_b64 s[0:1], -1, 0
	s_cmp_lg_u64 s[0:1], 0
	v_add_co_u32_e32 v4, vcc, v12, v13
	s_addc_u32 s9, s11, s9
	v_xor_b32_e32 v12, v4, v13
	v_addc_co_u32_e32 v8, vcc, v5, v13, vcc
	v_mad_u64_u32 v[4:5], s[0:1], v12, s9, 0
	v_mul_hi_u32 v9, v12, s10
	v_xor_b32_e32 v14, v8, v13
	v_add_co_u32_e32 v17, vcc, v9, v4
	v_addc_co_u32_e32 v18, vcc, 0, v5, vcc
	v_mad_u64_u32 v[4:5], s[0:1], v14, s10, 0
	v_mad_u64_u32 v[8:9], s[0:1], v14, s9, 0
	v_add_co_u32_e32 v4, vcc, v17, v4
	v_addc_co_u32_e32 v4, vcc, v18, v5, vcc
	v_addc_co_u32_e32 v5, vcc, 0, v9, vcc
	v_add_co_u32_e32 v8, vcc, v4, v8
	v_addc_co_u32_e32 v9, vcc, 0, v5, vcc
	v_mul_lo_u32 v17, s7, v8
	v_mul_lo_u32 v18, s6, v9
	v_mad_u64_u32 v[4:5], s[0:1], s6, v8, 0
	v_add3_u32 v5, v5, v18, v17
	v_sub_u32_e32 v17, v14, v5
	v_mov_b32_e32 v18, s7
	v_sub_co_u32_e32 v4, vcc, v12, v4
	v_subb_co_u32_e64 v12, s[0:1], v17, v18, vcc
	v_subrev_co_u32_e64 v17, s[0:1], s6, v4
	v_subbrev_co_u32_e64 v12, s[0:1], 0, v12, s[0:1]
	v_cmp_le_u32_e64 s[0:1], s7, v12
	v_cndmask_b32_e64 v18, 0, -1, s[0:1]
	v_cmp_le_u32_e64 s[0:1], s6, v17
	v_cndmask_b32_e64 v17, 0, -1, s[0:1]
	v_cmp_eq_u32_e64 s[0:1], s7, v12
	v_cndmask_b32_e64 v12, v18, v17, s[0:1]
	v_add_co_u32_e64 v17, s[0:1], 2, v8
	v_subb_co_u32_e32 v5, vcc, v14, v5, vcc
	v_addc_co_u32_e64 v18, s[0:1], 0, v9, s[0:1]
	v_cmp_le_u32_e32 vcc, s7, v5
	v_add_co_u32_e64 v19, s[0:1], 1, v8
	v_cndmask_b32_e64 v14, 0, -1, vcc
	v_cmp_le_u32_e32 vcc, s6, v4
	v_addc_co_u32_e64 v20, s[0:1], 0, v9, s[0:1]
	v_cndmask_b32_e64 v4, 0, -1, vcc
	v_cmp_eq_u32_e32 vcc, s7, v5
	v_cmp_ne_u32_e64 s[0:1], 0, v12
	v_cndmask_b32_e32 v4, v14, v4, vcc
	v_cmp_ne_u32_e32 vcc, 0, v4
	v_cndmask_b32_e64 v5, v19, v17, s[0:1]
	v_cndmask_b32_e64 v12, v20, v18, s[0:1]
	v_cndmask_b32_e32 v5, v8, v5, vcc
	v_cndmask_b32_e32 v4, v9, v12, vcc
	v_xor_b32_e32 v5, v5, v13
	v_xor_b32_e32 v4, v4, v13
	v_sub_co_u32_e32 v8, vcc, v5, v13
	v_subb_co_u32_e32 v9, vcc, v4, v13, vcc
                                        ; implicit-def: $vgpr12
.LBB104_182:
	s_andn2_saveexec_b64 s[0:1], s[4:5]
	s_cbranch_execz .LBB104_184
; %bb.183:
	v_cvt_f32_u32_e32 v4, s3
	v_rcp_iflag_f32_e32 v4, v4
	v_mul_f32_e32 v4, 0x4f7ffffe, v4
	v_cvt_u32_f32_e32 v4, v4
	v_mul_lo_u32 v5, s8, v4
	v_mul_hi_u32 v5, v4, v5
	v_add_u32_e32 v4, v4, v5
	v_mul_hi_u32 v4, v12, v4
	v_mul_lo_u32 v5, v4, s3
	v_add_u32_e32 v8, 1, v4
	v_sub_u32_e32 v5, v12, v5
	v_subrev_u32_e32 v9, s3, v5
	v_cmp_le_u32_e32 vcc, s3, v5
	v_cndmask_b32_e32 v5, v5, v9, vcc
	v_cndmask_b32_e32 v4, v4, v8, vcc
	v_add_u32_e32 v8, 1, v4
	v_cmp_le_u32_e32 vcc, s3, v5
	v_cndmask_b32_e32 v8, v4, v8, vcc
	v_mov_b32_e32 v9, 0
.LBB104_184:
	s_or_b64 exec, exec, s[0:1]
	v_cmp_gt_i64_e32 vcc, s[28:29], v[2:3]
	v_mov_b32_e32 v4, 0
	v_mov_b32_e32 v2, 0
	;; [unrolled: 1-line block ×4, first 2 shown]
	s_and_saveexec_b64 s[0:1], vcc
	s_cbranch_execz .LBB104_192
; %bb.185:
	s_add_i32 s4, s3, -1
	v_and_b32_e32 v12, s4, v0
	v_cmp_lt_i64_e32 vcc, 0, v[8:9]
	v_mov_b32_e32 v4, 0
	v_mov_b32_e32 v2, 0
	s_mov_b64 s[4:5], 0
	v_mov_b32_e32 v5, 0
	v_mov_b32_e32 v3, 0
	v_lshlrev_b32_e32 v17, 4, v12
	s_and_saveexec_b64 s[6:7], vcc
	s_cbranch_execz .LBB104_189
; %bb.186:
	v_mov_b32_e32 v4, 0
	v_mov_b32_e32 v5, 0
	;; [unrolled: 1-line block ×4, first 2 shown]
	v_lshl_add_u32 v18, v6, 4, v17
	s_lshl_b32 s8, s3, 4
	v_mov_b32_e32 v13, v8
	v_mov_b32_e32 v3, v5
.LBB104_187:                            ; =>This Inner Loop Header: Depth=1
	ds_read_b128 v[19:22], v18
	v_add_co_u32_e32 v13, vcc, -1, v13
	v_addc_co_u32_e32 v14, vcc, -1, v14, vcc
	s_waitcnt lgkmcnt(0)
	v_add_f64 v[2:3], v[2:3], v[19:20]
	v_add_f64 v[4:5], v[4:5], v[21:22]
	v_cmp_eq_u64_e32 vcc, 0, v[13:14]
	v_add_u32_e32 v18, s8, v18
	s_or_b64 s[4:5], vcc, s[4:5]
	s_andn2_b64 exec, exec, s[4:5]
	s_cbranch_execnz .LBB104_187
; %bb.188:
	s_or_b64 exec, exec, s[4:5]
.LBB104_189:
	s_or_b64 exec, exec, s[6:7]
	v_mad_u64_u32 v[6:7], s[4:5], v8, s3, v[6:7]
	v_mov_b32_e32 v13, 0
	v_mad_u64_u32 v[7:8], s[4:5], v9, s3, v[7:8]
	v_sub_co_u32_e32 v8, vcc, v15, v6
	v_subb_co_u32_e32 v9, vcc, v16, v7, vcc
	v_cmp_gt_i64_e32 vcc, v[8:9], v[12:13]
	s_and_saveexec_b64 s[4:5], vcc
	s_cbranch_execz .LBB104_191
; %bb.190:
	v_lshl_add_u32 v6, v6, 4, v17
	ds_read_b128 v[6:9], v6
	s_waitcnt lgkmcnt(0)
	v_add_f64 v[2:3], v[2:3], v[6:7]
	v_add_f64 v[4:5], v[4:5], v[8:9]
.LBB104_191:
	s_or_b64 exec, exec, s[4:5]
.LBB104_192:
	s_or_b64 exec, exec, s[0:1]
	v_cmp_gt_i64_e32 vcc, s[28:29], v[0:1]
	s_barrier
	ds_write_b128 v28, v[2:5]
	s_waitcnt lgkmcnt(0)
	s_barrier
	s_and_b64 exec, exec, vcc
	s_cbranch_execz .LBB104_199
; %bb.193:
	v_mul_lo_u32 v1, s3, v0
	v_mov_b32_e32 v8, 0
	v_mov_b32_e32 v4, 0
	;; [unrolled: 1-line block ×4, first 2 shown]
	v_lshlrev_b32_e32 v1, 4, v1
.LBB104_194:                            ; =>This Inner Loop Header: Depth=1
	ds_read_b128 v[12:15], v1
	s_add_i32 s3, s3, -1
	s_cmp_eq_u32 s3, 0
	v_add_u32_e32 v1, 16, v1
	s_waitcnt lgkmcnt(0)
	v_add_f64 v[4:5], v[4:5], v[12:13]
	v_add_f64 v[8:9], v[8:9], v[14:15]
	s_cbranch_scc0 .LBB104_194
; %bb.195:
	v_lshlrev_b64 v[1:2], 4, v[10:11]
	v_mov_b32_e32 v3, s15
	v_add_co_u32_e32 v10, vcc, s14, v1
	v_addc_co_u32_e32 v11, vcc, v3, v2, vcc
	global_load_dwordx2 v[6:7], v[10:11], off
	s_lshl_b32 s0, s2, 4
	s_addk_i32 s0, 0x4000
	v_lshl_add_u32 v0, v0, 4, s0
	ds_read2_b64 v[0:3], v0 offset1:1
	s_mov_b64 s[0:1], 0
	s_waitcnt lgkmcnt(0)
	v_add_f64 v[0:1], v[4:5], v[0:1]
.LBB104_196:                            ; =>This Inner Loop Header: Depth=1
	s_waitcnt vmcnt(0)
	v_add_f64 v[4:5], v[6:7], v[0:1]
	global_atomic_cmpswap_x2 v[4:5], v[10:11], v[4:7], off glc
	s_waitcnt vmcnt(0)
	v_cmp_eq_u64_e32 vcc, v[4:5], v[6:7]
	v_mov_b32_e32 v7, v5
	s_or_b64 s[0:1], vcc, s[0:1]
	v_mov_b32_e32 v6, v4
	s_andn2_b64 exec, exec, s[0:1]
	s_cbranch_execnz .LBB104_196
; %bb.197:
	s_or_b64 exec, exec, s[0:1]
	global_load_dwordx2 v[4:5], v[10:11], off offset:8
	v_add_f64 v[0:1], v[8:9], v[2:3]
	s_mov_b64 s[0:1], 0
.LBB104_198:                            ; =>This Inner Loop Header: Depth=1
	s_waitcnt vmcnt(0)
	v_add_f64 v[2:3], v[4:5], v[0:1]
	global_atomic_cmpswap_x2 v[2:3], v[10:11], v[2:5], off offset:8 glc
	s_waitcnt vmcnt(0)
	v_cmp_eq_u64_e32 vcc, v[2:3], v[4:5]
	v_mov_b32_e32 v5, v3
	s_or_b64 s[0:1], vcc, s[0:1]
	v_mov_b32_e32 v4, v2
	s_andn2_b64 exec, exec, s[0:1]
	s_cbranch_execnz .LBB104_198
.LBB104_199:
	s_endpgm
	.section	.rodata,"a",@progbits
	.p2align	6, 0x0
	.amdhsa_kernel _ZN9rocsparseL27csrmvn_symm_adaptive_kernelIlid21rocsparse_complex_numIdES2_S2_EEvbT_S3_PKS3_NS_24const_host_device_scalarIT4_EES5_PKT0_PKT1_PKT2_S8_PT3_21rocsparse_index_base_b
		.amdhsa_group_segment_fixed_size 16384
		.amdhsa_private_segment_fixed_size 0
		.amdhsa_kernarg_size 368
		.amdhsa_user_sgpr_count 6
		.amdhsa_user_sgpr_private_segment_buffer 1
		.amdhsa_user_sgpr_dispatch_ptr 0
		.amdhsa_user_sgpr_queue_ptr 0
		.amdhsa_user_sgpr_kernarg_segment_ptr 1
		.amdhsa_user_sgpr_dispatch_id 0
		.amdhsa_user_sgpr_flat_scratch_init 0
		.amdhsa_user_sgpr_private_segment_size 0
		.amdhsa_uses_dynamic_stack 0
		.amdhsa_system_sgpr_private_segment_wavefront_offset 0
		.amdhsa_system_sgpr_workgroup_id_x 1
		.amdhsa_system_sgpr_workgroup_id_y 0
		.amdhsa_system_sgpr_workgroup_id_z 0
		.amdhsa_system_sgpr_workgroup_info 0
		.amdhsa_system_vgpr_workitem_id 0
		.amdhsa_next_free_vgpr 49
		.amdhsa_next_free_sgpr 98
		.amdhsa_reserve_vcc 1
		.amdhsa_reserve_flat_scratch 0
		.amdhsa_float_round_mode_32 0
		.amdhsa_float_round_mode_16_64 0
		.amdhsa_float_denorm_mode_32 3
		.amdhsa_float_denorm_mode_16_64 3
		.amdhsa_dx10_clamp 1
		.amdhsa_ieee_mode 1
		.amdhsa_fp16_overflow 0
		.amdhsa_exception_fp_ieee_invalid_op 0
		.amdhsa_exception_fp_denorm_src 0
		.amdhsa_exception_fp_ieee_div_zero 0
		.amdhsa_exception_fp_ieee_overflow 0
		.amdhsa_exception_fp_ieee_underflow 0
		.amdhsa_exception_fp_ieee_inexact 0
		.amdhsa_exception_int_div_zero 0
	.end_amdhsa_kernel
	.section	.text._ZN9rocsparseL27csrmvn_symm_adaptive_kernelIlid21rocsparse_complex_numIdES2_S2_EEvbT_S3_PKS3_NS_24const_host_device_scalarIT4_EES5_PKT0_PKT1_PKT2_S8_PT3_21rocsparse_index_base_b,"axG",@progbits,_ZN9rocsparseL27csrmvn_symm_adaptive_kernelIlid21rocsparse_complex_numIdES2_S2_EEvbT_S3_PKS3_NS_24const_host_device_scalarIT4_EES5_PKT0_PKT1_PKT2_S8_PT3_21rocsparse_index_base_b,comdat
.Lfunc_end104:
	.size	_ZN9rocsparseL27csrmvn_symm_adaptive_kernelIlid21rocsparse_complex_numIdES2_S2_EEvbT_S3_PKS3_NS_24const_host_device_scalarIT4_EES5_PKT0_PKT1_PKT2_S8_PT3_21rocsparse_index_base_b, .Lfunc_end104-_ZN9rocsparseL27csrmvn_symm_adaptive_kernelIlid21rocsparse_complex_numIdES2_S2_EEvbT_S3_PKS3_NS_24const_host_device_scalarIT4_EES5_PKT0_PKT1_PKT2_S8_PT3_21rocsparse_index_base_b
                                        ; -- End function
	.set _ZN9rocsparseL27csrmvn_symm_adaptive_kernelIlid21rocsparse_complex_numIdES2_S2_EEvbT_S3_PKS3_NS_24const_host_device_scalarIT4_EES5_PKT0_PKT1_PKT2_S8_PT3_21rocsparse_index_base_b.num_vgpr, 30
	.set _ZN9rocsparseL27csrmvn_symm_adaptive_kernelIlid21rocsparse_complex_numIdES2_S2_EEvbT_S3_PKS3_NS_24const_host_device_scalarIT4_EES5_PKT0_PKT1_PKT2_S8_PT3_21rocsparse_index_base_b.num_agpr, 0
	.set _ZN9rocsparseL27csrmvn_symm_adaptive_kernelIlid21rocsparse_complex_numIdES2_S2_EEvbT_S3_PKS3_NS_24const_host_device_scalarIT4_EES5_PKT0_PKT1_PKT2_S8_PT3_21rocsparse_index_base_b.numbered_sgpr, 52
	.set _ZN9rocsparseL27csrmvn_symm_adaptive_kernelIlid21rocsparse_complex_numIdES2_S2_EEvbT_S3_PKS3_NS_24const_host_device_scalarIT4_EES5_PKT0_PKT1_PKT2_S8_PT3_21rocsparse_index_base_b.num_named_barrier, 0
	.set _ZN9rocsparseL27csrmvn_symm_adaptive_kernelIlid21rocsparse_complex_numIdES2_S2_EEvbT_S3_PKS3_NS_24const_host_device_scalarIT4_EES5_PKT0_PKT1_PKT2_S8_PT3_21rocsparse_index_base_b.private_seg_size, 0
	.set _ZN9rocsparseL27csrmvn_symm_adaptive_kernelIlid21rocsparse_complex_numIdES2_S2_EEvbT_S3_PKS3_NS_24const_host_device_scalarIT4_EES5_PKT0_PKT1_PKT2_S8_PT3_21rocsparse_index_base_b.uses_vcc, 1
	.set _ZN9rocsparseL27csrmvn_symm_adaptive_kernelIlid21rocsparse_complex_numIdES2_S2_EEvbT_S3_PKS3_NS_24const_host_device_scalarIT4_EES5_PKT0_PKT1_PKT2_S8_PT3_21rocsparse_index_base_b.uses_flat_scratch, 0
	.set _ZN9rocsparseL27csrmvn_symm_adaptive_kernelIlid21rocsparse_complex_numIdES2_S2_EEvbT_S3_PKS3_NS_24const_host_device_scalarIT4_EES5_PKT0_PKT1_PKT2_S8_PT3_21rocsparse_index_base_b.has_dyn_sized_stack, 0
	.set _ZN9rocsparseL27csrmvn_symm_adaptive_kernelIlid21rocsparse_complex_numIdES2_S2_EEvbT_S3_PKS3_NS_24const_host_device_scalarIT4_EES5_PKT0_PKT1_PKT2_S8_PT3_21rocsparse_index_base_b.has_recursion, 0
	.set _ZN9rocsparseL27csrmvn_symm_adaptive_kernelIlid21rocsparse_complex_numIdES2_S2_EEvbT_S3_PKS3_NS_24const_host_device_scalarIT4_EES5_PKT0_PKT1_PKT2_S8_PT3_21rocsparse_index_base_b.has_indirect_call, 0
	.section	.AMDGPU.csdata,"",@progbits
; Kernel info:
; codeLenInByte = 10204
; TotalNumSgprs: 56
; NumVgprs: 30
; ScratchSize: 0
; MemoryBound: 0
; FloatMode: 240
; IeeeMode: 1
; LDSByteSize: 16384 bytes/workgroup (compile time only)
; SGPRBlocks: 12
; VGPRBlocks: 12
; NumSGPRsForWavesPerEU: 102
; NumVGPRsForWavesPerEU: 49
; Occupancy: 4
; WaveLimiterHint : 1
; COMPUTE_PGM_RSRC2:SCRATCH_EN: 0
; COMPUTE_PGM_RSRC2:USER_SGPR: 6
; COMPUTE_PGM_RSRC2:TRAP_HANDLER: 0
; COMPUTE_PGM_RSRC2:TGID_X_EN: 1
; COMPUTE_PGM_RSRC2:TGID_Y_EN: 0
; COMPUTE_PGM_RSRC2:TGID_Z_EN: 0
; COMPUTE_PGM_RSRC2:TIDIG_COMP_CNT: 0
	.section	.text._ZL33csrmvn_symm_large_adaptive_kernelIlid21rocsparse_complex_numIdES1_S1_EvbT_PKS2_N9rocsparse24const_host_device_scalarIT4_EES4_PKT0_PKT1_PKT2_S8_PT3_21rocsparse_index_base_b,"axG",@progbits,_ZL33csrmvn_symm_large_adaptive_kernelIlid21rocsparse_complex_numIdES1_S1_EvbT_PKS2_N9rocsparse24const_host_device_scalarIT4_EES4_PKT0_PKT1_PKT2_S8_PT3_21rocsparse_index_base_b,comdat
	.globl	_ZL33csrmvn_symm_large_adaptive_kernelIlid21rocsparse_complex_numIdES1_S1_EvbT_PKS2_N9rocsparse24const_host_device_scalarIT4_EES4_PKT0_PKT1_PKT2_S8_PT3_21rocsparse_index_base_b ; -- Begin function _ZL33csrmvn_symm_large_adaptive_kernelIlid21rocsparse_complex_numIdES1_S1_EvbT_PKS2_N9rocsparse24const_host_device_scalarIT4_EES4_PKT0_PKT1_PKT2_S8_PT3_21rocsparse_index_base_b
	.p2align	8
	.type	_ZL33csrmvn_symm_large_adaptive_kernelIlid21rocsparse_complex_numIdES1_S1_EvbT_PKS2_N9rocsparse24const_host_device_scalarIT4_EES4_PKT0_PKT1_PKT2_S8_PT3_21rocsparse_index_base_b,@function
_ZL33csrmvn_symm_large_adaptive_kernelIlid21rocsparse_complex_numIdES1_S1_EvbT_PKS2_N9rocsparse24const_host_device_scalarIT4_EES4_PKT0_PKT1_PKT2_S8_PT3_21rocsparse_index_base_b: ; @_ZL33csrmvn_symm_large_adaptive_kernelIlid21rocsparse_complex_numIdES1_S1_EvbT_PKS2_N9rocsparse24const_host_device_scalarIT4_EES4_PKT0_PKT1_PKT2_S8_PT3_21rocsparse_index_base_b
; %bb.0:
	s_load_dwordx2 s[10:11], s[4:5], 0x60
	s_load_dwordx2 s[0:1], s[4:5], 0x18
	s_add_u32 s7, s4, 24
	s_addc_u32 s12, s5, 0
	s_waitcnt lgkmcnt(0)
	s_bitcmp1_b32 s11, 0
	s_cselect_b64 s[8:9], -1, 0
	s_and_b64 s[2:3], s[8:9], exec
	s_cselect_b32 s1, s12, s1
	s_cselect_b32 s0, s7, s0
	v_mov_b32_e32 v1, s0
	v_mov_b32_e32 v2, s1
	flat_load_dwordx4 v[1:4], v[1:2]
	s_waitcnt vmcnt(0) lgkmcnt(0)
	v_cmp_eq_f64_e32 vcc, 0, v[1:2]
	v_cmp_eq_f64_e64 s[0:1], 0, v[3:4]
	s_and_b64 s[12:13], vcc, s[0:1]
	s_mov_b64 s[0:1], -1
	s_and_saveexec_b64 s[2:3], s[12:13]
	s_cbranch_execz .LBB105_2
; %bb.1:
	s_load_dwordx2 s[0:1], s[4:5], 0x48
	s_add_u32 s7, s4, 0x48
	s_addc_u32 s11, s5, 0
	s_and_b64 s[8:9], s[8:9], exec
	s_waitcnt lgkmcnt(0)
	s_cselect_b32 s1, s11, s1
	s_cselect_b32 s0, s7, s0
	v_mov_b32_e32 v5, s0
	v_mov_b32_e32 v6, s1
	flat_load_dwordx4 v[5:8], v[5:6]
	s_waitcnt vmcnt(0) lgkmcnt(0)
	v_cmp_neq_f64_e32 vcc, 1.0, v[5:6]
	v_cmp_neq_f64_e64 s[0:1], 0, v[7:8]
	s_or_b64 s[0:1], vcc, s[0:1]
	s_orn2_b64 s[0:1], s[0:1], exec
.LBB105_2:
	s_or_b64 exec, exec, s[2:3]
	s_and_saveexec_b64 s[2:3], s[0:1]
	s_cbranch_execz .LBB105_43
; %bb.3:
	s_load_dwordx2 s[8:9], s[4:5], 0x10
	s_mov_b32 s0, 0
	s_mov_b32 s3, s0
	;; [unrolled: 1-line block ×4, first 2 shown]
	v_mov_b32_e32 v8, s3
	s_ashr_i32 s7, s6, 31
	v_mov_b32_e32 v7, s2
	v_mov_b32_e32 v6, s1
	;; [unrolled: 1-line block ×3, first 2 shown]
	s_lshl_b64 s[0:1], s[6:7], 3
	s_waitcnt lgkmcnt(0)
	s_add_u32 s0, s8, s0
	v_lshlrev_b32_e32 v17, 4, v0
	s_addc_u32 s1, s9, s1
	ds_write_b128 v17, v[5:8]
	ds_write_b128 v17, v[5:8] offset:4096
	ds_write_b128 v17, v[5:8] offset:8192
	;; [unrolled: 1-line block ×3, first 2 shown]
	s_waitcnt lgkmcnt(0)
	s_barrier
	s_load_dwordx4 s[20:23], s[0:1], 0x0
	s_load_dwordx2 s[24:25], s[4:5], 0x58
	s_load_dwordx8 s[12:19], s[4:5], 0x28
	v_subrev_co_u32_e64 v18, s[0:1], s10, v0
	s_waitcnt lgkmcnt(0)
	v_mov_b32_e32 v5, s22
	v_mov_b32_e32 v6, s23
	v_cmp_ge_i64_e32 vcc, s[20:21], v[5:6]
	v_mov_b32_e32 v20, 0
	v_subb_co_u32_e64 v19, s[0:1], 0, 0, s[0:1]
	s_cbranch_vccnz .LBB105_31
; %bb.4:
	s_mov_b32 s26, 0
	v_mov_b32_e32 v13, s22
	v_cmp_gt_u32_e64 s[0:1], 64, v0
	v_cmp_gt_u32_e64 s[2:3], 16, v0
	;; [unrolled: 1-line block ×3, first 2 shown]
	v_cmp_eq_u32_e64 s[6:7], 0, v0
	s_brev_b32 s27, 1
	s_movk_i32 s11, 0x100
	v_mov_b32_e32 v14, s23
	s_mov_b64 s[28:29], s[20:21]
	s_branch .LBB105_6
.LBB105_5:                              ;   in Loop: Header=BB105_6 Depth=1
	s_or_b64 exec, exec, s[8:9]
	s_add_u32 s28, s28, 1
	s_addc_u32 s29, s29, 0
	v_cmp_ge_i64_e32 vcc, s[28:29], v[13:14]
	s_cbranch_vccnz .LBB105_31
.LBB105_6:                              ; =>This Loop Header: Depth=1
                                        ;     Child Loop BB105_8 Depth 2
                                        ;     Child Loop BB105_20 Depth 2
	;; [unrolled: 1-line block ×5, first 2 shown]
	s_lshl_b64 s[8:9], s[28:29], 3
	s_add_u32 s8, s12, s8
	s_addc_u32 s9, s13, s9
	s_load_dwordx4 s[36:39], s[8:9], 0x0
	v_mov_b32_e32 v7, 0
	v_mov_b32_e32 v5, 0
	;; [unrolled: 1-line block ×4, first 2 shown]
	s_waitcnt lgkmcnt(0)
	s_sub_u32 s30, s38, s10
	v_mov_b32_e32 v0, s37
	v_add_co_u32_e32 v9, vcc, s36, v18
	s_subb_u32 s31, s39, 0
	v_addc_co_u32_e32 v10, vcc, v0, v19, vcc
	v_cmp_gt_i64_e32 vcc, s[30:31], v[9:10]
	s_and_saveexec_b64 s[34:35], vcc
	s_cbranch_execz .LBB105_10
; %bb.7:                                ;   in Loop: Header=BB105_6 Depth=1
	v_lshlrev_b64 v[5:6], 2, v[9:10]
	v_mov_b32_e32 v0, s15
	v_add_co_u32_e32 v11, vcc, s14, v5
	v_addc_co_u32_e32 v12, vcc, v0, v6, vcc
	v_lshlrev_b64 v[5:6], 3, v[9:10]
	v_mov_b32_e32 v0, s17
	v_add_co_u32_e32 v15, vcc, s16, v5
	v_mov_b32_e32 v7, 0
	v_addc_co_u32_e32 v16, vcc, v0, v6, vcc
	v_mov_b32_e32 v8, 0
	v_mov_b32_e32 v5, v7
	s_mov_b64 s[36:37], 0
	v_mov_b32_e32 v6, v8
.LBB105_8:                              ;   Parent Loop BB105_6 Depth=1
                                        ; =>  This Inner Loop Header: Depth=2
	global_load_dword v0, v[11:12], off
	global_load_dwordx2 v[25:26], v[15:16], off
	v_mov_b32_e32 v23, s19
	s_waitcnt vmcnt(1)
	v_subrev_u32_e32 v21, s10, v0
	v_ashrrev_i32_e32 v22, 31, v21
	v_lshlrev_b64 v[21:22], 4, v[21:22]
	v_add_co_u32_e32 v21, vcc, s18, v21
	v_addc_co_u32_e32 v22, vcc, v23, v22, vcc
	global_load_dwordx4 v[21:24], v[21:22], off
	v_add_co_u32_e32 v9, vcc, s11, v9
	v_addc_co_u32_e32 v10, vcc, 0, v10, vcc
	v_add_co_u32_e32 v11, vcc, 0x400, v11
	v_addc_co_u32_e32 v12, vcc, 0, v12, vcc
	v_cmp_le_i64_e64 s[8:9], s[30:31], v[9:10]
	v_add_co_u32_e32 v15, vcc, 0x800, v15
	s_or_b64 s[36:37], s[8:9], s[36:37]
	v_addc_co_u32_e32 v16, vcc, 0, v16, vcc
	s_waitcnt vmcnt(0)
	v_fma_f64 v[5:6], v[25:26], v[21:22], v[5:6]
	v_fma_f64 v[7:8], v[21:22], 0, v[7:8]
	;; [unrolled: 1-line block ×4, first 2 shown]
	s_andn2_b64 exec, exec, s[36:37]
	s_cbranch_execnz .LBB105_8
; %bb.9:                                ;   in Loop: Header=BB105_6 Depth=1
	s_or_b64 exec, exec, s[36:37]
.LBB105_10:                             ;   in Loop: Header=BB105_6 Depth=1
	s_or_b64 exec, exec, s[34:35]
	ds_write_b128 v17, v[5:8]
	s_waitcnt lgkmcnt(0)
	s_barrier
	ds_read_b128 v[5:8], v17 offset:4096
	ds_read_b128 v[9:12], v17 offset:8192
	;; [unrolled: 1-line block ×3, first 2 shown]
	ds_read_b128 v[25:28], v17
	s_waitcnt lgkmcnt(2)
	v_add_f64 v[5:6], v[9:10], v[5:6]
	v_add_f64 v[7:8], v[11:12], v[7:8]
	s_waitcnt lgkmcnt(1)
	v_add_f64 v[5:6], v[5:6], v[21:22]
	v_add_f64 v[7:8], v[7:8], v[23:24]
	;; [unrolled: 3-line block ×3, first 2 shown]
	ds_write_b128 v17, v[5:8]
	s_waitcnt lgkmcnt(0)
	s_barrier
	s_and_saveexec_b64 s[8:9], s[0:1]
	s_cbranch_execz .LBB105_12
; %bb.11:                               ;   in Loop: Header=BB105_6 Depth=1
	ds_read_b128 v[5:8], v17 offset:1024
	ds_read_b128 v[9:12], v17 offset:2048
	ds_read_b128 v[21:24], v17 offset:3072
	ds_read_b128 v[25:28], v17
	s_waitcnt lgkmcnt(2)
	v_add_f64 v[5:6], v[9:10], v[5:6]
	v_add_f64 v[7:8], v[11:12], v[7:8]
	s_waitcnt lgkmcnt(1)
	v_add_f64 v[5:6], v[5:6], v[21:22]
	v_add_f64 v[7:8], v[7:8], v[23:24]
	s_waitcnt lgkmcnt(0)
	v_add_f64 v[5:6], v[5:6], v[25:26]
	v_add_f64 v[7:8], v[7:8], v[27:28]
	ds_write_b128 v17, v[5:8]
.LBB105_12:                             ;   in Loop: Header=BB105_6 Depth=1
	s_or_b64 exec, exec, s[8:9]
	s_waitcnt lgkmcnt(0)
	s_barrier
	s_and_saveexec_b64 s[8:9], s[2:3]
	s_cbranch_execz .LBB105_14
; %bb.13:                               ;   in Loop: Header=BB105_6 Depth=1
	ds_read_b128 v[5:8], v17 offset:256
	ds_read_b128 v[9:12], v17 offset:512
	ds_read_b128 v[21:24], v17 offset:768
	ds_read_b128 v[25:28], v17
	s_waitcnt lgkmcnt(2)
	v_add_f64 v[5:6], v[9:10], v[5:6]
	v_add_f64 v[7:8], v[11:12], v[7:8]
	s_waitcnt lgkmcnt(1)
	v_add_f64 v[5:6], v[5:6], v[21:22]
	v_add_f64 v[7:8], v[7:8], v[23:24]
	s_waitcnt lgkmcnt(0)
	v_add_f64 v[5:6], v[5:6], v[25:26]
	v_add_f64 v[7:8], v[7:8], v[27:28]
	ds_write_b128 v17, v[5:8]
.LBB105_14:                             ;   in Loop: Header=BB105_6 Depth=1
	s_or_b64 exec, exec, s[8:9]
	;; [unrolled: 21-line block ×4, first 2 shown]
	s_waitcnt lgkmcnt(0)
	s_barrier
	s_and_saveexec_b64 s[8:9], s[6:7]
	s_cbranch_execz .LBB105_5
; %bb.19:                               ;   in Loop: Header=BB105_6 Depth=1
	ds_read_b128 v[5:8], v20
	v_mov_b32_e32 v15, 0
	s_mov_b64 s[30:31], exec
	v_bfrev_b32_e32 v16, 1
	s_waitcnt lgkmcnt(0)
	v_mul_f64 v[9:10], v[7:8], -v[3:4]
	v_fma_f64 v[9:10], v[1:2], v[5:6], v[9:10]
.LBB105_20:                             ;   Parent Loop BB105_6 Depth=1
                                        ; =>  This Inner Loop Header: Depth=2
	s_ff1_i32_b64 s33, s[30:31]
	v_readlane_b32 s35, v10, s33
	v_readlane_b32 s34, v9, s33
	v_add_f64 v[15:16], v[15:16], s[34:35]
	s_lshl_b64 s[34:35], 1, s33
	s_andn2_b64 s[30:31], s[30:31], s[34:35]
	s_cmp_lg_u64 s[30:31], 0
	s_cbranch_scc1 .LBB105_20
; %bb.21:                               ;   in Loop: Header=BB105_6 Depth=1
	s_lshl_b64 s[30:31], s[28:29], 4
	v_mbcnt_lo_u32_b32 v0, exec_lo, 0
	s_add_u32 s30, s24, s30
	v_mbcnt_hi_u32_b32 v0, exec_hi, v0
	s_addc_u32 s31, s25, s31
	v_cmp_eq_u32_e32 vcc, 0, v0
	s_and_saveexec_b64 s[34:35], vcc
	s_xor_b64 s[34:35], exec, s[34:35]
	s_cbranch_execz .LBB105_25
; %bb.22:                               ;   in Loop: Header=BB105_6 Depth=1
	global_load_dwordx2 v[11:12], v20, s[30:31]
	s_mov_b64 s[36:37], 0
.LBB105_23:                             ;   Parent Loop BB105_6 Depth=1
                                        ; =>  This Inner Loop Header: Depth=2
	s_waitcnt vmcnt(0)
	v_add_f64 v[9:10], v[11:12], v[15:16]
	global_atomic_cmpswap_x2 v[9:10], v20, v[9:12], s[30:31] glc
	s_waitcnt vmcnt(0)
	v_cmp_eq_u64_e32 vcc, v[9:10], v[11:12]
	v_mov_b32_e32 v12, v10
	s_or_b64 s[36:37], vcc, s[36:37]
	v_mov_b32_e32 v11, v9
	s_andn2_b64 exec, exec, s[36:37]
	s_cbranch_execnz .LBB105_23
; %bb.24:                               ;   in Loop: Header=BB105_6 Depth=1
	s_or_b64 exec, exec, s[36:37]
.LBB105_25:                             ;   in Loop: Header=BB105_6 Depth=1
	s_or_b64 exec, exec, s[34:35]
	v_mul_f64 v[7:8], v[1:2], v[7:8]
	v_mov_b32_e32 v9, 0
	s_mov_b64 s[34:35], exec
	v_bfrev_b32_e32 v10, 1
	v_fma_f64 v[5:6], v[3:4], v[5:6], v[7:8]
.LBB105_26:                             ;   Parent Loop BB105_6 Depth=1
                                        ; =>  This Inner Loop Header: Depth=2
	s_ff1_i32_b64 s33, s[34:35]
	v_readlane_b32 s37, v6, s33
	v_readlane_b32 s36, v5, s33
	v_add_f64 v[9:10], v[9:10], s[36:37]
	s_lshl_b64 s[36:37], 1, s33
	s_andn2_b64 s[34:35], s[34:35], s[36:37]
	s_cmp_lg_u64 s[34:35], 0
	s_cbranch_scc1 .LBB105_26
; %bb.27:                               ;   in Loop: Header=BB105_6 Depth=1
	v_mbcnt_lo_u32_b32 v0, exec_lo, 0
	v_mbcnt_hi_u32_b32 v0, exec_hi, v0
	v_cmp_eq_u32_e32 vcc, 0, v0
	s_and_saveexec_b64 s[34:35], vcc
	s_xor_b64 s[34:35], exec, s[34:35]
	s_cbranch_execz .LBB105_5
; %bb.28:                               ;   in Loop: Header=BB105_6 Depth=1
	global_load_dwordx2 v[7:8], v20, s[30:31] offset:8
	s_mov_b64 s[34:35], 0
.LBB105_29:                             ;   Parent Loop BB105_6 Depth=1
                                        ; =>  This Inner Loop Header: Depth=2
	s_waitcnt vmcnt(0)
	v_add_f64 v[5:6], v[7:8], v[9:10]
	global_atomic_cmpswap_x2 v[5:6], v20, v[5:8], s[30:31] offset:8 glc
	s_waitcnt vmcnt(0)
	v_cmp_eq_u64_e32 vcc, v[5:6], v[7:8]
	v_mov_b32_e32 v8, v6
	s_or_b64 s[34:35], vcc, s[34:35]
	v_mov_b32_e32 v7, v5
	s_andn2_b64 exec, exec, s[34:35]
	s_cbranch_execnz .LBB105_29
; %bb.30:                               ;   in Loop: Header=BB105_6 Depth=1
	s_or_b64 exec, exec, s[34:35]
	s_branch .LBB105_5
.LBB105_31:
	s_lshl_b64 s[0:1], s[20:21], 3
	s_add_u32 s0, s12, s0
	s_addc_u32 s1, s13, s1
	s_lshl_b64 s[2:3], s[22:23], 3
	s_add_u32 s2, s12, s2
	s_addc_u32 s3, s13, s3
	s_load_dwordx2 s[6:7], s[0:1], 0x0
	s_load_dwordx2 s[4:5], s[2:3], 0x0
	s_waitcnt lgkmcnt(0)
	v_mov_b32_e32 v0, s7
	s_sub_u32 s4, s4, s10
	v_add_co_u32_e32 v13, vcc, s6, v18
	s_subb_u32 s5, s5, 0
	v_addc_co_u32_e32 v14, vcc, v0, v19, vcc
	v_cmp_gt_i64_e32 vcc, s[4:5], v[13:14]
	s_and_b64 exec, exec, vcc
	s_cbranch_execz .LBB105_43
; %bb.32:
	s_add_u32 s6, s22, -1
	s_addc_u32 s7, s23, -1
	s_add_u32 s0, s22, -2
	s_addc_u32 s1, s23, -1
	s_cmp_lg_u64 s[20:21], s[0:1]
	s_mov_b32 s0, 0
	s_brev_b32 s1, 1
	v_mul_f64 v[15:16], v[3:4], s[0:1]
	v_mul_f64 v[17:18], v[1:2], 0
	v_mov_b32_e32 v5, s6
	v_mov_b32_e32 v6, s7
	v_cmp_lt_i64_e32 vcc, s[20:21], v[5:6]
	s_cselect_b64 s[0:1], -1, 0
	s_and_b64 s[0:1], vcc, s[0:1]
	v_cndmask_b32_e64 v0, 0, 1, s[0:1]
	s_mov_b64 s[8:9], 0
	v_cmp_ne_u32_e64 s[0:1], 1, v0
	v_mov_b32_e32 v0, s13
	v_mov_b32_e32 v27, s15
	s_branch .LBB105_34
.LBB105_33:                             ;   in Loop: Header=BB105_34 Depth=1
	s_or_b64 exec, exec, s[2:3]
	v_add_co_u32_e32 v13, vcc, 0x100, v13
	v_addc_co_u32_e32 v14, vcc, 0, v14, vcc
	v_cmp_le_i64_e32 vcc, s[4:5], v[13:14]
	s_or_b64 s[8:9], vcc, s[8:9]
	s_andn2_b64 exec, exec, s[8:9]
	s_cbranch_execz .LBB105_43
.LBB105_34:                             ; =>This Loop Header: Depth=1
                                        ;     Child Loop BB105_36 Depth 2
                                        ;     Child Loop BB105_40 Depth 2
	;; [unrolled: 1-line block ×3, first 2 shown]
	v_mov_b32_e32 v5, s20
	v_mov_b32_e32 v8, s7
	s_and_b64 vcc, exec, s[0:1]
	v_mov_b32_e32 v6, s21
	v_mov_b32_e32 v7, s6
	s_cbranch_vccnz .LBB105_38
; %bb.35:                               ;   in Loop: Header=BB105_34 Depth=1
	v_mov_b32_e32 v5, s20
	v_mov_b32_e32 v8, s7
	s_mov_b64 s[22:23], 0
	v_mov_b32_e32 v6, s21
	v_mov_b32_e32 v7, s6
.LBB105_36:                             ;   Parent Loop BB105_34 Depth=1
                                        ; =>  This Inner Loop Header: Depth=2
	v_add_co_u32_e32 v9, vcc, v7, v5
	v_addc_co_u32_e32 v10, vcc, v8, v6, vcc
	v_lshrrev_b32_e32 v11, 31, v10
	v_add_co_u32_e32 v9, vcc, v9, v11
	v_addc_co_u32_e32 v10, vcc, 0, v10, vcc
	v_ashrrev_i64 v[9:10], 1, v[9:10]
	v_mov_b32_e32 v19, s13
	v_lshlrev_b64 v[11:12], 3, v[9:10]
	v_add_co_u32_e32 v11, vcc, s12, v11
	v_addc_co_u32_e32 v12, vcc, v19, v12, vcc
	global_load_dwordx2 v[11:12], v[11:12], off
	s_waitcnt vmcnt(0)
	v_subrev_co_u32_e32 v11, vcc, s10, v11
	v_subbrev_co_u32_e32 v12, vcc, 0, v12, vcc
	v_cmp_lt_i64_e32 vcc, v[13:14], v[11:12]
	v_cndmask_b32_e32 v7, v7, v9, vcc
	v_cndmask_b32_e32 v8, v8, v10, vcc
	;; [unrolled: 1-line block ×3, first 2 shown]
	v_add_co_u32_e64 v9, s[2:3], -1, v7
	v_cndmask_b32_e32 v6, v10, v6, vcc
	v_addc_co_u32_e64 v10, s[2:3], -1, v8, s[2:3]
	v_cmp_ge_i64_e32 vcc, v[5:6], v[7:8]
	v_cmp_eq_u64_e64 s[2:3], v[5:6], v[9:10]
	s_or_b64 s[2:3], vcc, s[2:3]
	s_and_b64 s[2:3], exec, s[2:3]
	s_or_b64 s[22:23], s[2:3], s[22:23]
	s_andn2_b64 exec, exec, s[22:23]
	s_cbranch_execnz .LBB105_36
; %bb.37:                               ;   in Loop: Header=BB105_34 Depth=1
	s_or_b64 exec, exec, s[22:23]
.LBB105_38:                             ;   in Loop: Header=BB105_34 Depth=1
	v_lshlrev_b64 v[9:10], 3, v[7:8]
	v_lshlrev_b64 v[11:12], 2, v[13:14]
	v_add_co_u32_e32 v9, vcc, s12, v9
	v_addc_co_u32_e32 v10, vcc, v0, v10, vcc
	global_load_dwordx2 v[9:10], v[9:10], off
	v_add_co_u32_e32 v11, vcc, s14, v11
	v_addc_co_u32_e32 v12, vcc, v27, v12, vcc
	global_load_dword v19, v[11:12], off
	s_waitcnt vmcnt(1)
	v_subrev_co_u32_e32 v11, vcc, s10, v9
	v_subbrev_co_u32_e32 v12, vcc, 0, v10, vcc
	v_cmp_lt_i64_e32 vcc, v[13:14], v[11:12]
	s_waitcnt vmcnt(0)
	v_subrev_u32_e32 v9, s10, v19
	v_cndmask_b32_e32 v6, v8, v6, vcc
	v_cndmask_b32_e32 v5, v7, v5, vcc
	v_ashrrev_i32_e32 v10, 31, v9
	v_cmp_ne_u64_e32 vcc, v[5:6], v[9:10]
	s_and_saveexec_b64 s[2:3], vcc
	s_cbranch_execz .LBB105_33
; %bb.39:                               ;   in Loop: Header=BB105_34 Depth=1
	v_lshlrev_b64 v[7:8], 3, v[13:14]
	v_mov_b32_e32 v11, s17
	v_add_co_u32_e32 v7, vcc, s16, v7
	v_addc_co_u32_e32 v8, vcc, v11, v8, vcc
	global_load_dwordx2 v[23:24], v[7:8], off
	v_lshlrev_b64 v[5:6], 4, v[5:6]
	v_mov_b32_e32 v7, s19
	v_add_co_u32_e32 v5, vcc, s18, v5
	v_addc_co_u32_e32 v6, vcc, v7, v6, vcc
	global_load_dwordx4 v[5:8], v[5:6], off
	v_lshlrev_b64 v[9:10], 4, v[9:10]
	v_mov_b32_e32 v11, s25
	v_add_co_u32_e32 v19, vcc, s24, v9
	v_addc_co_u32_e32 v20, vcc, v11, v10, vcc
	global_load_dwordx2 v[11:12], v[19:20], off
	s_mov_b64 s[22:23], 0
	s_waitcnt vmcnt(2)
	v_fma_f64 v[21:22], v[3:4], v[23:24], v[17:18]
	v_fma_f64 v[23:24], v[1:2], v[23:24], v[15:16]
	s_waitcnt vmcnt(1)
	v_mul_f64 v[9:10], v[7:8], -v[21:22]
	v_fma_f64 v[25:26], v[23:24], v[5:6], v[9:10]
.LBB105_40:                             ;   Parent Loop BB105_34 Depth=1
                                        ; =>  This Inner Loop Header: Depth=2
	s_waitcnt vmcnt(0)
	v_add_f64 v[9:10], v[11:12], v[25:26]
	global_atomic_cmpswap_x2 v[9:10], v[19:20], v[9:12], off glc
	s_waitcnt vmcnt(0)
	v_cmp_eq_u64_e32 vcc, v[9:10], v[11:12]
	v_mov_b32_e32 v12, v10
	s_or_b64 s[22:23], vcc, s[22:23]
	v_mov_b32_e32 v11, v9
	s_andn2_b64 exec, exec, s[22:23]
	s_cbranch_execnz .LBB105_40
; %bb.41:                               ;   in Loop: Header=BB105_34 Depth=1
	s_or_b64 exec, exec, s[22:23]
	global_load_dwordx2 v[9:10], v[19:20], off offset:8
	v_mul_f64 v[7:8], v[23:24], v[7:8]
	s_mov_b64 s[22:23], 0
	v_fma_f64 v[5:6], v[21:22], v[5:6], v[7:8]
.LBB105_42:                             ;   Parent Loop BB105_34 Depth=1
                                        ; =>  This Inner Loop Header: Depth=2
	s_waitcnt vmcnt(0)
	v_add_f64 v[7:8], v[9:10], v[5:6]
	global_atomic_cmpswap_x2 v[7:8], v[19:20], v[7:10], off offset:8 glc
	s_waitcnt vmcnt(0)
	v_cmp_eq_u64_e32 vcc, v[7:8], v[9:10]
	v_mov_b32_e32 v10, v8
	s_or_b64 s[22:23], vcc, s[22:23]
	v_mov_b32_e32 v9, v7
	s_andn2_b64 exec, exec, s[22:23]
	s_cbranch_execnz .LBB105_42
	s_branch .LBB105_33
.LBB105_43:
	s_endpgm
	.section	.rodata,"a",@progbits
	.p2align	6, 0x0
	.amdhsa_kernel _ZL33csrmvn_symm_large_adaptive_kernelIlid21rocsparse_complex_numIdES1_S1_EvbT_PKS2_N9rocsparse24const_host_device_scalarIT4_EES4_PKT0_PKT1_PKT2_S8_PT3_21rocsparse_index_base_b
		.amdhsa_group_segment_fixed_size 16384
		.amdhsa_private_segment_fixed_size 0
		.amdhsa_kernarg_size 104
		.amdhsa_user_sgpr_count 6
		.amdhsa_user_sgpr_private_segment_buffer 1
		.amdhsa_user_sgpr_dispatch_ptr 0
		.amdhsa_user_sgpr_queue_ptr 0
		.amdhsa_user_sgpr_kernarg_segment_ptr 1
		.amdhsa_user_sgpr_dispatch_id 0
		.amdhsa_user_sgpr_flat_scratch_init 0
		.amdhsa_user_sgpr_private_segment_size 0
		.amdhsa_uses_dynamic_stack 0
		.amdhsa_system_sgpr_private_segment_wavefront_offset 0
		.amdhsa_system_sgpr_workgroup_id_x 1
		.amdhsa_system_sgpr_workgroup_id_y 0
		.amdhsa_system_sgpr_workgroup_id_z 0
		.amdhsa_system_sgpr_workgroup_info 0
		.amdhsa_system_vgpr_workitem_id 0
		.amdhsa_next_free_vgpr 49
		.amdhsa_next_free_sgpr 98
		.amdhsa_reserve_vcc 1
		.amdhsa_reserve_flat_scratch 0
		.amdhsa_float_round_mode_32 0
		.amdhsa_float_round_mode_16_64 0
		.amdhsa_float_denorm_mode_32 3
		.amdhsa_float_denorm_mode_16_64 3
		.amdhsa_dx10_clamp 1
		.amdhsa_ieee_mode 1
		.amdhsa_fp16_overflow 0
		.amdhsa_exception_fp_ieee_invalid_op 0
		.amdhsa_exception_fp_denorm_src 0
		.amdhsa_exception_fp_ieee_div_zero 0
		.amdhsa_exception_fp_ieee_overflow 0
		.amdhsa_exception_fp_ieee_underflow 0
		.amdhsa_exception_fp_ieee_inexact 0
		.amdhsa_exception_int_div_zero 0
	.end_amdhsa_kernel
	.section	.text._ZL33csrmvn_symm_large_adaptive_kernelIlid21rocsparse_complex_numIdES1_S1_EvbT_PKS2_N9rocsparse24const_host_device_scalarIT4_EES4_PKT0_PKT1_PKT2_S8_PT3_21rocsparse_index_base_b,"axG",@progbits,_ZL33csrmvn_symm_large_adaptive_kernelIlid21rocsparse_complex_numIdES1_S1_EvbT_PKS2_N9rocsparse24const_host_device_scalarIT4_EES4_PKT0_PKT1_PKT2_S8_PT3_21rocsparse_index_base_b,comdat
.Lfunc_end105:
	.size	_ZL33csrmvn_symm_large_adaptive_kernelIlid21rocsparse_complex_numIdES1_S1_EvbT_PKS2_N9rocsparse24const_host_device_scalarIT4_EES4_PKT0_PKT1_PKT2_S8_PT3_21rocsparse_index_base_b, .Lfunc_end105-_ZL33csrmvn_symm_large_adaptive_kernelIlid21rocsparse_complex_numIdES1_S1_EvbT_PKS2_N9rocsparse24const_host_device_scalarIT4_EES4_PKT0_PKT1_PKT2_S8_PT3_21rocsparse_index_base_b
                                        ; -- End function
	.set _ZL33csrmvn_symm_large_adaptive_kernelIlid21rocsparse_complex_numIdES1_S1_EvbT_PKS2_N9rocsparse24const_host_device_scalarIT4_EES4_PKT0_PKT1_PKT2_S8_PT3_21rocsparse_index_base_b.num_vgpr, 29
	.set _ZL33csrmvn_symm_large_adaptive_kernelIlid21rocsparse_complex_numIdES1_S1_EvbT_PKS2_N9rocsparse24const_host_device_scalarIT4_EES4_PKT0_PKT1_PKT2_S8_PT3_21rocsparse_index_base_b.num_agpr, 0
	.set _ZL33csrmvn_symm_large_adaptive_kernelIlid21rocsparse_complex_numIdES1_S1_EvbT_PKS2_N9rocsparse24const_host_device_scalarIT4_EES4_PKT0_PKT1_PKT2_S8_PT3_21rocsparse_index_base_b.numbered_sgpr, 40
	.set _ZL33csrmvn_symm_large_adaptive_kernelIlid21rocsparse_complex_numIdES1_S1_EvbT_PKS2_N9rocsparse24const_host_device_scalarIT4_EES4_PKT0_PKT1_PKT2_S8_PT3_21rocsparse_index_base_b.num_named_barrier, 0
	.set _ZL33csrmvn_symm_large_adaptive_kernelIlid21rocsparse_complex_numIdES1_S1_EvbT_PKS2_N9rocsparse24const_host_device_scalarIT4_EES4_PKT0_PKT1_PKT2_S8_PT3_21rocsparse_index_base_b.private_seg_size, 0
	.set _ZL33csrmvn_symm_large_adaptive_kernelIlid21rocsparse_complex_numIdES1_S1_EvbT_PKS2_N9rocsparse24const_host_device_scalarIT4_EES4_PKT0_PKT1_PKT2_S8_PT3_21rocsparse_index_base_b.uses_vcc, 1
	.set _ZL33csrmvn_symm_large_adaptive_kernelIlid21rocsparse_complex_numIdES1_S1_EvbT_PKS2_N9rocsparse24const_host_device_scalarIT4_EES4_PKT0_PKT1_PKT2_S8_PT3_21rocsparse_index_base_b.uses_flat_scratch, 0
	.set _ZL33csrmvn_symm_large_adaptive_kernelIlid21rocsparse_complex_numIdES1_S1_EvbT_PKS2_N9rocsparse24const_host_device_scalarIT4_EES4_PKT0_PKT1_PKT2_S8_PT3_21rocsparse_index_base_b.has_dyn_sized_stack, 0
	.set _ZL33csrmvn_symm_large_adaptive_kernelIlid21rocsparse_complex_numIdES1_S1_EvbT_PKS2_N9rocsparse24const_host_device_scalarIT4_EES4_PKT0_PKT1_PKT2_S8_PT3_21rocsparse_index_base_b.has_recursion, 0
	.set _ZL33csrmvn_symm_large_adaptive_kernelIlid21rocsparse_complex_numIdES1_S1_EvbT_PKS2_N9rocsparse24const_host_device_scalarIT4_EES4_PKT0_PKT1_PKT2_S8_PT3_21rocsparse_index_base_b.has_indirect_call, 0
	.section	.AMDGPU.csdata,"",@progbits
; Kernel info:
; codeLenInByte = 2444
; TotalNumSgprs: 44
; NumVgprs: 29
; ScratchSize: 0
; MemoryBound: 0
; FloatMode: 240
; IeeeMode: 1
; LDSByteSize: 16384 bytes/workgroup (compile time only)
; SGPRBlocks: 12
; VGPRBlocks: 12
; NumSGPRsForWavesPerEU: 102
; NumVGPRsForWavesPerEU: 49
; Occupancy: 4
; WaveLimiterHint : 1
; COMPUTE_PGM_RSRC2:SCRATCH_EN: 0
; COMPUTE_PGM_RSRC2:USER_SGPR: 6
; COMPUTE_PGM_RSRC2:TRAP_HANDLER: 0
; COMPUTE_PGM_RSRC2:TGID_X_EN: 1
; COMPUTE_PGM_RSRC2:TGID_Y_EN: 0
; COMPUTE_PGM_RSRC2:TGID_Z_EN: 0
; COMPUTE_PGM_RSRC2:TIDIG_COMP_CNT: 0
	.section	.text._ZN9rocsparseL22csrmvn_adaptive_kernelIlld21rocsparse_complex_numIdES2_S2_EEvbT_PKS3_PjPKT0_NS_24const_host_device_scalarIT4_EES5_S9_PKT1_PKT2_SC_PT3_21rocsparse_index_base_b,"axG",@progbits,_ZN9rocsparseL22csrmvn_adaptive_kernelIlld21rocsparse_complex_numIdES2_S2_EEvbT_PKS3_PjPKT0_NS_24const_host_device_scalarIT4_EES5_S9_PKT1_PKT2_SC_PT3_21rocsparse_index_base_b,comdat
	.globl	_ZN9rocsparseL22csrmvn_adaptive_kernelIlld21rocsparse_complex_numIdES2_S2_EEvbT_PKS3_PjPKT0_NS_24const_host_device_scalarIT4_EES5_S9_PKT1_PKT2_SC_PT3_21rocsparse_index_base_b ; -- Begin function _ZN9rocsparseL22csrmvn_adaptive_kernelIlld21rocsparse_complex_numIdES2_S2_EEvbT_PKS3_PjPKT0_NS_24const_host_device_scalarIT4_EES5_S9_PKT1_PKT2_SC_PT3_21rocsparse_index_base_b
	.p2align	8
	.type	_ZN9rocsparseL22csrmvn_adaptive_kernelIlld21rocsparse_complex_numIdES2_S2_EEvbT_PKS3_PjPKT0_NS_24const_host_device_scalarIT4_EES5_S9_PKT1_PKT2_SC_PT3_21rocsparse_index_base_b,@function
_ZN9rocsparseL22csrmvn_adaptive_kernelIlld21rocsparse_complex_numIdES2_S2_EEvbT_PKS3_PjPKT0_NS_24const_host_device_scalarIT4_EES5_S9_PKT1_PKT2_SC_PT3_21rocsparse_index_base_b: ; @_ZN9rocsparseL22csrmvn_adaptive_kernelIlld21rocsparse_complex_numIdES2_S2_EEvbT_PKS3_PjPKT0_NS_24const_host_device_scalarIT4_EES5_S9_PKT1_PKT2_SC_PT3_21rocsparse_index_base_b
; %bb.0:
	s_load_dwordx2 s[0:1], s[4:5], 0x28
	s_load_dwordx2 s[44:45], s[4:5], 0x70
	s_add_u32 s7, s4, 40
	s_addc_u32 s8, s5, 0
	s_add_u32 s9, s4, 0x58
	s_addc_u32 s10, s5, 0
	s_waitcnt lgkmcnt(0)
	s_bitcmp1_b32 s45, 0
	s_cselect_b32 s1, s8, s1
	s_cselect_b32 s0, s7, s0
	v_mov_b32_e32 v1, s0
	v_mov_b32_e32 v2, s1
	flat_load_dwordx4 v[5:8], v[1:2]
	s_load_dwordx2 s[2:3], s[4:5], 0x58
	s_waitcnt lgkmcnt(0)
	s_cselect_b32 s0, s10, s3
	s_cselect_b32 s1, s9, s2
	v_mov_b32_e32 v1, s1
	v_mov_b32_e32 v2, s0
	flat_load_dwordx4 v[1:4], v[1:2]
	s_waitcnt vmcnt(0)
	v_cmp_eq_f64_e32 vcc, 0, v[5:6]
	v_cmp_eq_f64_e64 s[0:1], 0, v[7:8]
	s_and_b64 s[8:9], vcc, s[0:1]
	s_mov_b64 s[0:1], -1
	s_and_saveexec_b64 s[2:3], s[8:9]
	s_cbranch_execz .LBB106_2
; %bb.1:
	s_waitcnt lgkmcnt(0)
	v_cmp_neq_f64_e32 vcc, 1.0, v[1:2]
	v_cmp_neq_f64_e64 s[0:1], 0, v[3:4]
	s_or_b64 s[0:1], vcc, s[0:1]
	s_orn2_b64 s[0:1], s[0:1], exec
.LBB106_2:
	s_or_b64 exec, exec, s[2:3]
	s_and_saveexec_b64 s[2:3], s[0:1]
	s_cbranch_execz .LBB106_116
; %bb.3:
	s_load_dwordx2 s[0:1], s[4:5], 0x10
	s_load_dwordx2 s[2:3], s[4:5], 0x20
	s_ashr_i32 s7, s6, 31
	s_lshl_b64 s[8:9], s[6:7], 3
	s_waitcnt lgkmcnt(0)
	s_add_u32 s0, s0, s8
	s_addc_u32 s1, s1, s9
	s_load_dwordx4 s[36:39], s[0:1], 0x0
	s_load_dwordx2 s[22:23], s[4:5], 0x68
	s_load_dwordx8 s[24:31], s[4:5], 0x38
	s_waitcnt lgkmcnt(0)
	s_sub_u32 s0, s38, s36
	s_subb_u32 s1, s39, s37
	s_add_u32 s2, s2, s8
	s_addc_u32 s3, s3, s9
	s_lshl_b64 s[8:9], s[36:37], 3
	s_add_u32 s42, s24, s8
	s_addc_u32 s43, s25, s9
	s_load_dwordx2 s[34:35], s[2:3], 0x0
	s_load_dwordx2 s[40:41], s[42:43], 0x0
	v_cmp_lt_i64_e64 s[8:9], s[0:1], 2
	s_mov_b64 s[2:3], -1
	s_and_b64 vcc, exec, s[8:9]
	s_cbranch_vccz .LBB106_72
; %bb.4:
	s_cmp_lg_u64 s[0:1], 1
	s_cselect_b64 s[0:1], -1, 0
	s_waitcnt lgkmcnt(0)
	s_cmp_lg_u64 s[34:35], 0
	s_cselect_b64 s[2:3], -1, 0
	s_or_b64 s[0:1], s[0:1], s[2:3]
	s_mov_b64 s[18:19], -1
	s_and_b64 vcc, exec, s[0:1]
	v_cmp_gt_u32_e64 s[0:1], 64, v0
	v_cmp_gt_u32_e64 s[2:3], 32, v0
	;; [unrolled: 1-line block ×6, first 2 shown]
	v_cmp_eq_u32_e64 s[16:17], 0, v0
	s_cbranch_vccnz .LBB106_32
; %bb.5:
	v_subrev_co_u32_e32 v26, vcc, s44, v0
	v_subb_co_u32_e64 v27, s[18:19], 0, 0, vcc
	s_mov_b32 s18, 0
	v_cmp_neq_f64_e32 vcc, 0, v[1:2]
	v_cmp_neq_f64_e64 s[20:21], 0, v[3:4]
	s_brev_b32 s19, 1
	v_mul_f64 v[13:14], v[7:8], s[18:19]
	v_mul_f64 v[15:16], v[5:6], 0
	s_movk_i32 s18, 0x80
	v_mov_b32_e32 v17, s38
	v_mov_b32_e32 v25, 0
	v_lshlrev_b32_e32 v28, 4, v0
	v_cmp_gt_u32_e64 s[18:19], s18, v0
	s_or_b64 s[46:47], vcc, s[20:21]
	s_movk_i32 s33, 0x100
	v_mov_b32_e32 v18, s39
	s_mov_b64 s[48:49], s[36:37]
	s_branch .LBB106_8
.LBB106_6:                              ;   in Loop: Header=BB106_8 Depth=1
	s_or_b64 exec, exec, s[50:51]
	s_lshl_b64 s[50:51], s[48:49], 4
	s_add_u32 s50, s22, s50
	s_addc_u32 s51, s23, s51
	s_waitcnt lgkmcnt(0)
	global_store_dwordx4 v25, v[9:12], s[50:51]
.LBB106_7:                              ;   in Loop: Header=BB106_8 Depth=1
	s_or_b64 exec, exec, s[20:21]
	s_add_u32 s48, s48, 1
	s_addc_u32 s49, s49, 0
	v_cmp_ge_i64_e32 vcc, s[48:49], v[17:18]
	s_cbranch_vccnz .LBB106_31
.LBB106_8:                              ; =>This Loop Header: Depth=1
                                        ;     Child Loop BB106_10 Depth 2
	s_lshl_b64 s[20:21], s[48:49], 3
	s_add_u32 s20, s24, s20
	s_addc_u32 s21, s25, s21
	s_load_dwordx4 s[52:55], s[20:21], 0x0
	v_mov_b32_e32 v11, 0
	v_mov_b32_e32 v12, 0
	s_waitcnt lgkmcnt(0)
	s_sub_u32 s50, s54, s44
	v_mov_b32_e32 v9, s53
	v_add_co_u32_e32 v19, vcc, s52, v26
	s_subb_u32 s51, s55, 0
	v_addc_co_u32_e32 v20, vcc, v9, v27, vcc
	v_cmp_gt_i64_e32 vcc, s[50:51], v[19:20]
	v_mov_b32_e32 v9, 0
	v_mov_b32_e32 v10, 0
	s_and_saveexec_b64 s[52:53], vcc
	s_cbranch_execz .LBB106_12
; %bb.9:                                ;   in Loop: Header=BB106_8 Depth=1
	v_lshlrev_b64 v[9:10], 3, v[19:20]
	v_mov_b32_e32 v11, s29
	v_add_co_u32_e32 v21, vcc, s28, v9
	v_addc_co_u32_e32 v22, vcc, v11, v10, vcc
	v_mov_b32_e32 v11, s27
	v_add_co_u32_e32 v23, vcc, s26, v9
	v_addc_co_u32_e32 v24, vcc, v11, v10, vcc
	v_mov_b32_e32 v11, 0
	v_mov_b32_e32 v12, 0
	v_mov_b32_e32 v9, v11
	s_mov_b64 s[54:55], 0
	v_mov_b32_e32 v10, v12
.LBB106_10:                             ;   Parent Loop BB106_8 Depth=1
                                        ; =>  This Inner Loop Header: Depth=2
	global_load_dwordx2 v[29:30], v[23:24], off
	global_load_dwordx2 v[33:34], v[21:22], off
	v_mov_b32_e32 v31, s31
	s_waitcnt vmcnt(1)
	v_subrev_co_u32_e32 v29, vcc, s44, v29
	v_subbrev_co_u32_e32 v30, vcc, 0, v30, vcc
	v_lshlrev_b64 v[29:30], 4, v[29:30]
	s_waitcnt vmcnt(0)
	v_fma_f64 v[35:36], v[5:6], v[33:34], v[13:14]
	v_add_co_u32_e32 v29, vcc, s30, v29
	v_addc_co_u32_e32 v30, vcc, v31, v30, vcc
	global_load_dwordx4 v[29:32], v[29:30], off
	v_fma_f64 v[33:34], v[7:8], v[33:34], v[15:16]
	v_add_co_u32_e32 v19, vcc, s33, v19
	v_addc_co_u32_e32 v20, vcc, 0, v20, vcc
	v_add_co_u32_e32 v21, vcc, 0x800, v21
	v_addc_co_u32_e32 v22, vcc, 0, v22, vcc
	v_cmp_le_i64_e64 s[20:21], s[50:51], v[19:20]
	v_add_co_u32_e32 v23, vcc, 0x800, v23
	s_or_b64 s[54:55], s[20:21], s[54:55]
	v_addc_co_u32_e32 v24, vcc, 0, v24, vcc
	s_waitcnt vmcnt(0)
	v_fma_f64 v[9:10], v[35:36], v[29:30], v[9:10]
	v_fma_f64 v[11:12], v[33:34], v[29:30], v[11:12]
	v_fma_f64 v[9:10], -v[33:34], v[31:32], v[9:10]
	v_fma_f64 v[11:12], v[35:36], v[31:32], v[11:12]
	s_andn2_b64 exec, exec, s[54:55]
	s_cbranch_execnz .LBB106_10
; %bb.11:                               ;   in Loop: Header=BB106_8 Depth=1
	s_or_b64 exec, exec, s[54:55]
.LBB106_12:                             ;   in Loop: Header=BB106_8 Depth=1
	s_or_b64 exec, exec, s[52:53]
	ds_write_b128 v28, v[9:12]
	s_waitcnt vmcnt(0) lgkmcnt(0)
	s_barrier
	s_and_saveexec_b64 s[20:21], s[18:19]
	s_cbranch_execz .LBB106_14
; %bb.13:                               ;   in Loop: Header=BB106_8 Depth=1
	ds_read_b128 v[9:12], v28 offset:2048
	ds_read_b128 v[19:22], v28
	s_waitcnt lgkmcnt(0)
	v_add_f64 v[9:10], v[9:10], v[19:20]
	v_add_f64 v[11:12], v[11:12], v[21:22]
	ds_write_b128 v28, v[9:12]
.LBB106_14:                             ;   in Loop: Header=BB106_8 Depth=1
	s_or_b64 exec, exec, s[20:21]
	s_waitcnt lgkmcnt(0)
	s_barrier
	s_and_saveexec_b64 s[20:21], s[0:1]
	s_cbranch_execz .LBB106_16
; %bb.15:                               ;   in Loop: Header=BB106_8 Depth=1
	ds_read_b128 v[9:12], v28 offset:1024
	ds_read_b128 v[19:22], v28
	s_waitcnt lgkmcnt(0)
	v_add_f64 v[9:10], v[9:10], v[19:20]
	v_add_f64 v[11:12], v[11:12], v[21:22]
	ds_write_b128 v28, v[9:12]
.LBB106_16:                             ;   in Loop: Header=BB106_8 Depth=1
	s_or_b64 exec, exec, s[20:21]
	s_waitcnt lgkmcnt(0)
	;; [unrolled: 13-line block ×6, first 2 shown]
	s_barrier
	s_and_saveexec_b64 s[20:21], s[14:15]
	s_cbranch_execz .LBB106_26
; %bb.25:                               ;   in Loop: Header=BB106_8 Depth=1
	ds_read_b128 v[9:12], v28
	ds_read_b128 v[19:22], v28 offset:32
	s_waitcnt lgkmcnt(0)
	v_add_f64 v[9:10], v[19:20], v[9:10]
	v_add_f64 v[11:12], v[21:22], v[11:12]
	ds_write_b128 v28, v[9:12]
.LBB106_26:                             ;   in Loop: Header=BB106_8 Depth=1
	s_or_b64 exec, exec, s[20:21]
	s_waitcnt lgkmcnt(0)
	s_barrier
	s_and_saveexec_b64 s[20:21], s[16:17]
	s_cbranch_execz .LBB106_28
; %bb.27:                               ;   in Loop: Header=BB106_8 Depth=1
	ds_read_b128 v[9:12], v25
	ds_read_b128 v[19:22], v25 offset:16
	s_waitcnt lgkmcnt(0)
	v_add_f64 v[9:10], v[19:20], v[9:10]
	v_add_f64 v[11:12], v[21:22], v[11:12]
	ds_write_b128 v25, v[9:12]
.LBB106_28:                             ;   in Loop: Header=BB106_8 Depth=1
	s_or_b64 exec, exec, s[20:21]
	s_waitcnt lgkmcnt(0)
	s_barrier
	s_and_saveexec_b64 s[20:21], s[16:17]
	s_cbranch_execz .LBB106_7
; %bb.29:                               ;   in Loop: Header=BB106_8 Depth=1
	ds_read_b128 v[9:12], v25
	s_and_saveexec_b64 s[50:51], s[46:47]
	s_cbranch_execz .LBB106_6
; %bb.30:                               ;   in Loop: Header=BB106_8 Depth=1
	s_lshl_b64 s[52:53], s[48:49], 4
	s_add_u32 s52, s22, s52
	s_addc_u32 s53, s23, s53
	global_load_dwordx4 v[19:22], v25, s[52:53]
	s_waitcnt vmcnt(0) lgkmcnt(0)
	v_fma_f64 v[9:10], v[1:2], v[19:20], v[9:10]
	v_fma_f64 v[11:12], v[3:4], v[19:20], v[11:12]
	v_fma_f64 v[9:10], -v[3:4], v[21:22], v[9:10]
	v_fma_f64 v[11:12], v[1:2], v[21:22], v[11:12]
	s_branch .LBB106_6
.LBB106_31:
	s_mov_b64 s[18:19], 0
.LBB106_32:
	s_and_b64 vcc, exec, s[18:19]
	s_cbranch_vccz .LBB106_71
; %bb.33:
	s_load_dwordx2 s[8:9], s[4:5], 0x18
	s_sub_u32 s10, s6, s34
	s_subb_u32 s11, s7, s35
	s_lshl_b64 s[0:1], s[6:7], 2
	v_mov_b32_e32 v13, 0
	s_waitcnt lgkmcnt(0)
	s_add_u32 s6, s8, s0
	s_addc_u32 s7, s9, s1
	global_load_dword v23, v13, s[6:7]
	s_cmp_lg_u64 s[34:35], 0
	s_cselect_b64 s[12:13], -1, 0
	s_cmp_eq_u64 s[34:35], 0
	s_cselect_b64 s[2:3], -1, 0
	v_cmp_eq_u32_e64 s[0:1], 0, v0
	v_mov_b32_e32 v9, 0
	v_mov_b32_e32 v11, 0
	;; [unrolled: 1-line block ×4, first 2 shown]
	s_and_b64 s[14:15], s[0:1], s[2:3]
	s_and_saveexec_b64 s[2:3], s[14:15]
	s_cbranch_execz .LBB106_37
; %bb.34:
	s_lshl_b64 s[16:17], s[36:37], 4
	s_add_u32 s16, s22, s16
	s_addc_u32 s17, s23, s17
	global_load_dwordx4 v[11:14], v13, s[16:17]
	v_add_f64 v[9:10], v[1:2], -1.0
	s_mov_b64 s[14:15], exec
	v_mbcnt_lo_u32_b32 v17, s14, 0
	v_mbcnt_hi_u32_b32 v17, s15, v17
	v_cmp_eq_u32_e32 vcc, 0, v17
	s_waitcnt vmcnt(0) expcnt(0) lgkmcnt(0)
	v_mul_f64 v[15:16], v[13:14], -v[3:4]
	v_mul_f64 v[13:14], v[9:10], v[13:14]
	s_and_saveexec_b64 s[16:17], vcc
	s_cbranch_execz .LBB106_36
; %bb.35:
	s_lshl_b64 s[18:19], s[10:11], 2
	s_add_u32 s18, s8, s18
	s_addc_u32 s19, s9, s19
	s_bcnt1_i32_b64 s14, s[14:15]
	s_and_b32 s14, s14, 1
	v_mov_b32_e32 v17, 0
	v_mov_b32_e32 v18, s14
	global_atomic_xor v17, v18, s[18:19]
.LBB106_36:
	s_or_b64 exec, exec, s[16:17]
	v_fma_f64 v[9:10], v[9:10], v[11:12], v[15:16]
	v_fma_f64 v[11:12], v[3:4], v[11:12], v[13:14]
.LBB106_37:
	s_or_b64 exec, exec, s[2:3]
	s_mul_i32 s2, s35, 0xc00
	s_mul_hi_u32 s3, s34, 0xc00
	s_add_i32 s14, s3, s2
	s_load_dwordx2 s[2:3], s[42:43], 0x8
	s_sub_u32 s16, s40, s44
	s_mul_i32 s15, s34, 0xc00
	s_subb_u32 s17, s41, 0
	s_add_u32 s16, s16, s15
	s_addc_u32 s17, s17, s14
	s_waitcnt lgkmcnt(0)
	s_sub_u32 s2, s2, s44
	v_mov_b32_e32 v14, s17
	v_add_co_u32_e32 v13, vcc, s16, v0
	s_subb_u32 s3, s3, 0
	v_addc_co_u32_e32 v14, vcc, 0, v14, vcc
	v_cmp_gt_i64_e32 vcc, s[2:3], v[13:14]
	s_and_saveexec_b64 s[14:15], vcc
	s_cbranch_execz .LBB106_41
; %bb.38:
	s_add_u32 s16, s16, 0xc00
	v_mov_b32_e32 v16, s3
	s_addc_u32 s17, s17, 0
	v_mov_b32_e32 v15, s2
	v_cmp_lt_i64_e32 vcc, s[16:17], v[15:16]
	v_mul_f64 v[17:18], v[5:6], 0
	s_and_b64 s[18:19], vcc, exec
	s_cselect_b32 s17, s17, s3
	s_cselect_b32 s16, s16, s2
	s_mov_b32 s2, 0
	s_brev_b32 s3, 1
	v_mul_f64 v[15:16], v[7:8], s[2:3]
	v_lshlrev_b64 v[21:22], 3, v[13:14]
	v_mov_b32_e32 v20, s29
	v_add_co_u32_e32 v19, vcc, s28, v21
	v_addc_co_u32_e32 v20, vcc, v20, v22, vcc
	v_mov_b32_e32 v24, s27
	v_add_co_u32_e32 v21, vcc, s26, v21
	s_mov_b64 s[18:19], 0
	v_addc_co_u32_e32 v22, vcc, v24, v22, vcc
	v_mov_b32_e32 v24, s31
	s_movk_i32 s20, 0x100
.LBB106_39:                             ; =>This Inner Loop Header: Depth=1
	global_load_dwordx2 v[25:26], v[21:22], off
	global_load_dwordx2 v[29:30], v[19:20], off
	s_waitcnt vmcnt(1)
	v_subrev_co_u32_e32 v25, vcc, s44, v25
	v_subbrev_co_u32_e32 v26, vcc, 0, v26, vcc
	v_lshlrev_b64 v[25:26], 4, v[25:26]
	s_waitcnt vmcnt(0)
	v_fma_f64 v[31:32], v[5:6], v[29:30], v[15:16]
	v_add_co_u32_e32 v25, vcc, s30, v25
	v_addc_co_u32_e32 v26, vcc, v24, v26, vcc
	global_load_dwordx4 v[25:28], v[25:26], off
	v_fma_f64 v[29:30], v[7:8], v[29:30], v[17:18]
	v_add_co_u32_e32 v13, vcc, s20, v13
	v_addc_co_u32_e32 v14, vcc, 0, v14, vcc
	v_add_co_u32_e32 v19, vcc, 0x800, v19
	v_addc_co_u32_e32 v20, vcc, 0, v20, vcc
	v_cmp_le_i64_e64 s[2:3], s[16:17], v[13:14]
	v_add_co_u32_e32 v21, vcc, 0x800, v21
	s_or_b64 s[18:19], s[2:3], s[18:19]
	v_addc_co_u32_e32 v22, vcc, 0, v22, vcc
	s_waitcnt vmcnt(0)
	v_fma_f64 v[9:10], v[31:32], v[25:26], v[9:10]
	v_fma_f64 v[11:12], v[29:30], v[25:26], v[11:12]
	v_fma_f64 v[9:10], -v[29:30], v[27:28], v[9:10]
	v_fma_f64 v[11:12], v[31:32], v[27:28], v[11:12]
	s_andn2_b64 exec, exec, s[18:19]
	s_cbranch_execnz .LBB106_39
; %bb.40:
	s_or_b64 exec, exec, s[18:19]
.LBB106_41:
	s_or_b64 exec, exec, s[14:15]
	s_movk_i32 s2, 0x80
	v_lshlrev_b32_e32 v13, 4, v0
	v_cmp_gt_u32_e32 vcc, s2, v0
	ds_write_b128 v13, v[9:12]
	s_waitcnt vmcnt(0) lgkmcnt(0)
	s_barrier
	s_and_saveexec_b64 s[2:3], vcc
	s_cbranch_execz .LBB106_43
; %bb.42:
	ds_read_b128 v[9:12], v13 offset:2048
	ds_read_b128 v[14:17], v13
	s_waitcnt lgkmcnt(0)
	v_add_f64 v[9:10], v[9:10], v[14:15]
	v_add_f64 v[11:12], v[11:12], v[16:17]
	ds_write_b128 v13, v[9:12]
.LBB106_43:
	s_or_b64 exec, exec, s[2:3]
	v_cmp_gt_u32_e32 vcc, 64, v0
	s_waitcnt lgkmcnt(0)
	s_barrier
	s_and_saveexec_b64 s[2:3], vcc
	s_cbranch_execz .LBB106_45
; %bb.44:
	ds_read_b128 v[9:12], v13 offset:1024
	ds_read_b128 v[14:17], v13
	s_waitcnt lgkmcnt(0)
	v_add_f64 v[9:10], v[9:10], v[14:15]
	v_add_f64 v[11:12], v[11:12], v[16:17]
	ds_write_b128 v13, v[9:12]
.LBB106_45:
	s_or_b64 exec, exec, s[2:3]
	v_cmp_gt_u32_e32 vcc, 32, v0
	s_waitcnt lgkmcnt(0)
	;; [unrolled: 14-line block ×6, first 2 shown]
	s_barrier
	s_and_saveexec_b64 s[2:3], vcc
	s_cbranch_execz .LBB106_55
; %bb.54:
	ds_read_b128 v[9:12], v13
	ds_read_b128 v[14:17], v13 offset:32
	s_waitcnt lgkmcnt(0)
	v_add_f64 v[9:10], v[14:15], v[9:10]
	v_add_f64 v[11:12], v[16:17], v[11:12]
	ds_write_b128 v13, v[9:12]
.LBB106_55:
	s_or_b64 exec, exec, s[2:3]
	s_waitcnt lgkmcnt(0)
	s_barrier
	s_and_saveexec_b64 s[2:3], s[0:1]
	s_cbranch_execz .LBB106_57
; %bb.56:
	v_mov_b32_e32 v17, 0
	ds_read_b128 v[9:12], v17
	ds_read_b128 v[13:16], v17 offset:16
	s_waitcnt lgkmcnt(0)
	v_add_f64 v[9:10], v[13:14], v[9:10]
	v_add_f64 v[11:12], v[15:16], v[11:12]
	ds_write_b128 v17, v[9:12]
.LBB106_57:
	s_or_b64 exec, exec, s[2:3]
	s_waitcnt lgkmcnt(0)
	s_barrier
	s_and_saveexec_b64 s[2:3], s[0:1]
	s_cbranch_execz .LBB106_70
; %bb.58:
	s_andn2_b64 vcc, exec, s[12:13]
	s_cbranch_vccnz .LBB106_64
; %bb.59:
	s_lshl_b64 s[0:1], s[10:11], 2
	s_add_u32 s0, s8, s0
	s_addc_u32 s1, s9, s1
	v_mov_b32_e32 v9, 0
	s_branch .LBB106_61
.LBB106_60:                             ;   in Loop: Header=BB106_61 Depth=1
	s_or_b64 exec, exec, s[8:9]
	s_waitcnt vmcnt(0)
	v_readfirstlane_b32 s8, v10
	v_cmp_eq_u32_e32 vcc, s8, v23
	s_cbranch_vccz .LBB106_63
.LBB106_61:                             ; =>This Inner Loop Header: Depth=1
	v_mbcnt_lo_u32_b32 v10, exec_lo, 0
	v_mbcnt_hi_u32_b32 v10, exec_hi, v10
	v_cmp_eq_u32_e32 vcc, 0, v10
                                        ; implicit-def: $vgpr10
	s_and_saveexec_b64 s[8:9], vcc
	s_cbranch_execz .LBB106_60
; %bb.62:                               ;   in Loop: Header=BB106_61 Depth=1
	global_load_dword v10, v9, s[0:1] glc
	s_branch .LBB106_60
.LBB106_63:
	v_mov_b32_e32 v9, 0
	global_load_ushort v10, v9, s[6:7]
	s_waitcnt vmcnt(0)
	v_xor_b32_e32 v10, 1, v10
	global_store_short v9, v10, s[6:7]
.LBB106_64:
	v_mov_b32_e32 v17, 0
	ds_read_b128 v[9:12], v17
	s_mov_b64 s[8:9], exec
	s_lshl_b64 s[0:1], s[36:37], 4
	v_mbcnt_lo_u32_b32 v13, s8, 0
	s_add_u32 s0, s22, s0
	v_mbcnt_hi_u32_b32 v13, s9, v13
	s_addc_u32 s1, s23, s1
	v_cmp_eq_u32_e32 vcc, 0, v13
	s_and_saveexec_b64 s[6:7], vcc
	s_cbranch_execz .LBB106_67
; %bb.65:
	global_load_dwordx2 v[15:16], v17, s[0:1]
	s_bcnt1_i32_b64 s8, s[8:9]
	v_cvt_f64_u32_e32 v[13:14], s8
	s_mov_b64 s[8:9], 0
	s_waitcnt lgkmcnt(0)
	v_mul_f64 v[9:10], v[9:10], v[13:14]
.LBB106_66:                             ; =>This Inner Loop Header: Depth=1
	s_waitcnt vmcnt(0)
	v_add_f64 v[13:14], v[15:16], v[9:10]
	global_atomic_cmpswap_x2 v[13:14], v17, v[13:16], s[0:1] glc
	s_waitcnt vmcnt(0)
	v_cmp_eq_u64_e32 vcc, v[13:14], v[15:16]
	v_mov_b32_e32 v16, v14
	s_or_b64 s[8:9], vcc, s[8:9]
	v_mov_b32_e32 v15, v13
	s_andn2_b64 exec, exec, s[8:9]
	s_cbranch_execnz .LBB106_66
.LBB106_67:
	s_or_b64 exec, exec, s[6:7]
	s_mov_b64 s[6:7], exec
	s_waitcnt lgkmcnt(0)
	v_mbcnt_lo_u32_b32 v9, s6, 0
	v_mbcnt_hi_u32_b32 v9, s7, v9
	v_cmp_eq_u32_e32 vcc, 0, v9
	s_and_b64 s[8:9], exec, vcc
	s_mov_b64 exec, s[8:9]
	s_cbranch_execz .LBB106_70
; %bb.68:
	v_mov_b32_e32 v15, 0
	global_load_dwordx2 v[13:14], v15, s[0:1] offset:8
	s_bcnt1_i32_b64 s6, s[6:7]
	v_cvt_f64_u32_e32 v[9:10], s6
	s_mov_b64 s[6:7], 0
	v_mul_f64 v[9:10], v[11:12], v[9:10]
.LBB106_69:                             ; =>This Inner Loop Header: Depth=1
	s_waitcnt vmcnt(0)
	v_add_f64 v[11:12], v[13:14], v[9:10]
	global_atomic_cmpswap_x2 v[11:12], v15, v[11:14], s[0:1] offset:8 glc
	s_waitcnt vmcnt(0)
	v_cmp_eq_u64_e32 vcc, v[11:12], v[13:14]
	v_mov_b32_e32 v14, v12
	s_or_b64 s[6:7], vcc, s[6:7]
	v_mov_b32_e32 v13, v11
	s_andn2_b64 exec, exec, s[6:7]
	s_cbranch_execnz .LBB106_69
.LBB106_70:
	s_or_b64 exec, exec, s[2:3]
.LBB106_71:
	s_mov_b64 s[2:3], 0
.LBB106_72:
	s_andn2_b64 vcc, exec, s[2:3]
	s_cbranch_vccnz .LBB106_116
; %bb.73:
	s_load_dwordx2 s[0:1], s[4:5], 0x8
	v_subrev_co_u32_e32 v9, vcc, s44, v0
	v_subb_co_u32_e64 v10, s[2:3], 0, 0, vcc
	s_waitcnt lgkmcnt(0)
	v_mov_b32_e32 v11, s41
	v_add_co_u32_e32 v9, vcc, s40, v9
	v_addc_co_u32_e32 v10, vcc, v11, v10, vcc
	v_add_co_u32_e32 v11, vcc, 0x300, v9
	v_addc_co_u32_e32 v12, vcc, 0, v10, vcc
	v_cmp_le_i64_e32 vcc, s[0:1], v[11:12]
	s_and_saveexec_b64 s[0:1], vcc
	s_xor_b64 s[2:3], exec, s[0:1]
	s_cbranch_execz .LBB106_78
; %bb.74:
	s_lshl_b64 s[0:1], s[38:39], 3
	s_add_u32 s0, s24, s0
	s_addc_u32 s1, s25, s1
	s_load_dwordx2 s[0:1], s[0:1], 0x0
	s_waitcnt lgkmcnt(0)
	s_sub_u32 s4, s0, s44
	s_subb_u32 s5, s1, 0
	v_cmp_gt_i64_e32 vcc, s[4:5], v[9:10]
	s_and_saveexec_b64 s[6:7], vcc
	s_cbranch_execz .LBB106_77
; %bb.75:
	s_mov_b32 s0, 0
	s_brev_b32 s1, 1
	v_mul_f64 v[11:12], v[7:8], s[0:1]
	v_mul_f64 v[13:14], v[5:6], 0
	v_lshlrev_b64 v[17:18], 3, v[9:10]
	v_mov_b32_e32 v16, s29
	v_add_co_u32_e32 v15, vcc, s28, v17
	v_addc_co_u32_e32 v16, vcc, v16, v18, vcc
	v_mov_b32_e32 v20, s27
	v_add_co_u32_e32 v17, vcc, s26, v17
	v_lshlrev_b32_e32 v19, 4, v0
	s_mov_b64 s[8:9], 0
	v_addc_co_u32_e32 v18, vcc, v20, v18, vcc
	v_mov_b32_e32 v20, s31
	s_movk_i32 s10, 0x100
.LBB106_76:                             ; =>This Inner Loop Header: Depth=1
	global_load_dwordx2 v[21:22], v[17:18], off
	global_load_dwordx2 v[25:26], v[15:16], off
	s_waitcnt vmcnt(1)
	v_subrev_co_u32_e32 v21, vcc, s44, v21
	v_subbrev_co_u32_e32 v22, vcc, 0, v22, vcc
	v_lshlrev_b64 v[21:22], 4, v[21:22]
	s_waitcnt vmcnt(0)
	v_fma_f64 v[27:28], v[7:8], v[25:26], v[13:14]
	v_add_co_u32_e32 v21, vcc, s30, v21
	v_addc_co_u32_e32 v22, vcc, v20, v22, vcc
	global_load_dwordx4 v[21:24], v[21:22], off
	v_fma_f64 v[25:26], v[5:6], v[25:26], v[11:12]
	v_add_co_u32_e32 v9, vcc, s10, v9
	v_addc_co_u32_e32 v10, vcc, 0, v10, vcc
	v_add_co_u32_e32 v15, vcc, 0x800, v15
	v_addc_co_u32_e32 v16, vcc, 0, v16, vcc
	v_cmp_le_i64_e64 s[0:1], s[4:5], v[9:10]
	v_add_co_u32_e32 v17, vcc, 0x800, v17
	v_addc_co_u32_e32 v18, vcc, 0, v18, vcc
	s_or_b64 s[8:9], s[0:1], s[8:9]
	s_waitcnt vmcnt(0)
	v_mul_f64 v[29:30], v[23:24], -v[27:28]
	v_mul_f64 v[31:32], v[25:26], v[23:24]
	v_fma_f64 v[23:24], v[25:26], v[21:22], v[29:30]
	v_fma_f64 v[25:26], v[27:28], v[21:22], v[31:32]
	ds_write_b128 v19, v[23:26]
	v_add_u32_e32 v19, 0x1000, v19
	s_andn2_b64 exec, exec, s[8:9]
	s_cbranch_execnz .LBB106_76
.LBB106_77:
	s_or_b64 exec, exec, s[6:7]
                                        ; implicit-def: $vgpr7_vgpr8
                                        ; implicit-def: $vgpr9_vgpr10
.LBB106_78:
	s_or_saveexec_b64 s[0:1], s[2:3]
	v_lshlrev_b32_e32 v17, 4, v0
	s_xor_b64 exec, exec, s[0:1]
	s_cbranch_execz .LBB106_80
; %bb.79:
	v_lshlrev_b64 v[9:10], 3, v[9:10]
	v_mov_b32_e32 v12, s27
	v_add_co_u32_e32 v11, vcc, s26, v9
	v_addc_co_u32_e32 v12, vcc, v12, v10, vcc
	global_load_dwordx2 v[13:14], v[11:12], off
	global_load_dwordx2 v[15:16], v[11:12], off offset:2048
	s_movk_i32 s2, 0x1000
	v_add_co_u32_e32 v11, vcc, s2, v11
	v_addc_co_u32_e32 v12, vcc, 0, v12, vcc
	global_load_dwordx2 v[18:19], v[11:12], off
	global_load_dwordx2 v[20:21], v[11:12], off offset:2048
	v_mov_b32_e32 v11, s29
	v_add_co_u32_e32 v9, vcc, s28, v9
	v_addc_co_u32_e32 v10, vcc, v11, v10, vcc
	global_load_dwordx2 v[26:27], v[9:10], off
	global_load_dwordx2 v[28:29], v[9:10], off offset:2048
	v_add_co_u32_e32 v9, vcc, s2, v9
	v_addc_co_u32_e32 v10, vcc, 0, v10, vcc
	global_load_dwordx2 v[30:31], v[9:10], off
	global_load_dwordx2 v[32:33], v[9:10], off offset:2048
	v_mov_b32_e32 v24, s31
	v_mov_b32_e32 v25, s31
	;; [unrolled: 1-line block ×4, first 2 shown]
	s_mov_b32 s2, 0
	s_brev_b32 s3, 1
	v_mul_f64 v[36:37], v[7:8], s[2:3]
	s_waitcnt vmcnt(7)
	v_subrev_co_u32_e32 v9, vcc, s44, v13
	v_subbrev_co_u32_e32 v10, vcc, 0, v14, vcc
	s_waitcnt vmcnt(6)
	v_subrev_co_u32_e32 v11, vcc, s44, v15
	v_subbrev_co_u32_e32 v12, vcc, 0, v16, vcc
	;; [unrolled: 3-line block ×3, first 2 shown]
	v_lshlrev_b64 v[9:10], 4, v[9:10]
	s_waitcnt vmcnt(4)
	v_subrev_co_u32_e32 v15, vcc, s44, v20
	v_subbrev_co_u32_e32 v16, vcc, 0, v21, vcc
	v_lshlrev_b64 v[11:12], 4, v[11:12]
	v_add_co_u32_e32 v20, vcc, s30, v9
	v_addc_co_u32_e32 v21, vcc, v24, v10, vcc
	v_lshlrev_b64 v[18:19], 4, v[13:14]
	v_add_co_u32_e32 v24, vcc, s30, v11
	v_addc_co_u32_e32 v25, vcc, v25, v12, vcc
	;; [unrolled: 3-line block ×3, first 2 shown]
	global_load_dwordx4 v[9:12], v[20:21], off
	global_load_dwordx4 v[13:16], v[24:25], off
	v_add_co_u32_e32 v22, vcc, s30, v22
	global_load_dwordx4 v[18:21], v[18:19], off
	v_addc_co_u32_e32 v23, vcc, v35, v23, vcc
	global_load_dwordx4 v[22:25], v[22:23], off
	v_mul_f64 v[34:35], v[5:6], 0
	s_waitcnt vmcnt(7)
	v_fma_f64 v[38:39], v[7:8], v[26:27], v[34:35]
	v_fma_f64 v[26:27], v[5:6], v[26:27], v[36:37]
	s_waitcnt vmcnt(6)
	v_fma_f64 v[40:41], v[7:8], v[28:29], v[34:35]
	v_fma_f64 v[28:29], v[5:6], v[28:29], v[36:37]
	;; [unrolled: 3-line block ×4, first 2 shown]
	s_waitcnt vmcnt(3)
	v_mul_f64 v[5:6], v[11:12], -v[38:39]
	v_mul_f64 v[7:8], v[26:27], v[11:12]
	s_waitcnt vmcnt(2)
	v_mul_f64 v[11:12], v[15:16], -v[40:41]
	v_mul_f64 v[15:16], v[28:29], v[15:16]
	;; [unrolled: 3-line block ×4, first 2 shown]
	v_fma_f64 v[5:6], v[26:27], v[9:10], v[5:6]
	v_fma_f64 v[7:8], v[38:39], v[9:10], v[7:8]
	;; [unrolled: 1-line block ×8, first 2 shown]
	ds_write_b128 v17, v[5:8]
	ds_write_b128 v17, v[9:12] offset:4096
	ds_write_b128 v17, v[13:16] offset:8192
	;; [unrolled: 1-line block ×3, first 2 shown]
.LBB106_80:
	s_or_b64 exec, exec, s[0:1]
	v_cmp_lt_i64_e64 s[2:3], s[34:35], 2
	s_mov_b64 s[0:1], -1
	s_and_b64 vcc, exec, s[2:3]
	s_waitcnt vmcnt(0) lgkmcnt(0)
	s_barrier
	s_cbranch_vccz .LBB106_91
; %bb.81:
	v_mov_b32_e32 v5, s37
	v_add_co_u32_e32 v13, vcc, s36, v0
	v_addc_co_u32_e32 v14, vcc, 0, v5, vcc
	v_cmp_gt_i64_e32 vcc, s[38:39], v[13:14]
	s_and_saveexec_b64 s[2:3], vcc
	s_cbranch_execz .LBB106_90
; %bb.82:
	v_cmp_neq_f64_e32 vcc, 0, v[1:2]
	v_cmp_neq_f64_e64 s[0:1], 0, v[3:4]
	s_lshl_b32 s6, s40, 4
	s_mov_b64 s[4:5], 0
	v_mov_b32_e32 v18, s25
	s_sub_i32 s10, 0, s6
	v_mov_b32_e32 v19, s23
	s_or_b64 s[6:7], vcc, s[0:1]
	s_branch .LBB106_84
.LBB106_83:                             ;   in Loop: Header=BB106_84 Depth=1
	s_or_b64 exec, exec, s[0:1]
	v_add_co_u32_e32 v13, vcc, 0x100, v13
	v_addc_co_u32_e32 v14, vcc, 0, v14, vcc
	v_cmp_le_i64_e32 vcc, s[38:39], v[13:14]
	v_add_co_u32_e64 v9, s[0:1], s22, v9
	v_addc_co_u32_e64 v10, s[0:1], v19, v10, s[0:1]
	s_or_b64 s[4:5], vcc, s[4:5]
	global_store_dwordx4 v[9:10], v[5:8], off
	s_andn2_b64 exec, exec, s[4:5]
	s_cbranch_execz .LBB106_90
.LBB106_84:                             ; =>This Loop Header: Depth=1
                                        ;     Child Loop BB106_86 Depth 2
	v_lshlrev_b64 v[5:6], 3, v[13:14]
	v_mov_b32_e32 v7, 0
	v_add_co_u32_e32 v5, vcc, s24, v5
	v_addc_co_u32_e32 v6, vcc, v18, v6, vcc
	global_load_dwordx4 v[9:12], v[5:6], off
	v_mov_b32_e32 v5, 0
	v_mov_b32_e32 v8, 0
	;; [unrolled: 1-line block ×3, first 2 shown]
	s_waitcnt vmcnt(0)
	v_cmp_lt_i64_e32 vcc, v[9:10], v[11:12]
	s_and_saveexec_b64 s[0:1], vcc
	s_cbranch_execz .LBB106_88
; %bb.85:                               ;   in Loop: Header=BB106_84 Depth=1
	v_mov_b32_e32 v5, s41
	v_subrev_co_u32_e32 v11, vcc, s40, v11
	v_subb_co_u32_e32 v12, vcc, v12, v5, vcc
	v_subrev_co_u32_e32 v15, vcc, s40, v9
	v_mov_b32_e32 v7, 0
	v_subb_co_u32_e32 v16, vcc, v10, v5, vcc
	v_mov_b32_e32 v8, 0
	v_mov_b32_e32 v5, v7
	v_lshl_add_u32 v9, v9, 4, s10
	s_mov_b64 s[8:9], 0
	v_mov_b32_e32 v6, v8
.LBB106_86:                             ;   Parent Loop BB106_84 Depth=1
                                        ; =>  This Inner Loop Header: Depth=2
	ds_read_b128 v[20:23], v9
	v_add_co_u32_e32 v15, vcc, 1, v15
	v_addc_co_u32_e32 v16, vcc, 0, v16, vcc
	s_waitcnt lgkmcnt(0)
	v_add_f64 v[5:6], v[5:6], v[20:21]
	v_add_f64 v[7:8], v[7:8], v[22:23]
	v_cmp_ge_i64_e32 vcc, v[15:16], v[11:12]
	v_add_u32_e32 v9, 16, v9
	s_or_b64 s[8:9], vcc, s[8:9]
	s_andn2_b64 exec, exec, s[8:9]
	s_cbranch_execnz .LBB106_86
; %bb.87:                               ;   in Loop: Header=BB106_84 Depth=1
	s_or_b64 exec, exec, s[8:9]
.LBB106_88:                             ;   in Loop: Header=BB106_84 Depth=1
	s_or_b64 exec, exec, s[0:1]
	v_lshlrev_b64 v[9:10], 4, v[13:14]
	s_and_saveexec_b64 s[0:1], s[6:7]
	s_cbranch_execz .LBB106_83
; %bb.89:                               ;   in Loop: Header=BB106_84 Depth=1
	v_mov_b32_e32 v12, s23
	v_add_co_u32_e32 v11, vcc, s22, v9
	v_addc_co_u32_e32 v12, vcc, v12, v10, vcc
	global_load_dwordx4 v[20:23], v[11:12], off
	s_waitcnt vmcnt(0)
	v_fma_f64 v[5:6], v[1:2], v[20:21], v[5:6]
	v_fma_f64 v[7:8], v[3:4], v[20:21], v[7:8]
	v_fma_f64 v[5:6], -v[3:4], v[22:23], v[5:6]
	v_fma_f64 v[7:8], v[1:2], v[22:23], v[7:8]
	s_branch .LBB106_83
.LBB106_90:
	s_or_b64 exec, exec, s[2:3]
	s_mov_b64 s[0:1], 0
.LBB106_91:
	s_andn2_b64 vcc, exec, s[0:1]
	s_cbranch_vccnz .LBB106_116
; %bb.92:
	s_flbit_i32_b32 s0, s34
	s_min_u32 s0, s0, 32
	s_sub_i32 s0, 31, s0
	v_lshrrev_b32_e32 v13, s0, v0
	v_mov_b32_e32 v5, s37
	v_add_co_u32_e32 v9, vcc, s36, v13
	v_addc_co_u32_e32 v10, vcc, 0, v5, vcc
	v_mov_b32_e32 v5, 0
	s_add_i32 s0, s34, -1
	v_mov_b32_e32 v6, 0
	v_and_b32_e32 v11, s0, v0
	v_cmp_le_i64_e64 s[0:1], s[38:39], v[9:10]
	v_cmp_gt_i64_e32 vcc, s[38:39], v[9:10]
	v_mov_b32_e32 v8, v6
	v_mov_b32_e32 v12, 0
	;; [unrolled: 1-line block ×3, first 2 shown]
	s_and_saveexec_b64 s[2:3], vcc
	s_cbranch_execz .LBB106_98
; %bb.93:
	v_lshlrev_b32_e32 v0, 3, v13
	global_load_dwordx4 v[18:21], v0, s[42:43]
	v_mov_b32_e32 v5, s41
	v_subrev_co_u32_e32 v6, vcc, s40, v11
	v_subb_co_u32_e32 v5, vcc, 0, v5, vcc
	v_mov_b32_e32 v0, s41
	v_mov_b32_e32 v7, 0
	;; [unrolled: 1-line block ×3, first 2 shown]
	s_waitcnt vmcnt(0)
	v_subrev_co_u32_e32 v13, vcc, s40, v20
	v_subb_co_u32_e32 v14, vcc, v21, v0, vcc
	v_add_co_u32_e32 v15, vcc, v18, v6
	v_addc_co_u32_e32 v16, vcc, v19, v5, vcc
	v_cmp_lt_i64_e32 vcc, v[15:16], v[13:14]
	v_mov_b32_e32 v5, 0
	v_mov_b32_e32 v6, 0
	s_and_saveexec_b64 s[4:5], vcc
	s_cbranch_execz .LBB106_97
; %bb.94:
	v_mov_b32_e32 v7, 0
	v_mov_b32_e32 v8, 0
	v_mov_b32_e32 v5, v7
	v_lshlrev_b32_e32 v0, 4, v15
	s_lshl_b32 s8, s34, 4
	s_mov_b64 s[6:7], 0
	v_mov_b32_e32 v18, s35
	v_mov_b32_e32 v6, v8
.LBB106_95:                             ; =>This Inner Loop Header: Depth=1
	ds_read_b128 v[19:22], v0
	v_add_co_u32_e32 v15, vcc, s34, v15
	v_addc_co_u32_e32 v16, vcc, v16, v18, vcc
	s_waitcnt lgkmcnt(0)
	v_add_f64 v[5:6], v[5:6], v[19:20]
	v_add_f64 v[7:8], v[7:8], v[21:22]
	v_cmp_ge_i64_e32 vcc, v[15:16], v[13:14]
	v_add_u32_e32 v0, s8, v0
	s_or_b64 s[6:7], vcc, s[6:7]
	s_andn2_b64 exec, exec, s[6:7]
	s_cbranch_execnz .LBB106_95
; %bb.96:
	s_or_b64 exec, exec, s[6:7]
.LBB106_97:
	s_or_b64 exec, exec, s[4:5]
.LBB106_98:
	s_or_b64 exec, exec, s[2:3]
	v_mov_b32_e32 v13, 0x81
	v_mov_b32_e32 v14, 0
	v_cmp_lt_u64_e32 vcc, s[34:35], v[13:14]
	s_and_b64 vcc, exec, vcc
	s_waitcnt vmcnt(0)
	s_barrier
	ds_write_b128 v17, v[5:8]
	s_waitcnt lgkmcnt(0)
	s_barrier
	s_cbranch_vccnz .LBB106_100
; %bb.99:
	ds_read_b128 v[13:16], v17 offset:2048
	s_waitcnt lgkmcnt(0)
	s_barrier
	v_add_f64 v[5:6], v[5:6], v[13:14]
	v_add_f64 v[7:8], v[7:8], v[15:16]
	ds_write_b128 v17, v[5:8]
.LBB106_100:
	v_mov_b32_e32 v13, 0x41
	v_mov_b32_e32 v14, 0
	v_cmp_lt_u64_e32 vcc, s[34:35], v[13:14]
	s_waitcnt lgkmcnt(0)
	s_barrier
	s_cbranch_vccnz .LBB106_102
; %bb.101:
	ds_read_b128 v[13:16], v17 offset:1024
	s_waitcnt lgkmcnt(0)
	s_barrier
	v_add_f64 v[5:6], v[5:6], v[13:14]
	v_add_f64 v[7:8], v[7:8], v[15:16]
	ds_write_b128 v17, v[5:8]
.LBB106_102:
	v_cmp_lt_u64_e64 s[2:3], s[34:35], 33
	s_waitcnt lgkmcnt(0)
	s_and_b64 vcc, exec, s[2:3]
	s_barrier
	s_cbranch_vccnz .LBB106_104
; %bb.103:
	ds_read_b128 v[13:16], v17 offset:512
	s_waitcnt lgkmcnt(0)
	s_barrier
	v_add_f64 v[5:6], v[5:6], v[13:14]
	v_add_f64 v[7:8], v[7:8], v[15:16]
	ds_write_b128 v17, v[5:8]
.LBB106_104:
	v_cmp_lt_u64_e64 s[2:3], s[34:35], 17
	s_waitcnt lgkmcnt(0)
	s_and_b64 vcc, exec, s[2:3]
	;; [unrolled: 13-line block ×4, first 2 shown]
	s_barrier
	s_cbranch_vccnz .LBB106_110
; %bb.109:
	ds_read_b128 v[13:16], v17 offset:64
	s_waitcnt lgkmcnt(0)
	s_barrier
	v_add_f64 v[5:6], v[5:6], v[13:14]
	v_add_f64 v[7:8], v[7:8], v[15:16]
	ds_write_b128 v17, v[5:8]
.LBB106_110:
	s_cmp_eq_u64 s[34:35], 2
	s_waitcnt lgkmcnt(0)
	s_barrier
	s_cbranch_scc1 .LBB106_112
; %bb.111:
	ds_read_b128 v[13:16], v17 offset:32
	s_waitcnt lgkmcnt(0)
	s_barrier
	v_add_f64 v[5:6], v[5:6], v[13:14]
	v_add_f64 v[7:8], v[7:8], v[15:16]
	ds_write_b128 v17, v[5:8]
.LBB106_112:
	s_waitcnt lgkmcnt(0)
	s_barrier
	ds_read_b128 v[13:16], v17 offset:16
	v_cmp_eq_u64_e32 vcc, 0, v[11:12]
	s_xor_b64 s[0:1], s[0:1], -1
	s_and_b64 s[0:1], vcc, s[0:1]
	s_waitcnt lgkmcnt(0)
	v_add_f64 v[5:6], v[5:6], v[13:14]
	v_add_f64 v[7:8], v[7:8], v[15:16]
	s_barrier
	ds_write_b128 v17, v[5:8]
	s_and_b64 exec, exec, s[0:1]
	s_cbranch_execz .LBB106_116
; %bb.113:
	v_cmp_neq_f64_e32 vcc, 0, v[1:2]
	v_cmp_neq_f64_e64 s[0:1], 0, v[3:4]
	v_lshlrev_b64 v[9:10], 4, v[9:10]
	s_or_b64 s[2:3], vcc, s[0:1]
	s_and_saveexec_b64 s[0:1], s[2:3]
	s_cbranch_execz .LBB106_115
; %bb.114:
	v_mov_b32_e32 v0, s23
	v_add_co_u32_e32 v11, vcc, s22, v9
	v_addc_co_u32_e32 v12, vcc, v0, v10, vcc
	global_load_dwordx4 v[11:14], v[11:12], off
	s_waitcnt vmcnt(0)
	v_fma_f64 v[5:6], v[1:2], v[11:12], v[5:6]
	v_fma_f64 v[7:8], v[3:4], v[11:12], v[7:8]
	v_fma_f64 v[5:6], -v[3:4], v[13:14], v[5:6]
	v_fma_f64 v[7:8], v[1:2], v[13:14], v[7:8]
.LBB106_115:
	s_or_b64 exec, exec, s[0:1]
	v_mov_b32_e32 v1, s23
	v_add_co_u32_e32 v0, vcc, s22, v9
	v_addc_co_u32_e32 v1, vcc, v1, v10, vcc
	global_store_dwordx4 v[0:1], v[5:8], off
.LBB106_116:
	s_endpgm
	.section	.rodata,"a",@progbits
	.p2align	6, 0x0
	.amdhsa_kernel _ZN9rocsparseL22csrmvn_adaptive_kernelIlld21rocsparse_complex_numIdES2_S2_EEvbT_PKS3_PjPKT0_NS_24const_host_device_scalarIT4_EES5_S9_PKT1_PKT2_SC_PT3_21rocsparse_index_base_b
		.amdhsa_group_segment_fixed_size 16384
		.amdhsa_private_segment_fixed_size 0
		.amdhsa_kernarg_size 120
		.amdhsa_user_sgpr_count 6
		.amdhsa_user_sgpr_private_segment_buffer 1
		.amdhsa_user_sgpr_dispatch_ptr 0
		.amdhsa_user_sgpr_queue_ptr 0
		.amdhsa_user_sgpr_kernarg_segment_ptr 1
		.amdhsa_user_sgpr_dispatch_id 0
		.amdhsa_user_sgpr_flat_scratch_init 0
		.amdhsa_user_sgpr_private_segment_size 0
		.amdhsa_uses_dynamic_stack 0
		.amdhsa_system_sgpr_private_segment_wavefront_offset 0
		.amdhsa_system_sgpr_workgroup_id_x 1
		.amdhsa_system_sgpr_workgroup_id_y 0
		.amdhsa_system_sgpr_workgroup_id_z 0
		.amdhsa_system_sgpr_workgroup_info 0
		.amdhsa_system_vgpr_workitem_id 0
		.amdhsa_next_free_vgpr 49
		.amdhsa_next_free_sgpr 98
		.amdhsa_reserve_vcc 1
		.amdhsa_reserve_flat_scratch 0
		.amdhsa_float_round_mode_32 0
		.amdhsa_float_round_mode_16_64 0
		.amdhsa_float_denorm_mode_32 3
		.amdhsa_float_denorm_mode_16_64 3
		.amdhsa_dx10_clamp 1
		.amdhsa_ieee_mode 1
		.amdhsa_fp16_overflow 0
		.amdhsa_exception_fp_ieee_invalid_op 0
		.amdhsa_exception_fp_denorm_src 0
		.amdhsa_exception_fp_ieee_div_zero 0
		.amdhsa_exception_fp_ieee_overflow 0
		.amdhsa_exception_fp_ieee_underflow 0
		.amdhsa_exception_fp_ieee_inexact 0
		.amdhsa_exception_int_div_zero 0
	.end_amdhsa_kernel
	.section	.text._ZN9rocsparseL22csrmvn_adaptive_kernelIlld21rocsparse_complex_numIdES2_S2_EEvbT_PKS3_PjPKT0_NS_24const_host_device_scalarIT4_EES5_S9_PKT1_PKT2_SC_PT3_21rocsparse_index_base_b,"axG",@progbits,_ZN9rocsparseL22csrmvn_adaptive_kernelIlld21rocsparse_complex_numIdES2_S2_EEvbT_PKS3_PjPKT0_NS_24const_host_device_scalarIT4_EES5_S9_PKT1_PKT2_SC_PT3_21rocsparse_index_base_b,comdat
.Lfunc_end106:
	.size	_ZN9rocsparseL22csrmvn_adaptive_kernelIlld21rocsparse_complex_numIdES2_S2_EEvbT_PKS3_PjPKT0_NS_24const_host_device_scalarIT4_EES5_S9_PKT1_PKT2_SC_PT3_21rocsparse_index_base_b, .Lfunc_end106-_ZN9rocsparseL22csrmvn_adaptive_kernelIlld21rocsparse_complex_numIdES2_S2_EEvbT_PKS3_PjPKT0_NS_24const_host_device_scalarIT4_EES5_S9_PKT1_PKT2_SC_PT3_21rocsparse_index_base_b
                                        ; -- End function
	.set _ZN9rocsparseL22csrmvn_adaptive_kernelIlld21rocsparse_complex_numIdES2_S2_EEvbT_PKS3_PjPKT0_NS_24const_host_device_scalarIT4_EES5_S9_PKT1_PKT2_SC_PT3_21rocsparse_index_base_b.num_vgpr, 46
	.set _ZN9rocsparseL22csrmvn_adaptive_kernelIlld21rocsparse_complex_numIdES2_S2_EEvbT_PKS3_PjPKT0_NS_24const_host_device_scalarIT4_EES5_S9_PKT1_PKT2_SC_PT3_21rocsparse_index_base_b.num_agpr, 0
	.set _ZN9rocsparseL22csrmvn_adaptive_kernelIlld21rocsparse_complex_numIdES2_S2_EEvbT_PKS3_PjPKT0_NS_24const_host_device_scalarIT4_EES5_S9_PKT1_PKT2_SC_PT3_21rocsparse_index_base_b.numbered_sgpr, 56
	.set _ZN9rocsparseL22csrmvn_adaptive_kernelIlld21rocsparse_complex_numIdES2_S2_EEvbT_PKS3_PjPKT0_NS_24const_host_device_scalarIT4_EES5_S9_PKT1_PKT2_SC_PT3_21rocsparse_index_base_b.num_named_barrier, 0
	.set _ZN9rocsparseL22csrmvn_adaptive_kernelIlld21rocsparse_complex_numIdES2_S2_EEvbT_PKS3_PjPKT0_NS_24const_host_device_scalarIT4_EES5_S9_PKT1_PKT2_SC_PT3_21rocsparse_index_base_b.private_seg_size, 0
	.set _ZN9rocsparseL22csrmvn_adaptive_kernelIlld21rocsparse_complex_numIdES2_S2_EEvbT_PKS3_PjPKT0_NS_24const_host_device_scalarIT4_EES5_S9_PKT1_PKT2_SC_PT3_21rocsparse_index_base_b.uses_vcc, 1
	.set _ZN9rocsparseL22csrmvn_adaptive_kernelIlld21rocsparse_complex_numIdES2_S2_EEvbT_PKS3_PjPKT0_NS_24const_host_device_scalarIT4_EES5_S9_PKT1_PKT2_SC_PT3_21rocsparse_index_base_b.uses_flat_scratch, 0
	.set _ZN9rocsparseL22csrmvn_adaptive_kernelIlld21rocsparse_complex_numIdES2_S2_EEvbT_PKS3_PjPKT0_NS_24const_host_device_scalarIT4_EES5_S9_PKT1_PKT2_SC_PT3_21rocsparse_index_base_b.has_dyn_sized_stack, 0
	.set _ZN9rocsparseL22csrmvn_adaptive_kernelIlld21rocsparse_complex_numIdES2_S2_EEvbT_PKS3_PjPKT0_NS_24const_host_device_scalarIT4_EES5_S9_PKT1_PKT2_SC_PT3_21rocsparse_index_base_b.has_recursion, 0
	.set _ZN9rocsparseL22csrmvn_adaptive_kernelIlld21rocsparse_complex_numIdES2_S2_EEvbT_PKS3_PjPKT0_NS_24const_host_device_scalarIT4_EES5_S9_PKT1_PKT2_SC_PT3_21rocsparse_index_base_b.has_indirect_call, 0
	.section	.AMDGPU.csdata,"",@progbits
; Kernel info:
; codeLenInByte = 5264
; TotalNumSgprs: 60
; NumVgprs: 46
; ScratchSize: 0
; MemoryBound: 0
; FloatMode: 240
; IeeeMode: 1
; LDSByteSize: 16384 bytes/workgroup (compile time only)
; SGPRBlocks: 12
; VGPRBlocks: 12
; NumSGPRsForWavesPerEU: 102
; NumVGPRsForWavesPerEU: 49
; Occupancy: 4
; WaveLimiterHint : 1
; COMPUTE_PGM_RSRC2:SCRATCH_EN: 0
; COMPUTE_PGM_RSRC2:USER_SGPR: 6
; COMPUTE_PGM_RSRC2:TRAP_HANDLER: 0
; COMPUTE_PGM_RSRC2:TGID_X_EN: 1
; COMPUTE_PGM_RSRC2:TGID_Y_EN: 0
; COMPUTE_PGM_RSRC2:TGID_Z_EN: 0
; COMPUTE_PGM_RSRC2:TIDIG_COMP_CNT: 0
	.section	.text._ZN9rocsparseL27csrmvn_symm_adaptive_kernelIlld21rocsparse_complex_numIdES2_S2_EEvbT_S3_PKS3_NS_24const_host_device_scalarIT4_EES5_PKT0_PKT1_PKT2_S8_PT3_21rocsparse_index_base_b,"axG",@progbits,_ZN9rocsparseL27csrmvn_symm_adaptive_kernelIlld21rocsparse_complex_numIdES2_S2_EEvbT_S3_PKS3_NS_24const_host_device_scalarIT4_EES5_PKT0_PKT1_PKT2_S8_PT3_21rocsparse_index_base_b,comdat
	.globl	_ZN9rocsparseL27csrmvn_symm_adaptive_kernelIlld21rocsparse_complex_numIdES2_S2_EEvbT_S3_PKS3_NS_24const_host_device_scalarIT4_EES5_PKT0_PKT1_PKT2_S8_PT3_21rocsparse_index_base_b ; -- Begin function _ZN9rocsparseL27csrmvn_symm_adaptive_kernelIlld21rocsparse_complex_numIdES2_S2_EEvbT_S3_PKS3_NS_24const_host_device_scalarIT4_EES5_PKT0_PKT1_PKT2_S8_PT3_21rocsparse_index_base_b
	.p2align	8
	.type	_ZN9rocsparseL27csrmvn_symm_adaptive_kernelIlld21rocsparse_complex_numIdES2_S2_EEvbT_S3_PKS3_NS_24const_host_device_scalarIT4_EES5_PKT0_PKT1_PKT2_S8_PT3_21rocsparse_index_base_b,@function
_ZN9rocsparseL27csrmvn_symm_adaptive_kernelIlld21rocsparse_complex_numIdES2_S2_EEvbT_S3_PKS3_NS_24const_host_device_scalarIT4_EES5_PKT0_PKT1_PKT2_S8_PT3_21rocsparse_index_base_b: ; @_ZN9rocsparseL27csrmvn_symm_adaptive_kernelIlld21rocsparse_complex_numIdES2_S2_EEvbT_S3_PKS3_NS_24const_host_device_scalarIT4_EES5_PKT0_PKT1_PKT2_S8_PT3_21rocsparse_index_base_b
; %bb.0:
	s_load_dwordx2 s[30:31], s[4:5], 0x68
	s_load_dwordx2 s[0:1], s[4:5], 0x20
	s_add_u32 s7, s4, 32
	s_addc_u32 s10, s5, 0
	s_waitcnt lgkmcnt(0)
	s_bitcmp1_b32 s31, 0
	s_cselect_b64 s[8:9], -1, 0
	s_and_b64 s[2:3], s[8:9], exec
	s_cselect_b32 s1, s10, s1
	s_cselect_b32 s0, s7, s0
	v_mov_b32_e32 v1, s0
	v_mov_b32_e32 v2, s1
	flat_load_dwordx4 v[2:5], v[1:2]
	s_waitcnt vmcnt(0) lgkmcnt(0)
	v_cmp_eq_f64_e32 vcc, 0, v[2:3]
	v_cmp_eq_f64_e64 s[0:1], 0, v[4:5]
	s_and_b64 s[10:11], vcc, s[0:1]
	s_mov_b64 s[0:1], -1
	s_and_saveexec_b64 s[2:3], s[10:11]
	s_cbranch_execz .LBB107_2
; %bb.1:
	s_load_dwordx2 s[0:1], s[4:5], 0x50
	s_add_u32 s7, s4, 0x50
	s_addc_u32 s10, s5, 0
	s_and_b64 s[8:9], s[8:9], exec
	s_waitcnt lgkmcnt(0)
	s_cselect_b32 s1, s10, s1
	s_cselect_b32 s0, s7, s0
	v_mov_b32_e32 v6, s0
	v_mov_b32_e32 v7, s1
	flat_load_dwordx4 v[6:9], v[6:7]
	s_waitcnt vmcnt(0) lgkmcnt(0)
	v_cmp_neq_f64_e32 vcc, 1.0, v[6:7]
	v_cmp_neq_f64_e64 s[0:1], 0, v[8:9]
	s_or_b64 s[0:1], vcc, s[0:1]
	s_orn2_b64 s[0:1], s[0:1], exec
.LBB107_2:
	s_or_b64 exec, exec, s[2:3]
	s_and_saveexec_b64 s[2:3], s[0:1]
	s_cbranch_execz .LBB107_199
; %bb.3:
	s_load_dwordx2 s[8:9], s[4:5], 0x18
	s_mov_b32 s0, 0
	s_mov_b32 s3, s0
	;; [unrolled: 1-line block ×4, first 2 shown]
	v_mov_b32_e32 v9, s3
	s_ashr_i32 s7, s6, 31
	v_mov_b32_e32 v8, s2
	v_mov_b32_e32 v7, s1
	;; [unrolled: 1-line block ×3, first 2 shown]
	s_lshl_b64 s[0:1], s[6:7], 3
	s_waitcnt lgkmcnt(0)
	s_add_u32 s0, s8, s0
	v_lshlrev_b32_e32 v28, 4, v0
	s_addc_u32 s1, s9, s1
	ds_write_b128 v28, v[6:9]
	ds_write_b128 v28, v[6:9] offset:4096
	ds_write_b128 v28, v[6:9] offset:8192
	;; [unrolled: 1-line block ×3, first 2 shown]
	s_waitcnt lgkmcnt(0)
	s_barrier
	s_load_dwordx4 s[24:27], s[0:1], 0x0
	s_load_dwordx2 s[14:15], s[4:5], 0x60
	s_load_dwordx8 s[16:23], s[4:5], 0x30
	s_mov_b64 s[0:1], -1
	s_waitcnt lgkmcnt(0)
	s_sub_u32 s28, s26, s24
	s_subb_u32 s29, s27, s25
	v_cmp_gt_i64_e64 s[2:3], s[28:29], 2
	s_and_b64 vcc, exec, s[2:3]
	s_cbranch_vccnz .LBB107_47
; %bb.4:
	v_mov_b32_e32 v6, s24
	v_mov_b32_e32 v7, s25
	v_cmp_le_i64_e32 vcc, s[26:27], v[6:7]
	v_subrev_co_u32_e64 v1, s[0:1], s30, v0
	v_mov_b32_e32 v19, 0
	v_subb_co_u32_e64 v18, s[0:1], 0, 0, s[0:1]
	s_cbranch_vccnz .LBB107_34
; %bb.5:
	s_movk_i32 s31, 0x100
	s_mov_b32 s34, 0
	v_mov_b32_e32 v14, s26
	v_cmp_gt_u32_e64 s[0:1], s31, v0
	v_cmp_gt_u32_e64 s[2:3], 64, v0
	;; [unrolled: 1-line block ×4, first 2 shown]
	v_cmp_eq_u32_e64 s[10:11], 0, v0
	s_brev_b32 s35, 1
	v_mov_b32_e32 v15, s27
	s_mov_b64 s[36:37], s[24:25]
	s_branch .LBB107_7
.LBB107_6:                              ;   in Loop: Header=BB107_7 Depth=1
	s_or_b64 exec, exec, s[12:13]
	s_add_u32 s36, s36, 1
	s_addc_u32 s37, s37, 0
	v_cmp_ge_i64_e32 vcc, s[36:37], v[14:15]
	s_cbranch_vccnz .LBB107_34
.LBB107_7:                              ; =>This Loop Header: Depth=1
                                        ;     Child Loop BB107_9 Depth 2
                                        ;     Child Loop BB107_23 Depth 2
	;; [unrolled: 1-line block ×5, first 2 shown]
	s_lshl_b64 s[12:13], s[36:37], 3
	s_add_u32 s12, s16, s12
	s_addc_u32 s13, s17, s13
	s_load_dwordx4 s[40:43], s[12:13], 0x0
	v_mov_b32_e32 v8, 0
	v_mov_b32_e32 v9, 0
	s_waitcnt lgkmcnt(0)
	s_sub_u32 s38, s42, s30
	v_mov_b32_e32 v6, s41
	v_add_co_u32_e32 v10, vcc, s40, v1
	s_subb_u32 s39, s43, 0
	v_addc_co_u32_e32 v11, vcc, v6, v18, vcc
	v_cmp_gt_i64_e32 vcc, s[38:39], v[10:11]
	v_mov_b32_e32 v6, 0
	v_mov_b32_e32 v7, 0
	s_and_saveexec_b64 s[40:41], vcc
	s_cbranch_execz .LBB107_11
; %bb.8:                                ;   in Loop: Header=BB107_7 Depth=1
	v_lshlrev_b64 v[6:7], 3, v[10:11]
	v_mov_b32_e32 v8, s19
	v_add_co_u32_e32 v12, vcc, s18, v6
	v_addc_co_u32_e32 v13, vcc, v8, v7, vcc
	v_mov_b32_e32 v8, s21
	v_add_co_u32_e32 v16, vcc, s20, v6
	v_addc_co_u32_e32 v17, vcc, v8, v7, vcc
	v_mov_b32_e32 v8, 0
	v_mov_b32_e32 v9, 0
	v_mov_b32_e32 v6, v8
	s_mov_b64 s[42:43], 0
	v_mov_b32_e32 v7, v9
.LBB107_9:                              ;   Parent Loop BB107_7 Depth=1
                                        ; =>  This Inner Loop Header: Depth=2
	global_load_dwordx2 v[20:21], v[12:13], off
	global_load_dwordx2 v[24:25], v[16:17], off
	v_mov_b32_e32 v22, s23
	s_waitcnt vmcnt(1)
	v_subrev_co_u32_e32 v20, vcc, s30, v20
	v_subbrev_co_u32_e32 v21, vcc, 0, v21, vcc
	v_lshlrev_b64 v[20:21], 4, v[20:21]
	v_add_co_u32_e32 v20, vcc, s22, v20
	v_addc_co_u32_e32 v21, vcc, v22, v21, vcc
	global_load_dwordx4 v[20:23], v[20:21], off
	v_add_co_u32_e32 v10, vcc, s31, v10
	v_addc_co_u32_e32 v11, vcc, 0, v11, vcc
	v_add_co_u32_e32 v12, vcc, 0x800, v12
	v_addc_co_u32_e32 v13, vcc, 0, v13, vcc
	v_cmp_le_i64_e64 s[12:13], s[38:39], v[10:11]
	v_add_co_u32_e32 v16, vcc, 0x800, v16
	s_or_b64 s[42:43], s[12:13], s[42:43]
	v_addc_co_u32_e32 v17, vcc, 0, v17, vcc
	s_waitcnt vmcnt(0)
	v_fma_f64 v[6:7], v[24:25], v[20:21], v[6:7]
	v_fma_f64 v[8:9], v[20:21], 0, v[8:9]
	;; [unrolled: 1-line block ×4, first 2 shown]
	s_andn2_b64 exec, exec, s[42:43]
	s_cbranch_execnz .LBB107_9
; %bb.10:                               ;   in Loop: Header=BB107_7 Depth=1
	s_or_b64 exec, exec, s[42:43]
.LBB107_11:                             ;   in Loop: Header=BB107_7 Depth=1
	s_or_b64 exec, exec, s[40:41]
	ds_write_b128 v28, v[6:9]
	s_waitcnt lgkmcnt(0)
	s_barrier
	s_and_saveexec_b64 s[12:13], s[0:1]
	s_cbranch_execz .LBB107_13
; %bb.12:                               ;   in Loop: Header=BB107_7 Depth=1
	ds_read_b128 v[6:9], v28 offset:4096
	ds_read_b128 v[10:13], v28 offset:8192
	ds_read_b128 v[20:23], v28 offset:12288
	ds_read_b128 v[24:27], v28
	s_waitcnt lgkmcnt(2)
	v_add_f64 v[6:7], v[10:11], v[6:7]
	v_add_f64 v[8:9], v[12:13], v[8:9]
	s_waitcnt lgkmcnt(1)
	v_add_f64 v[6:7], v[6:7], v[20:21]
	v_add_f64 v[8:9], v[8:9], v[22:23]
	s_waitcnt lgkmcnt(0)
	v_add_f64 v[6:7], v[6:7], v[24:25]
	v_add_f64 v[8:9], v[8:9], v[26:27]
	ds_write_b128 v28, v[6:9]
.LBB107_13:                             ;   in Loop: Header=BB107_7 Depth=1
	s_or_b64 exec, exec, s[12:13]
	s_waitcnt lgkmcnt(0)
	s_barrier
	s_and_saveexec_b64 s[12:13], s[2:3]
	s_cbranch_execz .LBB107_15
; %bb.14:                               ;   in Loop: Header=BB107_7 Depth=1
	ds_read_b128 v[6:9], v28 offset:1024
	ds_read_b128 v[10:13], v28 offset:2048
	ds_read_b128 v[20:23], v28 offset:3072
	ds_read_b128 v[24:27], v28
	s_waitcnt lgkmcnt(2)
	v_add_f64 v[6:7], v[10:11], v[6:7]
	v_add_f64 v[8:9], v[12:13], v[8:9]
	s_waitcnt lgkmcnt(1)
	v_add_f64 v[6:7], v[6:7], v[20:21]
	v_add_f64 v[8:9], v[8:9], v[22:23]
	s_waitcnt lgkmcnt(0)
	v_add_f64 v[6:7], v[6:7], v[24:25]
	v_add_f64 v[8:9], v[8:9], v[26:27]
	ds_write_b128 v28, v[6:9]
.LBB107_15:                             ;   in Loop: Header=BB107_7 Depth=1
	s_or_b64 exec, exec, s[12:13]
	s_waitcnt lgkmcnt(0)
	s_barrier
	s_and_saveexec_b64 s[12:13], s[6:7]
	s_cbranch_execz .LBB107_17
; %bb.16:                               ;   in Loop: Header=BB107_7 Depth=1
	ds_read_b128 v[6:9], v28 offset:256
	ds_read_b128 v[10:13], v28 offset:512
	ds_read_b128 v[20:23], v28 offset:768
	ds_read_b128 v[24:27], v28
	s_waitcnt lgkmcnt(2)
	v_add_f64 v[6:7], v[10:11], v[6:7]
	v_add_f64 v[8:9], v[12:13], v[8:9]
	s_waitcnt lgkmcnt(1)
	v_add_f64 v[6:7], v[6:7], v[20:21]
	v_add_f64 v[8:9], v[8:9], v[22:23]
	s_waitcnt lgkmcnt(0)
	v_add_f64 v[6:7], v[6:7], v[24:25]
	v_add_f64 v[8:9], v[8:9], v[26:27]
	ds_write_b128 v28, v[6:9]
.LBB107_17:                             ;   in Loop: Header=BB107_7 Depth=1
	s_or_b64 exec, exec, s[12:13]
	s_waitcnt lgkmcnt(0)
	s_barrier
	s_and_saveexec_b64 s[12:13], s[8:9]
	s_cbranch_execz .LBB107_19
; %bb.18:                               ;   in Loop: Header=BB107_7 Depth=1
	ds_read_b128 v[6:9], v28 offset:64
	ds_read_b128 v[10:13], v28 offset:128
	ds_read_b128 v[20:23], v28 offset:192
	ds_read_b128 v[24:27], v28
	s_waitcnt lgkmcnt(2)
	v_add_f64 v[6:7], v[10:11], v[6:7]
	v_add_f64 v[8:9], v[12:13], v[8:9]
	s_waitcnt lgkmcnt(1)
	v_add_f64 v[6:7], v[6:7], v[20:21]
	v_add_f64 v[8:9], v[8:9], v[22:23]
	s_waitcnt lgkmcnt(0)
	v_add_f64 v[6:7], v[6:7], v[24:25]
	v_add_f64 v[8:9], v[8:9], v[26:27]
	ds_write_b128 v28, v[6:9]
.LBB107_19:                             ;   in Loop: Header=BB107_7 Depth=1
	s_or_b64 exec, exec, s[12:13]
	s_waitcnt lgkmcnt(0)
	s_barrier
	s_and_saveexec_b64 s[12:13], s[10:11]
	s_cbranch_execz .LBB107_21
; %bb.20:                               ;   in Loop: Header=BB107_7 Depth=1
	ds_read_b128 v[6:9], v19 offset:16
	ds_read_b128 v[10:13], v19 offset:32
	ds_read_b128 v[20:23], v19 offset:48
	ds_read_b128 v[24:27], v28
	s_waitcnt lgkmcnt(2)
	v_add_f64 v[6:7], v[10:11], v[6:7]
	v_add_f64 v[8:9], v[12:13], v[8:9]
	s_waitcnt lgkmcnt(1)
	v_add_f64 v[6:7], v[6:7], v[20:21]
	v_add_f64 v[8:9], v[8:9], v[22:23]
	s_waitcnt lgkmcnt(0)
	v_add_f64 v[6:7], v[6:7], v[24:25]
	v_add_f64 v[8:9], v[8:9], v[26:27]
	ds_write_b128 v28, v[6:9]
.LBB107_21:                             ;   in Loop: Header=BB107_7 Depth=1
	s_or_b64 exec, exec, s[12:13]
	s_waitcnt lgkmcnt(0)
	s_barrier
	s_and_saveexec_b64 s[12:13], s[10:11]
	s_cbranch_execz .LBB107_6
; %bb.22:                               ;   in Loop: Header=BB107_7 Depth=1
	ds_read_b128 v[6:9], v19
	v_mov_b32_e32 v16, 0
	s_mov_b64 s[38:39], exec
	v_bfrev_b32_e32 v17, 1
	s_waitcnt lgkmcnt(0)
	v_mul_f64 v[10:11], v[8:9], -v[4:5]
	v_fma_f64 v[10:11], v[2:3], v[6:7], v[10:11]
.LBB107_23:                             ;   Parent Loop BB107_7 Depth=1
                                        ; =>  This Inner Loop Header: Depth=2
	s_ff1_i32_b64 s33, s[38:39]
	v_readlane_b32 s41, v11, s33
	v_readlane_b32 s40, v10, s33
	v_add_f64 v[16:17], v[16:17], s[40:41]
	s_lshl_b64 s[40:41], 1, s33
	s_andn2_b64 s[38:39], s[38:39], s[40:41]
	s_cmp_lg_u64 s[38:39], 0
	s_cbranch_scc1 .LBB107_23
; %bb.24:                               ;   in Loop: Header=BB107_7 Depth=1
	s_lshl_b64 s[38:39], s[36:37], 4
	v_mbcnt_lo_u32_b32 v10, exec_lo, 0
	s_add_u32 s38, s14, s38
	v_mbcnt_hi_u32_b32 v10, exec_hi, v10
	s_addc_u32 s39, s15, s39
	v_cmp_eq_u32_e32 vcc, 0, v10
	s_and_saveexec_b64 s[40:41], vcc
	s_xor_b64 s[40:41], exec, s[40:41]
	s_cbranch_execz .LBB107_28
; %bb.25:                               ;   in Loop: Header=BB107_7 Depth=1
	global_load_dwordx2 v[12:13], v19, s[38:39]
	s_mov_b64 s[42:43], 0
.LBB107_26:                             ;   Parent Loop BB107_7 Depth=1
                                        ; =>  This Inner Loop Header: Depth=2
	s_waitcnt vmcnt(0)
	v_add_f64 v[10:11], v[12:13], v[16:17]
	global_atomic_cmpswap_x2 v[10:11], v19, v[10:13], s[38:39] glc
	s_waitcnt vmcnt(0)
	v_cmp_eq_u64_e32 vcc, v[10:11], v[12:13]
	v_mov_b32_e32 v13, v11
	s_or_b64 s[42:43], vcc, s[42:43]
	v_mov_b32_e32 v12, v10
	s_andn2_b64 exec, exec, s[42:43]
	s_cbranch_execnz .LBB107_26
; %bb.27:                               ;   in Loop: Header=BB107_7 Depth=1
	s_or_b64 exec, exec, s[42:43]
.LBB107_28:                             ;   in Loop: Header=BB107_7 Depth=1
	s_or_b64 exec, exec, s[40:41]
	v_mul_f64 v[8:9], v[2:3], v[8:9]
	v_mov_b32_e32 v10, 0
	s_mov_b64 s[40:41], exec
	v_bfrev_b32_e32 v11, 1
	v_fma_f64 v[6:7], v[4:5], v[6:7], v[8:9]
.LBB107_29:                             ;   Parent Loop BB107_7 Depth=1
                                        ; =>  This Inner Loop Header: Depth=2
	s_ff1_i32_b64 s33, s[40:41]
	v_readlane_b32 s43, v7, s33
	v_readlane_b32 s42, v6, s33
	v_add_f64 v[10:11], v[10:11], s[42:43]
	s_lshl_b64 s[42:43], 1, s33
	s_andn2_b64 s[40:41], s[40:41], s[42:43]
	s_cmp_lg_u64 s[40:41], 0
	s_cbranch_scc1 .LBB107_29
; %bb.30:                               ;   in Loop: Header=BB107_7 Depth=1
	v_mbcnt_lo_u32_b32 v6, exec_lo, 0
	v_mbcnt_hi_u32_b32 v6, exec_hi, v6
	v_cmp_eq_u32_e32 vcc, 0, v6
	s_and_saveexec_b64 s[40:41], vcc
	s_xor_b64 s[40:41], exec, s[40:41]
	s_cbranch_execz .LBB107_6
; %bb.31:                               ;   in Loop: Header=BB107_7 Depth=1
	global_load_dwordx2 v[8:9], v19, s[38:39] offset:8
	s_mov_b64 s[40:41], 0
.LBB107_32:                             ;   Parent Loop BB107_7 Depth=1
                                        ; =>  This Inner Loop Header: Depth=2
	s_waitcnt vmcnt(0)
	v_add_f64 v[6:7], v[8:9], v[10:11]
	global_atomic_cmpswap_x2 v[6:7], v19, v[6:9], s[38:39] offset:8 glc
	s_waitcnt vmcnt(0)
	v_cmp_eq_u64_e32 vcc, v[6:7], v[8:9]
	v_mov_b32_e32 v9, v7
	s_or_b64 s[40:41], vcc, s[40:41]
	v_mov_b32_e32 v8, v6
	s_andn2_b64 exec, exec, s[40:41]
	s_cbranch_execnz .LBB107_32
; %bb.33:                               ;   in Loop: Header=BB107_7 Depth=1
	s_or_b64 exec, exec, s[40:41]
	s_branch .LBB107_6
.LBB107_34:
	s_lshl_b64 s[0:1], s[24:25], 3
	s_add_u32 s0, s16, s0
	s_addc_u32 s1, s17, s1
	s_lshl_b64 s[2:3], s[26:27], 3
	s_add_u32 s2, s16, s2
	s_addc_u32 s3, s17, s3
	s_load_dwordx2 s[8:9], s[0:1], 0x0
	s_load_dwordx2 s[6:7], s[2:3], 0x0
	s_waitcnt lgkmcnt(0)
	v_mov_b32_e32 v6, s9
	s_sub_u32 s6, s6, s30
	v_add_co_u32_e32 v14, vcc, s8, v1
	s_subb_u32 s7, s7, 0
	v_addc_co_u32_e32 v15, vcc, v6, v18, vcc
	v_cmp_gt_i64_e32 vcc, s[6:7], v[14:15]
	s_and_saveexec_b64 s[8:9], vcc
	s_cbranch_execz .LBB107_46
; %bb.35:
	s_add_u32 s10, s26, -1
	s_addc_u32 s11, s27, -1
	s_add_u32 s0, s26, -2
	s_addc_u32 s1, s27, -1
	s_cmp_lg_u64 s[24:25], s[0:1]
	s_mov_b32 s0, 0
	s_brev_b32 s1, 1
	v_mul_f64 v[16:17], v[4:5], s[0:1]
	v_mul_f64 v[18:19], v[2:3], 0
	v_mov_b32_e32 v6, s10
	v_mov_b32_e32 v7, s11
	v_cmp_lt_i64_e32 vcc, s[24:25], v[6:7]
	s_cselect_b64 s[0:1], -1, 0
	s_and_b64 s[0:1], vcc, s[0:1]
	v_cndmask_b32_e64 v1, 0, 1, s[0:1]
	s_mov_b64 s[12:13], 0
	v_cmp_ne_u32_e64 s[0:1], 1, v1
	v_mov_b32_e32 v1, s17
	v_mov_b32_e32 v29, s19
	s_branch .LBB107_37
.LBB107_36:                             ;   in Loop: Header=BB107_37 Depth=1
	s_or_b64 exec, exec, s[2:3]
	v_add_co_u32_e32 v14, vcc, 0x100, v14
	v_addc_co_u32_e32 v15, vcc, 0, v15, vcc
	v_cmp_le_i64_e32 vcc, s[6:7], v[14:15]
	s_or_b64 s[12:13], vcc, s[12:13]
	s_andn2_b64 exec, exec, s[12:13]
	s_cbranch_execz .LBB107_46
.LBB107_37:                             ; =>This Loop Header: Depth=1
                                        ;     Child Loop BB107_39 Depth 2
                                        ;     Child Loop BB107_43 Depth 2
	;; [unrolled: 1-line block ×3, first 2 shown]
	v_mov_b32_e32 v6, s24
	v_mov_b32_e32 v8, s10
	s_and_b64 vcc, exec, s[0:1]
	v_mov_b32_e32 v7, s25
	v_mov_b32_e32 v9, s11
	s_cbranch_vccnz .LBB107_41
; %bb.38:                               ;   in Loop: Header=BB107_37 Depth=1
	v_mov_b32_e32 v6, s24
	v_mov_b32_e32 v8, s10
	s_mov_b64 s[34:35], 0
	v_mov_b32_e32 v7, s25
	v_mov_b32_e32 v9, s11
.LBB107_39:                             ;   Parent Loop BB107_37 Depth=1
                                        ; =>  This Inner Loop Header: Depth=2
	v_add_co_u32_e32 v10, vcc, v8, v6
	v_addc_co_u32_e32 v11, vcc, v9, v7, vcc
	v_lshrrev_b32_e32 v12, 31, v11
	v_add_co_u32_e32 v10, vcc, v10, v12
	v_addc_co_u32_e32 v11, vcc, 0, v11, vcc
	v_ashrrev_i64 v[10:11], 1, v[10:11]
	v_mov_b32_e32 v20, s17
	v_lshlrev_b64 v[12:13], 3, v[10:11]
	v_add_co_u32_e32 v12, vcc, s16, v12
	v_addc_co_u32_e32 v13, vcc, v20, v13, vcc
	global_load_dwordx2 v[12:13], v[12:13], off
	s_waitcnt vmcnt(0)
	v_subrev_co_u32_e32 v12, vcc, s30, v12
	v_subbrev_co_u32_e32 v13, vcc, 0, v13, vcc
	v_cmp_lt_i64_e32 vcc, v[14:15], v[12:13]
	v_cndmask_b32_e32 v8, v8, v10, vcc
	v_cndmask_b32_e32 v9, v9, v11, vcc
	;; [unrolled: 1-line block ×3, first 2 shown]
	v_add_co_u32_e64 v10, s[2:3], -1, v8
	v_cndmask_b32_e32 v7, v11, v7, vcc
	v_addc_co_u32_e64 v11, s[2:3], -1, v9, s[2:3]
	v_cmp_ge_i64_e32 vcc, v[6:7], v[8:9]
	v_cmp_eq_u64_e64 s[2:3], v[6:7], v[10:11]
	s_or_b64 s[2:3], vcc, s[2:3]
	s_and_b64 s[2:3], exec, s[2:3]
	s_or_b64 s[34:35], s[2:3], s[34:35]
	s_andn2_b64 exec, exec, s[34:35]
	s_cbranch_execnz .LBB107_39
; %bb.40:                               ;   in Loop: Header=BB107_37 Depth=1
	s_or_b64 exec, exec, s[34:35]
.LBB107_41:                             ;   in Loop: Header=BB107_37 Depth=1
	v_lshlrev_b64 v[10:11], 3, v[8:9]
	v_lshlrev_b64 v[12:13], 3, v[14:15]
	v_add_co_u32_e32 v10, vcc, s16, v10
	v_addc_co_u32_e32 v11, vcc, v1, v11, vcc
	global_load_dwordx2 v[10:11], v[10:11], off
	v_add_co_u32_e32 v20, vcc, s18, v12
	v_addc_co_u32_e32 v21, vcc, v29, v13, vcc
	global_load_dwordx2 v[20:21], v[20:21], off
	s_waitcnt vmcnt(1)
	v_subrev_co_u32_e32 v10, vcc, s30, v10
	v_subbrev_co_u32_e32 v11, vcc, 0, v11, vcc
	v_cmp_lt_i64_e32 vcc, v[14:15], v[10:11]
	v_cndmask_b32_e32 v7, v9, v7, vcc
	v_cndmask_b32_e32 v6, v8, v6, vcc
	s_waitcnt vmcnt(0)
	v_subrev_co_u32_e32 v10, vcc, s30, v20
	v_subbrev_co_u32_e32 v11, vcc, 0, v21, vcc
	v_cmp_ne_u64_e32 vcc, v[10:11], v[6:7]
	s_and_saveexec_b64 s[2:3], vcc
	s_cbranch_execz .LBB107_36
; %bb.42:                               ;   in Loop: Header=BB107_37 Depth=1
	v_mov_b32_e32 v9, s21
	v_add_co_u32_e32 v8, vcc, s20, v12
	v_addc_co_u32_e32 v9, vcc, v9, v13, vcc
	global_load_dwordx2 v[24:25], v[8:9], off
	v_lshlrev_b64 v[6:7], 4, v[6:7]
	v_mov_b32_e32 v8, s23
	v_add_co_u32_e32 v6, vcc, s22, v6
	v_addc_co_u32_e32 v7, vcc, v8, v7, vcc
	global_load_dwordx4 v[6:9], v[6:7], off
	v_lshlrev_b64 v[10:11], 4, v[10:11]
	v_mov_b32_e32 v12, s15
	v_add_co_u32_e32 v20, vcc, s14, v10
	v_addc_co_u32_e32 v21, vcc, v12, v11, vcc
	global_load_dwordx2 v[12:13], v[20:21], off
	s_mov_b64 s[34:35], 0
	s_waitcnt vmcnt(2)
	v_fma_f64 v[22:23], v[4:5], v[24:25], v[18:19]
	v_fma_f64 v[24:25], v[2:3], v[24:25], v[16:17]
	s_waitcnt vmcnt(1)
	v_mul_f64 v[10:11], v[8:9], -v[22:23]
	v_fma_f64 v[26:27], v[24:25], v[6:7], v[10:11]
.LBB107_43:                             ;   Parent Loop BB107_37 Depth=1
                                        ; =>  This Inner Loop Header: Depth=2
	s_waitcnt vmcnt(0)
	v_add_f64 v[10:11], v[12:13], v[26:27]
	global_atomic_cmpswap_x2 v[10:11], v[20:21], v[10:13], off glc
	s_waitcnt vmcnt(0)
	v_cmp_eq_u64_e32 vcc, v[10:11], v[12:13]
	v_mov_b32_e32 v13, v11
	s_or_b64 s[34:35], vcc, s[34:35]
	v_mov_b32_e32 v12, v10
	s_andn2_b64 exec, exec, s[34:35]
	s_cbranch_execnz .LBB107_43
; %bb.44:                               ;   in Loop: Header=BB107_37 Depth=1
	s_or_b64 exec, exec, s[34:35]
	global_load_dwordx2 v[10:11], v[20:21], off offset:8
	v_mul_f64 v[8:9], v[24:25], v[8:9]
	s_mov_b64 s[34:35], 0
	v_fma_f64 v[6:7], v[22:23], v[6:7], v[8:9]
.LBB107_45:                             ;   Parent Loop BB107_37 Depth=1
                                        ; =>  This Inner Loop Header: Depth=2
	s_waitcnt vmcnt(0)
	v_add_f64 v[8:9], v[10:11], v[6:7]
	global_atomic_cmpswap_x2 v[8:9], v[20:21], v[8:11], off offset:8 glc
	s_waitcnt vmcnt(0)
	v_cmp_eq_u64_e32 vcc, v[8:9], v[10:11]
	v_mov_b32_e32 v11, v9
	s_or_b64 s[34:35], vcc, s[34:35]
	v_mov_b32_e32 v10, v8
	s_andn2_b64 exec, exec, s[34:35]
	s_cbranch_execnz .LBB107_45
	s_branch .LBB107_36
.LBB107_46:
	s_or_b64 exec, exec, s[8:9]
	s_mov_b64 s[0:1], 0
.LBB107_47:
	s_and_b64 vcc, exec, s[0:1]
	s_cbranch_vccz .LBB107_199
; %bb.48:
	s_load_dword s0, s[4:5], 0x7c
	v_mov_b32_e32 v6, s28
	s_mov_b32 s13, 0
	v_mov_b32_e32 v7, s29
	s_mov_b64 s[36:37], 0
	s_waitcnt lgkmcnt(0)
	s_and_b32 s12, s0, 0xffff
	v_cmp_lt_u64_e32 vcc, s[12:13], v[6:7]
	s_cbranch_vccnz .LBB107_50
; %bb.49:
	v_cvt_f32_u32_e32 v1, s28
	s_sub_i32 s0, 0, s28
	v_rcp_iflag_f32_e32 v1, v1
	v_mul_f32_e32 v1, 0x4f7ffffe, v1
	v_cvt_u32_f32_e32 v1, v1
	v_readfirstlane_b32 s1, v1
	s_mul_i32 s0, s0, s1
	s_mul_hi_u32 s0, s1, s0
	s_add_i32 s1, s1, s0
	s_mul_hi_u32 s0, s12, s1
	s_mul_i32 s2, s0, s28
	s_sub_i32 s2, s12, s2
	s_add_i32 s1, s0, 1
	s_sub_i32 s3, s2, s28
	s_cmp_ge_u32 s2, s28
	s_cselect_b32 s0, s1, s0
	s_cselect_b32 s2, s3, s2
	s_add_i32 s1, s0, 1
	s_cmp_ge_u32 s2, s28
	s_cselect_b32 s36, s1, s0
.LBB107_50:
	s_lshl_b64 s[0:1], s[24:25], 3
	s_add_u32 s34, s16, s0
	s_addc_u32 s35, s17, s1
	s_load_dwordx2 s[6:7], s[34:35], 0x0
	s_load_dwordx4 s[8:11], s[4:5], 0x8
	v_subrev_co_u32_e32 v1, vcc, s30, v0
	v_subb_co_u32_e64 v6, s[0:1], 0, 0, vcc
	s_waitcnt lgkmcnt(0)
	v_mov_b32_e32 v7, s7
	v_add_co_u32_e32 v14, vcc, s6, v1
	v_addc_co_u32_e32 v15, vcc, v7, v6, vcc
	v_add_co_u32_e32 v16, vcc, 0x300, v14
	v_addc_co_u32_e32 v17, vcc, 0, v15, vcc
	v_cmp_le_i64_e64 s[0:1], s[8:9], v[16:17]
	v_mov_b32_e32 v1, 0
	s_and_saveexec_b64 s[2:3], s[0:1]
	s_xor_b64 s[2:3], exec, s[2:3]
	s_cbranch_execnz .LBB107_53
; %bb.51:
	s_or_saveexec_b64 s[2:3], s[2:3]
	v_lshlrev_b64 v[6:7], 3, v[14:15]
	s_xor_b64 exec, exec, s[2:3]
	s_cbranch_execnz .LBB107_57
.LBB107_52:
	s_or_b64 exec, exec, s[2:3]
	v_cmp_gt_i64_e32 vcc, s[10:11], v[0:1]
	s_and_saveexec_b64 s[2:3], vcc
	s_cbranch_execnz .LBB107_58
	s_branch .LBB107_60
.LBB107_53:
	s_lshl_b64 s[4:5], s[26:27], 3
	s_add_u32 s4, s16, s4
	s_addc_u32 s5, s17, s5
	s_load_dwordx2 s[4:5], s[4:5], 0x0
	s_waitcnt lgkmcnt(0)
	s_sub_u32 s4, s4, s6
	s_subb_u32 s5, s5, s7
	v_cmp_gt_i64_e32 vcc, s[4:5], v[0:1]
	s_and_saveexec_b64 s[8:9], vcc
	s_cbranch_execz .LBB107_56
; %bb.54:
	s_mov_b32 s38, 0
	s_brev_b32 s39, 1
	v_mul_f64 v[6:7], v[4:5], s[38:39]
	v_mul_f64 v[8:9], v[2:3], 0
	v_lshlrev_b64 v[10:11], 3, v[14:15]
	v_mov_b32_e32 v12, s21
	v_add_co_u32_e32 v10, vcc, s20, v10
	v_addc_co_u32_e32 v11, vcc, v12, v11, vcc
	v_mov_b32_e32 v13, v1
	s_mov_b64 s[38:39], 0
	v_mov_b32_e32 v18, v28
	v_mov_b32_e32 v12, v0
.LBB107_55:                             ; =>This Inner Loop Header: Depth=1
	global_load_dwordx2 v[21:22], v[10:11], off
	v_add_co_u32_e32 v10, vcc, 0x800, v10
	v_addc_co_u32_e32 v11, vcc, 0, v11, vcc
	v_add_co_u32_e32 v12, vcc, 0x100, v12
	v_addc_co_u32_e32 v13, vcc, 0, v13, vcc
	v_cmp_le_i64_e32 vcc, s[4:5], v[12:13]
	s_or_b64 s[38:39], vcc, s[38:39]
	s_waitcnt vmcnt(0)
	v_fma_f64 v[19:20], v[2:3], v[21:22], v[6:7]
	v_fma_f64 v[21:22], v[4:5], v[21:22], v[8:9]
	ds_write_b128 v18, v[19:22]
	v_add_u32_e32 v18, 0x1000, v18
	s_andn2_b64 exec, exec, s[38:39]
	s_cbranch_execnz .LBB107_55
.LBB107_56:
	s_or_b64 exec, exec, s[8:9]
                                        ; implicit-def: $vgpr4_vgpr5
	s_or_saveexec_b64 s[2:3], s[2:3]
	v_lshlrev_b64 v[6:7], 3, v[14:15]
	s_xor_b64 exec, exec, s[2:3]
	s_cbranch_execz .LBB107_52
.LBB107_57:
	v_mov_b32_e32 v9, s21
	v_add_co_u32_e32 v8, vcc, s20, v6
	v_addc_co_u32_e32 v9, vcc, v9, v7, vcc
	s_movk_i32 s4, 0x1000
	global_load_dwordx2 v[10:11], v[8:9], off
	global_load_dwordx2 v[12:13], v[8:9], off offset:2048
	v_add_co_u32_e32 v8, vcc, s4, v8
	v_addc_co_u32_e32 v9, vcc, 0, v9, vcc
	global_load_dwordx2 v[24:25], v[8:9], off
	global_load_dwordx2 v[26:27], v[8:9], off offset:2048
	s_mov_b32 s4, 0
	s_brev_b32 s5, 1
	v_mul_f64 v[29:30], v[4:5], s[4:5]
	v_mul_f64 v[31:32], v[2:3], 0
	s_waitcnt vmcnt(3)
	v_fma_f64 v[8:9], v[2:3], v[10:11], v[29:30]
	v_fma_f64 v[10:11], v[4:5], v[10:11], v[31:32]
	s_waitcnt vmcnt(2)
	v_fma_f64 v[18:19], v[2:3], v[12:13], v[29:30]
	v_fma_f64 v[20:21], v[4:5], v[12:13], v[31:32]
	;; [unrolled: 3-line block ×4, first 2 shown]
	ds_write_b128 v28, v[8:11]
	ds_write_b128 v28, v[18:21] offset:4096
	ds_write_b128 v28, v[22:25] offset:8192
	;; [unrolled: 1-line block ×3, first 2 shown]
	s_or_b64 exec, exec, s[2:3]
	v_cmp_gt_i64_e32 vcc, s[10:11], v[0:1]
	s_and_saveexec_b64 s[2:3], vcc
	s_cbranch_execz .LBB107_60
.LBB107_58:
	s_mov_b32 s8, 0
	v_mov_b32_e32 v2, 0x4000
	s_mov_b32 s20, s8
	v_lshl_add_u32 v10, v0, 4, v2
	s_mov_b32 s9, s8
	s_mov_b32 s21, s8
	v_mov_b32_e32 v2, s8
	v_mov_b32_e32 v4, s20
	v_mov_b32_e32 v9, v1
	s_mov_b64 s[4:5], 0
	v_mov_b32_e32 v3, s9
	v_mov_b32_e32 v5, s21
	;; [unrolled: 1-line block ×3, first 2 shown]
.LBB107_59:                             ; =>This Inner Loop Header: Depth=1
	v_add_co_u32_e32 v8, vcc, 0x100, v8
	v_addc_co_u32_e32 v9, vcc, 0, v9, vcc
	v_cmp_le_i64_e32 vcc, s[10:11], v[8:9]
	ds_write2_b64 v10, v[2:3], v[4:5] offset1:1
	s_or_b64 s[4:5], vcc, s[4:5]
	v_add_u32_e32 v10, 0x1000, v10
	s_andn2_b64 exec, exec, s[4:5]
	s_cbranch_execnz .LBB107_59
.LBB107_60:
	s_or_b64 exec, exec, s[2:3]
	v_mov_b32_e32 v2, s10
	v_mov_b32_e32 v3, s11
	s_sub_u32 s4, s26, s10
	v_cmp_ge_i64_e32 vcc, s[26:27], v[2:3]
	s_subb_u32 s5, s27, s11
	s_and_b64 s[2:3], vcc, exec
	s_cselect_b32 s9, s5, 0
	s_cselect_b32 s8, s4, 0
	s_waitcnt lgkmcnt(0)
	s_barrier
	s_and_saveexec_b64 s[2:3], s[0:1]
	s_xor_b64 s[20:21], exec, s[2:3]
	s_cbranch_execz .LBB107_85
; %bb.61:
	s_lshl_b64 s[0:1], s[26:27], 3
	s_add_u32 s0, s16, s0
	s_addc_u32 s1, s17, s1
	s_load_dwordx2 s[0:1], s[0:1], 0x0
	s_waitcnt lgkmcnt(0)
	s_sub_u32 s38, s0, s6
	s_subb_u32 s39, s1, s7
	v_cmp_gt_i64_e32 vcc, s[38:39], v[0:1]
	s_and_saveexec_b64 s[40:41], vcc
	s_cbranch_execz .LBB107_84
; %bb.62:
	s_add_u32 s42, s26, -1
	s_addc_u32 s43, s27, -1
	s_add_u32 s2, s26, -2
	s_addc_u32 s3, s27, -1
	s_cmp_lg_u64 s[24:25], s[2:3]
	s_cselect_b64 s[2:3], -1, 0
	s_sub_u32 s44, s0, s30
	v_cndmask_b32_e64 v2, 0, 1, s[2:3]
	s_subb_u32 s45, s1, 0
	s_mov_b64 s[46:47], 0
	v_cmp_ne_u32_e64 s[0:1], 1, v2
	v_mov_b32_e32 v24, s17
	v_mov_b32_e32 v25, s19
	v_mov_b32_e32 v26, s23
	v_mov_b32_e32 v27, 0x4000
	s_mov_b64 s[48:49], 0
	s_branch .LBB107_65
.LBB107_63:                             ;   in Loop: Header=BB107_65 Depth=1
	s_or_b64 exec, exec, s[2:3]
.LBB107_64:                             ;   in Loop: Header=BB107_65 Depth=1
	s_or_b64 exec, exec, s[4:5]
	v_lshlrev_b64 v[6:7], 4, v[16:17]
	s_add_u32 s48, s48, 0x100
	v_add_co_u32_e32 v6, vcc, s22, v6
	v_addc_co_u32_e32 v7, vcc, v26, v7, vcc
	global_load_dwordx4 v[6:9], v[6:7], off
	s_addc_u32 s49, s49, 0
	s_waitcnt vmcnt(0)
	v_mul_f64 v[10:11], v[8:9], v[18:19]
	v_mul_f64 v[8:9], v[8:9], v[2:3]
	v_fma_f64 v[2:3], v[2:3], v[6:7], v[10:11]
	v_fma_f64 v[4:5], v[4:5], v[6:7], v[8:9]
	v_mov_b32_e32 v7, s49
	v_add_co_u32_e32 v6, vcc, s48, v0
	v_addc_co_u32_e32 v7, vcc, 0, v7, vcc
	v_cmp_le_i64_e32 vcc, s[38:39], v[6:7]
	v_lshlrev_b32_e32 v6, 4, v29
	s_or_b64 s[46:47], vcc, s[46:47]
	ds_write_b128 v6, v[2:5]
	s_andn2_b64 exec, exec, s[46:47]
	s_cbranch_execz .LBB107_84
.LBB107_65:                             ; =>This Loop Header: Depth=1
                                        ;     Child Loop BB107_67 Depth 2
                                        ;     Child Loop BB107_74 Depth 2
	;; [unrolled: 1-line block ×5, first 2 shown]
	v_mov_b32_e32 v3, s49
	v_add_co_u32_e32 v2, vcc, s48, v14
	v_addc_co_u32_e32 v3, vcc, v3, v15, vcc
	v_mov_b32_e32 v4, s24
	v_mov_b32_e32 v6, s42
	s_and_b64 vcc, exec, s[0:1]
	v_mov_b32_e32 v5, s25
	v_mov_b32_e32 v7, s43
	s_cbranch_vccnz .LBB107_69
; %bb.66:                               ;   in Loop: Header=BB107_65 Depth=1
	v_mov_b32_e32 v4, s24
	v_mov_b32_e32 v6, s42
	s_mov_b64 s[4:5], 0
	v_mov_b32_e32 v5, s25
	v_mov_b32_e32 v7, s43
.LBB107_67:                             ;   Parent Loop BB107_65 Depth=1
                                        ; =>  This Inner Loop Header: Depth=2
	v_add_co_u32_e32 v8, vcc, v6, v4
	v_addc_co_u32_e32 v9, vcc, v7, v5, vcc
	v_lshrrev_b32_e32 v10, 31, v9
	v_add_co_u32_e32 v8, vcc, v8, v10
	v_addc_co_u32_e32 v9, vcc, 0, v9, vcc
	v_ashrrev_i64 v[8:9], 1, v[8:9]
	v_mov_b32_e32 v12, s17
	v_lshlrev_b64 v[10:11], 3, v[8:9]
	v_add_co_u32_e32 v10, vcc, s16, v10
	v_addc_co_u32_e32 v11, vcc, v12, v11, vcc
	global_load_dwordx2 v[10:11], v[10:11], off
	s_waitcnt vmcnt(0)
	v_subrev_co_u32_e32 v10, vcc, s30, v10
	v_subbrev_co_u32_e32 v11, vcc, 0, v11, vcc
	v_cmp_lt_i64_e32 vcc, v[2:3], v[10:11]
	v_cndmask_b32_e32 v6, v6, v8, vcc
	v_cndmask_b32_e32 v7, v7, v9, vcc
	;; [unrolled: 1-line block ×3, first 2 shown]
	v_add_co_u32_e64 v8, s[2:3], -1, v6
	v_cndmask_b32_e32 v5, v9, v5, vcc
	v_addc_co_u32_e64 v9, s[2:3], -1, v7, s[2:3]
	v_cmp_ge_i64_e32 vcc, v[4:5], v[6:7]
	v_cmp_eq_u64_e64 s[2:3], v[4:5], v[8:9]
	s_or_b64 s[2:3], vcc, s[2:3]
	s_and_b64 s[2:3], exec, s[2:3]
	s_or_b64 s[4:5], s[2:3], s[4:5]
	s_andn2_b64 exec, exec, s[4:5]
	s_cbranch_execnz .LBB107_67
; %bb.68:                               ;   in Loop: Header=BB107_65 Depth=1
	s_or_b64 exec, exec, s[4:5]
.LBB107_69:                             ;   in Loop: Header=BB107_65 Depth=1
	v_lshlrev_b64 v[8:9], 3, v[6:7]
	v_lshlrev_b64 v[10:11], 3, v[2:3]
	v_add_co_u32_e32 v8, vcc, s16, v8
	v_addc_co_u32_e32 v9, vcc, v24, v9, vcc
	global_load_dwordx2 v[8:9], v[8:9], off
	v_add_co_u32_e32 v10, vcc, s18, v10
	v_addc_co_u32_e32 v11, vcc, v25, v11, vcc
	global_load_dwordx2 v[10:11], v[10:11], off
	v_cmp_le_i64_e32 vcc, s[44:45], v[2:3]
	v_add_co_u32_e64 v29, s[4:5], s48, v0
                                        ; implicit-def: $vgpr18_vgpr19
	s_waitcnt vmcnt(1)
	v_subrev_co_u32_e64 v8, s[2:3], s30, v8
	v_subbrev_co_u32_e64 v9, s[2:3], 0, v9, s[2:3]
	s_waitcnt vmcnt(0)
	v_subrev_co_u32_e64 v16, s[2:3], s30, v10
	v_subbrev_co_u32_e64 v17, s[2:3], 0, v11, s[2:3]
	v_cmp_lt_i64_e64 s[2:3], v[2:3], v[8:9]
	v_lshlrev_b32_e32 v10, 4, v29
	v_cndmask_b32_e64 v7, v7, v5, s[2:3]
	v_cndmask_b32_e64 v6, v6, v4, s[2:3]
	v_cmp_eq_u64_e64 s[2:3], v[16:17], v[6:7]
                                        ; implicit-def: $vgpr2_vgpr3
	s_or_b64 s[2:3], s[2:3], vcc
	s_and_saveexec_b64 s[4:5], s[2:3]
	s_xor_b64 s[2:3], exec, s[4:5]
	s_cbranch_execz .LBB107_71
; %bb.70:                               ;   in Loop: Header=BB107_65 Depth=1
	ds_read_b128 v[2:5], v10
                                        ; implicit-def: $vgpr6_vgpr7
                                        ; implicit-def: $vgpr10
	s_waitcnt lgkmcnt(0)
	v_xor_b32_e32 v19, 0x80000000, v5
	v_mov_b32_e32 v18, v4
.LBB107_71:                             ;   in Loop: Header=BB107_65 Depth=1
	s_andn2_saveexec_b64 s[4:5], s[2:3]
	s_cbranch_execz .LBB107_64
; %bb.72:                               ;   in Loop: Header=BB107_65 Depth=1
	v_cmp_gt_i64_e32 vcc, s[8:9], v[16:17]
	v_cmp_le_i64_e64 s[2:3], s[26:27], v[16:17]
	v_lshlrev_b64 v[6:7], 4, v[6:7]
	s_or_b64 s[2:3], vcc, s[2:3]
                                        ; implicit-def: $vgpr2_vgpr3
                                        ; implicit-def: $vgpr18_vgpr19
	s_and_saveexec_b64 s[50:51], s[2:3]
	s_xor_b64 s[2:3], exec, s[50:51]
	s_cbranch_execz .LBB107_78
; %bb.73:                               ;   in Loop: Header=BB107_65 Depth=1
	v_mov_b32_e32 v3, s23
	v_add_co_u32_e32 v2, vcc, s22, v6
	v_addc_co_u32_e32 v3, vcc, v3, v7, vcc
	global_load_dwordx4 v[6:9], v[2:3], off
	v_lshlrev_b64 v[2:3], 4, v[16:17]
	v_mov_b32_e32 v4, s15
	v_add_co_u32_e32 v20, vcc, s14, v2
	v_addc_co_u32_e32 v21, vcc, v4, v3, vcc
	global_load_dwordx2 v[12:13], v[20:21], off
	ds_read_b128 v[2:5], v10
	s_mov_b64 s[50:51], 0
	s_waitcnt lgkmcnt(0)
	v_xor_b32_e32 v19, 0x80000000, v5
	v_mov_b32_e32 v18, v4
	s_waitcnt vmcnt(1)
	v_mul_f64 v[10:11], v[8:9], -v[4:5]
	v_fma_f64 v[22:23], v[2:3], v[6:7], v[10:11]
.LBB107_74:                             ;   Parent Loop BB107_65 Depth=1
                                        ; =>  This Inner Loop Header: Depth=2
	s_waitcnt vmcnt(0)
	v_add_f64 v[10:11], v[12:13], v[22:23]
	global_atomic_cmpswap_x2 v[10:11], v[20:21], v[10:13], off glc
	s_waitcnt vmcnt(0)
	v_cmp_eq_u64_e32 vcc, v[10:11], v[12:13]
	v_mov_b32_e32 v13, v11
	s_or_b64 s[50:51], vcc, s[50:51]
	v_mov_b32_e32 v12, v10
	s_andn2_b64 exec, exec, s[50:51]
	s_cbranch_execnz .LBB107_74
; %bb.75:                               ;   in Loop: Header=BB107_65 Depth=1
	s_or_b64 exec, exec, s[50:51]
	global_load_dwordx2 v[10:11], v[20:21], off offset:8
	v_mul_f64 v[8:9], v[8:9], v[2:3]
	s_mov_b64 s[50:51], 0
	v_fma_f64 v[6:7], v[4:5], v[6:7], v[8:9]
.LBB107_76:                             ;   Parent Loop BB107_65 Depth=1
                                        ; =>  This Inner Loop Header: Depth=2
	s_waitcnt vmcnt(0)
	v_add_f64 v[8:9], v[10:11], v[6:7]
	global_atomic_cmpswap_x2 v[8:9], v[20:21], v[8:11], off offset:8 glc
	s_waitcnt vmcnt(0)
	v_cmp_eq_u64_e32 vcc, v[8:9], v[10:11]
	v_mov_b32_e32 v11, v9
	s_or_b64 s[50:51], vcc, s[50:51]
	v_mov_b32_e32 v10, v8
	s_andn2_b64 exec, exec, s[50:51]
	s_cbranch_execnz .LBB107_76
; %bb.77:                               ;   in Loop: Header=BB107_65 Depth=1
	s_or_b64 exec, exec, s[50:51]
                                        ; implicit-def: $vgpr6_vgpr7
                                        ; implicit-def: $vgpr10
.LBB107_78:                             ;   in Loop: Header=BB107_65 Depth=1
	s_andn2_saveexec_b64 s[2:3], s[2:3]
	s_cbranch_execz .LBB107_63
; %bb.79:                               ;   in Loop: Header=BB107_65 Depth=1
	v_add_co_u32_e32 v2, vcc, s22, v6
	v_addc_co_u32_e32 v3, vcc, v26, v7, vcc
	global_load_dwordx4 v[6:9], v[2:3], off
	ds_read_b128 v[2:5], v10
	v_subrev_u32_e32 v12, s8, v16
	v_lshl_add_u32 v20, v12, 4, v27
	ds_read_b64 v[12:13], v20
	s_mov_b64 s[50:51], 0
	s_waitcnt lgkmcnt(1)
	v_xor_b32_e32 v19, 0x80000000, v5
	v_mov_b32_e32 v18, v4
	s_waitcnt vmcnt(0)
	v_mul_f64 v[10:11], v[8:9], -v[4:5]
	v_fma_f64 v[10:11], v[2:3], v[6:7], v[10:11]
.LBB107_80:                             ;   Parent Loop BB107_65 Depth=1
                                        ; =>  This Inner Loop Header: Depth=2
	s_waitcnt lgkmcnt(0)
	v_add_f64 v[21:22], v[12:13], v[10:11]
	ds_cmpst_rtn_b64 v[21:22], v20, v[12:13], v[21:22]
	s_waitcnt lgkmcnt(0)
	v_cmp_eq_u64_e32 vcc, v[21:22], v[12:13]
	v_mov_b32_e32 v12, v21
	s_or_b64 s[50:51], vcc, s[50:51]
	v_mov_b32_e32 v13, v22
	s_andn2_b64 exec, exec, s[50:51]
	s_cbranch_execnz .LBB107_80
; %bb.81:                               ;   in Loop: Header=BB107_65 Depth=1
	s_or_b64 exec, exec, s[50:51]
	v_mul_f64 v[8:9], v[8:9], v[2:3]
	s_mov_b64 s[50:51], 0
	v_fma_f64 v[6:7], v[4:5], v[6:7], v[8:9]
	ds_read_b64 v[8:9], v20 offset:8
.LBB107_82:                             ;   Parent Loop BB107_65 Depth=1
                                        ; =>  This Inner Loop Header: Depth=2
	s_waitcnt lgkmcnt(0)
	v_add_f64 v[10:11], v[8:9], v[6:7]
	ds_cmpst_rtn_b64 v[10:11], v20, v[8:9], v[10:11] offset:8
	s_waitcnt lgkmcnt(0)
	v_cmp_eq_u64_e32 vcc, v[10:11], v[8:9]
	v_mov_b32_e32 v8, v10
	s_or_b64 s[50:51], vcc, s[50:51]
	v_mov_b32_e32 v9, v11
	s_andn2_b64 exec, exec, s[50:51]
	s_cbranch_execnz .LBB107_82
; %bb.83:                               ;   in Loop: Header=BB107_65 Depth=1
	s_or_b64 exec, exec, s[50:51]
	s_branch .LBB107_63
.LBB107_84:
	s_or_b64 exec, exec, s[40:41]
                                        ; implicit-def: $vgpr16_vgpr17
                                        ; implicit-def: $vgpr14
                                        ; implicit-def: $vgpr6_vgpr7
.LBB107_85:
	s_andn2_saveexec_b64 s[4:5], s[20:21]
	s_cbranch_execz .LBB107_159
; %bb.86:
	s_add_u32 s20, s26, -1
	s_addc_u32 s21, s27, -1
	s_add_u32 s0, s26, -2
	s_addc_u32 s1, s27, -1
	s_cmp_lg_u64 s[24:25], s[0:1]
	v_mov_b32_e32 v2, s24
	v_mov_b32_e32 v4, s20
	s_cselect_b64 s[2:3], -1, 0
	s_cmp_eq_u64 s[24:25], s[0:1]
	v_mov_b32_e32 v3, s25
	v_mov_b32_e32 v5, s21
	s_cbranch_scc1 .LBB107_90
; %bb.87:
	v_mov_b32_e32 v2, s24
	v_mov_b32_e32 v4, s20
	s_mov_b64 s[38:39], 0
	v_mov_b32_e32 v3, s25
	v_mov_b32_e32 v5, s21
	;; [unrolled: 1-line block ×3, first 2 shown]
.LBB107_88:                             ; =>This Inner Loop Header: Depth=1
	v_add_co_u32_e32 v9, vcc, v4, v2
	v_addc_co_u32_e32 v10, vcc, v5, v3, vcc
	v_lshrrev_b32_e32 v11, 31, v10
	v_add_co_u32_e32 v9, vcc, v9, v11
	v_addc_co_u32_e32 v10, vcc, 0, v10, vcc
	v_ashrrev_i64 v[9:10], 1, v[9:10]
	v_lshlrev_b64 v[11:12], 3, v[9:10]
	v_add_co_u32_e32 v11, vcc, s16, v11
	v_addc_co_u32_e32 v12, vcc, v8, v12, vcc
	global_load_dwordx2 v[11:12], v[11:12], off
	s_waitcnt vmcnt(0)
	v_subrev_co_u32_e32 v11, vcc, s30, v11
	v_subbrev_co_u32_e32 v12, vcc, 0, v12, vcc
	v_cmp_lt_i64_e32 vcc, v[14:15], v[11:12]
	v_cndmask_b32_e32 v4, v4, v9, vcc
	v_cndmask_b32_e32 v5, v5, v10, vcc
	;; [unrolled: 1-line block ×3, first 2 shown]
	v_add_co_u32_e64 v9, s[0:1], -1, v4
	v_cndmask_b32_e32 v3, v10, v3, vcc
	v_addc_co_u32_e64 v10, s[0:1], -1, v5, s[0:1]
	v_cmp_ge_i64_e32 vcc, v[2:3], v[4:5]
	v_cmp_eq_u64_e64 s[0:1], v[2:3], v[9:10]
	s_or_b64 s[0:1], vcc, s[0:1]
	s_and_b64 s[0:1], exec, s[0:1]
	s_or_b64 s[38:39], s[0:1], s[38:39]
	s_andn2_b64 exec, exec, s[38:39]
	s_cbranch_execnz .LBB107_88
; %bb.89:
	s_or_b64 exec, exec, s[38:39]
.LBB107_90:
	v_lshlrev_b64 v[8:9], 3, v[4:5]
	v_mov_b32_e32 v10, s17
	v_add_co_u32_e32 v8, vcc, s16, v8
	v_addc_co_u32_e32 v9, vcc, v10, v9, vcc
	global_load_dwordx2 v[8:9], v[8:9], off
	v_mov_b32_e32 v10, s19
	v_add_co_u32_e32 v18, vcc, s18, v6
	v_addc_co_u32_e32 v19, vcc, v10, v7, vcc
	global_load_dwordx2 v[6:7], v[18:19], off
	s_lshl_b64 s[0:1], s[26:27], 3
	s_add_u32 s18, s16, s0
	s_addc_u32 s19, s17, s1
	s_waitcnt vmcnt(1)
	v_subrev_co_u32_e32 v8, vcc, s30, v8
	v_subbrev_co_u32_e32 v9, vcc, 0, v9, vcc
	v_cmp_lt_i64_e32 vcc, v[14:15], v[8:9]
	v_cndmask_b32_e32 v3, v5, v3, vcc
	v_cndmask_b32_e32 v2, v4, v2, vcc
	s_waitcnt vmcnt(0)
	v_subrev_co_u32_e32 v20, vcc, s30, v6
	v_subbrev_co_u32_e32 v21, vcc, 0, v7, vcc
	v_cmp_ne_u64_e32 vcc, v[20:21], v[2:3]
	s_and_saveexec_b64 s[38:39], vcc
	s_cbranch_execz .LBB107_104
; %bb.91:
	s_load_dwordx2 s[0:1], s[18:19], 0x0
	s_waitcnt lgkmcnt(0)
	s_sub_u32 s0, s0, s30
	s_subb_u32 s1, s1, 0
	v_cmp_gt_i64_e32 vcc, s[0:1], v[14:15]
	s_and_b64 exec, exec, vcc
	s_cbranch_execz .LBB107_104
; %bb.92:
	v_cmp_gt_i64_e32 vcc, s[8:9], v[20:21]
	v_cmp_le_i64_e64 s[0:1], s[26:27], v[20:21]
	v_lshlrev_b64 v[2:3], 4, v[2:3]
	s_or_b64 s[0:1], vcc, s[0:1]
	s_and_saveexec_b64 s[40:41], s[0:1]
	s_xor_b64 s[0:1], exec, s[40:41]
	s_cbranch_execz .LBB107_98
; %bb.93:
	v_mov_b32_e32 v4, s23
	v_add_co_u32_e32 v2, vcc, s22, v2
	v_addc_co_u32_e32 v3, vcc, v4, v3, vcc
	global_load_dwordx4 v[2:5], v[2:3], off
	v_lshlrev_b64 v[6:7], 4, v[20:21]
	v_mov_b32_e32 v8, s15
	v_add_co_u32_e32 v22, vcc, s14, v6
	v_addc_co_u32_e32 v23, vcc, v8, v7, vcc
	global_load_dwordx2 v[12:13], v[22:23], off
	ds_read_b128 v[6:9], v28
	s_mov_b64 s[40:41], 0
	s_waitcnt vmcnt(1) lgkmcnt(0)
	v_mul_f64 v[10:11], v[4:5], -v[8:9]
	v_fma_f64 v[24:25], v[6:7], v[2:3], v[10:11]
.LBB107_94:                             ; =>This Inner Loop Header: Depth=1
	s_waitcnt vmcnt(0)
	v_add_f64 v[10:11], v[12:13], v[24:25]
	global_atomic_cmpswap_x2 v[10:11], v[22:23], v[10:13], off glc
	s_waitcnt vmcnt(0)
	v_cmp_eq_u64_e32 vcc, v[10:11], v[12:13]
	v_mov_b32_e32 v13, v11
	s_or_b64 s[40:41], vcc, s[40:41]
	v_mov_b32_e32 v12, v10
	s_andn2_b64 exec, exec, s[40:41]
	s_cbranch_execnz .LBB107_94
; %bb.95:
	s_or_b64 exec, exec, s[40:41]
	global_load_dwordx2 v[10:11], v[22:23], off offset:8
	v_mul_f64 v[4:5], v[4:5], v[6:7]
	s_mov_b64 s[40:41], 0
	v_fma_f64 v[2:3], v[8:9], v[2:3], v[4:5]
.LBB107_96:                             ; =>This Inner Loop Header: Depth=1
	s_waitcnt vmcnt(0)
	v_add_f64 v[8:9], v[10:11], v[2:3]
	global_atomic_cmpswap_x2 v[4:5], v[22:23], v[8:11], off offset:8 glc
	s_waitcnt vmcnt(0)
	v_cmp_eq_u64_e32 vcc, v[4:5], v[10:11]
	v_mov_b32_e32 v11, v5
	s_or_b64 s[40:41], vcc, s[40:41]
	v_mov_b32_e32 v10, v4
	s_andn2_b64 exec, exec, s[40:41]
	s_cbranch_execnz .LBB107_96
; %bb.97:
	s_or_b64 exec, exec, s[40:41]
                                        ; implicit-def: $vgpr2_vgpr3
.LBB107_98:
	s_andn2_saveexec_b64 s[0:1], s[0:1]
	s_cbranch_execz .LBB107_104
; %bb.99:
	v_mov_b32_e32 v4, s23
	v_add_co_u32_e32 v2, vcc, s22, v2
	v_addc_co_u32_e32 v3, vcc, v4, v3, vcc
	global_load_dwordx4 v[2:5], v[2:3], off
	ds_read_b128 v[6:9], v28
	v_subrev_u32_e32 v12, s8, v20
	v_mov_b32_e32 v13, 0x4000
	v_lshl_add_u32 v22, v12, 4, v13
	ds_read_b64 v[12:13], v22
	s_mov_b64 s[0:1], 0
	s_waitcnt vmcnt(0) lgkmcnt(1)
	v_mul_f64 v[10:11], v[4:5], -v[8:9]
	v_fma_f64 v[10:11], v[6:7], v[2:3], v[10:11]
.LBB107_100:                            ; =>This Inner Loop Header: Depth=1
	s_waitcnt lgkmcnt(0)
	v_add_f64 v[23:24], v[12:13], v[10:11]
	ds_cmpst_rtn_b64 v[23:24], v22, v[12:13], v[23:24]
	s_waitcnt lgkmcnt(0)
	v_cmp_eq_u64_e32 vcc, v[23:24], v[12:13]
	v_mov_b32_e32 v12, v23
	s_or_b64 s[0:1], vcc, s[0:1]
	v_mov_b32_e32 v13, v24
	s_andn2_b64 exec, exec, s[0:1]
	s_cbranch_execnz .LBB107_100
; %bb.101:
	s_or_b64 exec, exec, s[0:1]
	v_mul_f64 v[4:5], v[4:5], v[6:7]
	s_mov_b64 s[0:1], 0
	v_fma_f64 v[2:3], v[8:9], v[2:3], v[4:5]
	ds_read_b64 v[4:5], v22 offset:8
.LBB107_102:                            ; =>This Inner Loop Header: Depth=1
	s_waitcnt lgkmcnt(0)
	v_add_f64 v[6:7], v[4:5], v[2:3]
	ds_cmpst_rtn_b64 v[6:7], v22, v[4:5], v[6:7] offset:8
	s_waitcnt lgkmcnt(0)
	v_cmp_eq_u64_e32 vcc, v[6:7], v[4:5]
	v_mov_b32_e32 v4, v6
	s_or_b64 s[0:1], vcc, s[0:1]
	v_mov_b32_e32 v5, v7
	s_andn2_b64 exec, exec, s[0:1]
	s_cbranch_execnz .LBB107_102
; %bb.103:
	s_or_b64 exec, exec, s[0:1]
.LBB107_104:
	s_or_b64 exec, exec, s[38:39]
	v_lshlrev_b64 v[2:3], 4, v[20:21]
	v_mov_b32_e32 v4, s23
	v_add_co_u32_e32 v2, vcc, s22, v2
	v_addc_co_u32_e32 v3, vcc, v4, v3, vcc
	global_load_dwordx4 v[3:6], v[2:3], off
	ds_read_b128 v[7:10], v28
	v_add_co_u32_e32 v2, vcc, 0x100, v14
	s_waitcnt vmcnt(0) lgkmcnt(0)
	v_mul_f64 v[11:12], v[5:6], -v[9:10]
	v_mul_f64 v[20:21], v[5:6], v[7:8]
	v_fma_f64 v[6:7], v[7:8], v[3:4], v[11:12]
	v_fma_f64 v[8:9], v[9:10], v[3:4], v[20:21]
	v_cndmask_b32_e64 v10, 0, 1, s[2:3]
	v_mov_b32_e32 v4, s24
	v_addc_co_u32_e32 v3, vcc, 0, v15, vcc
	v_mov_b32_e32 v5, s25
	v_cmp_ne_u32_e64 s[0:1], 1, v10
	s_andn2_b64 vcc, exec, s[2:3]
	ds_write_b128 v28, v[6:9]
	v_mov_b32_e32 v6, s20
	v_mov_b32_e32 v7, s21
	s_cbranch_vccnz .LBB107_108
; %bb.105:
	v_mov_b32_e32 v4, s24
	v_mov_b32_e32 v6, s20
	s_mov_b64 s[38:39], 0
	v_mov_b32_e32 v5, s25
	v_mov_b32_e32 v7, s21
	;; [unrolled: 1-line block ×3, first 2 shown]
.LBB107_106:                            ; =>This Inner Loop Header: Depth=1
	v_add_co_u32_e32 v9, vcc, v6, v4
	v_addc_co_u32_e32 v10, vcc, v7, v5, vcc
	v_lshrrev_b32_e32 v11, 31, v10
	v_add_co_u32_e32 v9, vcc, v9, v11
	v_addc_co_u32_e32 v10, vcc, 0, v10, vcc
	v_ashrrev_i64 v[9:10], 1, v[9:10]
	v_lshlrev_b64 v[11:12], 3, v[9:10]
	v_add_co_u32_e32 v11, vcc, s16, v11
	v_addc_co_u32_e32 v12, vcc, v8, v12, vcc
	global_load_dwordx2 v[11:12], v[11:12], off
	s_waitcnt vmcnt(0)
	v_subrev_co_u32_e32 v11, vcc, s30, v11
	v_subbrev_co_u32_e32 v12, vcc, 0, v12, vcc
	v_cmp_lt_i64_e32 vcc, v[2:3], v[11:12]
	v_cndmask_b32_e32 v6, v6, v9, vcc
	v_cndmask_b32_e32 v7, v7, v10, vcc
	;; [unrolled: 1-line block ×3, first 2 shown]
	v_add_co_u32_e64 v9, s[2:3], -1, v6
	v_cndmask_b32_e32 v5, v10, v5, vcc
	v_addc_co_u32_e64 v10, s[2:3], -1, v7, s[2:3]
	v_cmp_ge_i64_e32 vcc, v[4:5], v[6:7]
	v_cmp_eq_u64_e64 s[2:3], v[4:5], v[9:10]
	s_or_b64 s[2:3], vcc, s[2:3]
	s_and_b64 s[2:3], exec, s[2:3]
	s_or_b64 s[38:39], s[2:3], s[38:39]
	s_andn2_b64 exec, exec, s[38:39]
	s_cbranch_execnz .LBB107_106
; %bb.107:
	s_or_b64 exec, exec, s[38:39]
.LBB107_108:
	v_lshlrev_b64 v[8:9], 3, v[6:7]
	v_mov_b32_e32 v10, s17
	v_add_co_u32_e32 v8, vcc, s16, v8
	v_addc_co_u32_e32 v9, vcc, v10, v9, vcc
	global_load_dwordx2 v[10:11], v[8:9], off
	global_load_dwordx2 v[12:13], v[18:19], off offset:2048
	s_waitcnt vmcnt(1)
	v_subrev_co_u32_e32 v8, vcc, s30, v10
	v_subbrev_co_u32_e32 v9, vcc, 0, v11, vcc
	v_cmp_lt_i64_e32 vcc, v[2:3], v[8:9]
	v_cndmask_b32_e32 v5, v7, v5, vcc
	v_cndmask_b32_e32 v4, v6, v4, vcc
	s_waitcnt vmcnt(0)
	v_subrev_co_u32_e32 v20, vcc, s30, v12
	v_subbrev_co_u32_e32 v21, vcc, 0, v13, vcc
	v_cmp_ne_u64_e32 vcc, v[20:21], v[4:5]
	s_and_saveexec_b64 s[38:39], vcc
	s_cbranch_execz .LBB107_122
; %bb.109:
	s_load_dwordx2 s[2:3], s[18:19], 0x0
	s_waitcnt lgkmcnt(0)
	s_sub_u32 s2, s2, s30
	s_subb_u32 s3, s3, 0
	v_cmp_gt_i64_e32 vcc, s[2:3], v[2:3]
	s_and_b64 exec, exec, vcc
	s_cbranch_execz .LBB107_122
; %bb.110:
	v_cmp_gt_i64_e32 vcc, s[8:9], v[20:21]
	v_cmp_le_i64_e64 s[2:3], s[26:27], v[20:21]
	v_lshlrev_b64 v[2:3], 4, v[4:5]
	s_or_b64 s[2:3], vcc, s[2:3]
	s_and_saveexec_b64 s[40:41], s[2:3]
	s_xor_b64 s[2:3], exec, s[40:41]
	s_cbranch_execz .LBB107_116
; %bb.111:
	v_mov_b32_e32 v4, s23
	v_add_co_u32_e32 v2, vcc, s22, v2
	v_addc_co_u32_e32 v3, vcc, v4, v3, vcc
	global_load_dwordx4 v[2:5], v[2:3], off
	v_lshlrev_b64 v[6:7], 4, v[20:21]
	v_mov_b32_e32 v8, s15
	v_add_co_u32_e32 v22, vcc, s14, v6
	v_addc_co_u32_e32 v23, vcc, v8, v7, vcc
	global_load_dwordx2 v[12:13], v[22:23], off
	ds_read_b128 v[6:9], v28 offset:4096
	s_mov_b64 s[40:41], 0
	s_waitcnt vmcnt(1) lgkmcnt(0)
	v_mul_f64 v[10:11], v[4:5], -v[8:9]
	v_fma_f64 v[24:25], v[6:7], v[2:3], v[10:11]
.LBB107_112:                            ; =>This Inner Loop Header: Depth=1
	s_waitcnt vmcnt(0)
	v_add_f64 v[10:11], v[12:13], v[24:25]
	global_atomic_cmpswap_x2 v[10:11], v[22:23], v[10:13], off glc
	s_waitcnt vmcnt(0)
	v_cmp_eq_u64_e32 vcc, v[10:11], v[12:13]
	v_mov_b32_e32 v13, v11
	s_or_b64 s[40:41], vcc, s[40:41]
	v_mov_b32_e32 v12, v10
	s_andn2_b64 exec, exec, s[40:41]
	s_cbranch_execnz .LBB107_112
; %bb.113:
	s_or_b64 exec, exec, s[40:41]
	global_load_dwordx2 v[10:11], v[22:23], off offset:8
	v_mul_f64 v[4:5], v[4:5], v[6:7]
	s_mov_b64 s[40:41], 0
	v_fma_f64 v[2:3], v[8:9], v[2:3], v[4:5]
.LBB107_114:                            ; =>This Inner Loop Header: Depth=1
	s_waitcnt vmcnt(0)
	v_add_f64 v[8:9], v[10:11], v[2:3]
	global_atomic_cmpswap_x2 v[4:5], v[22:23], v[8:11], off offset:8 glc
	s_waitcnt vmcnt(0)
	v_cmp_eq_u64_e32 vcc, v[4:5], v[10:11]
	v_mov_b32_e32 v11, v5
	s_or_b64 s[40:41], vcc, s[40:41]
	v_mov_b32_e32 v10, v4
	s_andn2_b64 exec, exec, s[40:41]
	s_cbranch_execnz .LBB107_114
; %bb.115:
	s_or_b64 exec, exec, s[40:41]
                                        ; implicit-def: $vgpr2_vgpr3
.LBB107_116:
	s_andn2_saveexec_b64 s[2:3], s[2:3]
	s_cbranch_execz .LBB107_122
; %bb.117:
	v_mov_b32_e32 v4, s23
	v_add_co_u32_e32 v2, vcc, s22, v2
	v_addc_co_u32_e32 v3, vcc, v4, v3, vcc
	global_load_dwordx4 v[2:5], v[2:3], off
	ds_read_b128 v[6:9], v28 offset:4096
	v_subrev_u32_e32 v12, s8, v20
	v_mov_b32_e32 v13, 0x4000
	v_lshl_add_u32 v22, v12, 4, v13
	ds_read_b64 v[12:13], v22
	s_mov_b64 s[2:3], 0
	s_waitcnt vmcnt(0) lgkmcnt(1)
	v_mul_f64 v[10:11], v[4:5], -v[8:9]
	v_fma_f64 v[10:11], v[6:7], v[2:3], v[10:11]
.LBB107_118:                            ; =>This Inner Loop Header: Depth=1
	s_waitcnt lgkmcnt(0)
	v_add_f64 v[23:24], v[12:13], v[10:11]
	ds_cmpst_rtn_b64 v[23:24], v22, v[12:13], v[23:24]
	s_waitcnt lgkmcnt(0)
	v_cmp_eq_u64_e32 vcc, v[23:24], v[12:13]
	v_mov_b32_e32 v12, v23
	s_or_b64 s[2:3], vcc, s[2:3]
	v_mov_b32_e32 v13, v24
	s_andn2_b64 exec, exec, s[2:3]
	s_cbranch_execnz .LBB107_118
; %bb.119:
	s_or_b64 exec, exec, s[2:3]
	v_mul_f64 v[4:5], v[4:5], v[6:7]
	s_mov_b64 s[2:3], 0
	v_fma_f64 v[2:3], v[8:9], v[2:3], v[4:5]
	ds_read_b64 v[4:5], v22 offset:8
.LBB107_120:                            ; =>This Inner Loop Header: Depth=1
	s_waitcnt lgkmcnt(0)
	v_add_f64 v[6:7], v[4:5], v[2:3]
	ds_cmpst_rtn_b64 v[6:7], v22, v[4:5], v[6:7] offset:8
	s_waitcnt lgkmcnt(0)
	v_cmp_eq_u64_e32 vcc, v[6:7], v[4:5]
	v_mov_b32_e32 v4, v6
	s_or_b64 s[2:3], vcc, s[2:3]
	v_mov_b32_e32 v5, v7
	s_andn2_b64 exec, exec, s[2:3]
	s_cbranch_execnz .LBB107_120
; %bb.121:
	s_or_b64 exec, exec, s[2:3]
.LBB107_122:
	s_or_b64 exec, exec, s[38:39]
	v_lshlrev_b64 v[2:3], 4, v[20:21]
	v_mov_b32_e32 v4, s23
	v_add_co_u32_e32 v2, vcc, s22, v2
	v_addc_co_u32_e32 v3, vcc, v4, v3, vcc
	global_load_dwordx4 v[2:5], v[2:3], off
	ds_read_b128 v[6:9], v28 offset:4096
	s_waitcnt vmcnt(0) lgkmcnt(0)
	v_mul_f64 v[10:11], v[4:5], -v[8:9]
	v_mul_f64 v[4:5], v[4:5], v[6:7]
	v_fma_f64 v[6:7], v[6:7], v[2:3], v[10:11]
	v_fma_f64 v[8:9], v[8:9], v[2:3], v[4:5]
	v_add_co_u32_e32 v2, vcc, 0x200, v14
	v_mov_b32_e32 v4, s24
	v_addc_co_u32_e32 v3, vcc, 0, v15, vcc
	v_mov_b32_e32 v5, s25
	s_and_b64 vcc, exec, s[0:1]
	ds_write_b128 v28, v[6:9] offset:4096
	v_mov_b32_e32 v6, s20
	v_mov_b32_e32 v7, s21
	s_cbranch_vccnz .LBB107_126
; %bb.123:
	v_mov_b32_e32 v4, s24
	v_mov_b32_e32 v6, s20
	s_mov_b64 s[38:39], 0
	v_mov_b32_e32 v5, s25
	v_mov_b32_e32 v7, s21
	;; [unrolled: 1-line block ×3, first 2 shown]
.LBB107_124:                            ; =>This Inner Loop Header: Depth=1
	v_add_co_u32_e32 v9, vcc, v6, v4
	v_addc_co_u32_e32 v10, vcc, v7, v5, vcc
	v_lshrrev_b32_e32 v11, 31, v10
	v_add_co_u32_e32 v9, vcc, v9, v11
	v_addc_co_u32_e32 v10, vcc, 0, v10, vcc
	v_ashrrev_i64 v[9:10], 1, v[9:10]
	v_lshlrev_b64 v[11:12], 3, v[9:10]
	v_add_co_u32_e32 v11, vcc, s16, v11
	v_addc_co_u32_e32 v12, vcc, v8, v12, vcc
	global_load_dwordx2 v[11:12], v[11:12], off
	s_waitcnt vmcnt(0)
	v_subrev_co_u32_e32 v11, vcc, s30, v11
	v_subbrev_co_u32_e32 v12, vcc, 0, v12, vcc
	v_cmp_lt_i64_e32 vcc, v[2:3], v[11:12]
	v_cndmask_b32_e32 v6, v6, v9, vcc
	v_cndmask_b32_e32 v7, v7, v10, vcc
	;; [unrolled: 1-line block ×3, first 2 shown]
	v_add_co_u32_e64 v9, s[2:3], -1, v6
	v_cndmask_b32_e32 v5, v10, v5, vcc
	v_addc_co_u32_e64 v10, s[2:3], -1, v7, s[2:3]
	v_cmp_ge_i64_e32 vcc, v[4:5], v[6:7]
	v_cmp_eq_u64_e64 s[2:3], v[4:5], v[9:10]
	s_or_b64 s[2:3], vcc, s[2:3]
	s_and_b64 s[2:3], exec, s[2:3]
	s_or_b64 s[38:39], s[2:3], s[38:39]
	s_andn2_b64 exec, exec, s[38:39]
	s_cbranch_execnz .LBB107_124
; %bb.125:
	s_or_b64 exec, exec, s[38:39]
.LBB107_126:
	v_lshlrev_b64 v[8:9], 3, v[6:7]
	v_mov_b32_e32 v10, s17
	v_add_co_u32_e32 v8, vcc, s16, v8
	v_addc_co_u32_e32 v9, vcc, v10, v9, vcc
	global_load_dwordx2 v[8:9], v[8:9], off
	v_add_co_u32_e32 v10, vcc, 0x1000, v18
	v_addc_co_u32_e32 v11, vcc, 0, v19, vcc
	global_load_dwordx2 v[10:11], v[10:11], off
	s_waitcnt vmcnt(1)
	v_subrev_co_u32_e32 v8, vcc, s30, v8
	v_subbrev_co_u32_e32 v9, vcc, 0, v9, vcc
	v_cmp_lt_i64_e32 vcc, v[2:3], v[8:9]
	v_cndmask_b32_e32 v5, v7, v5, vcc
	v_cndmask_b32_e32 v4, v6, v4, vcc
	s_waitcnt vmcnt(0)
	v_subrev_co_u32_e32 v14, vcc, s30, v10
	v_subbrev_co_u32_e32 v15, vcc, 0, v11, vcc
	v_cmp_ne_u64_e32 vcc, v[14:15], v[4:5]
	s_and_saveexec_b64 s[38:39], vcc
	s_cbranch_execz .LBB107_140
; %bb.127:
	s_load_dwordx2 s[2:3], s[18:19], 0x0
	s_waitcnt lgkmcnt(0)
	s_sub_u32 s2, s2, s30
	s_subb_u32 s3, s3, 0
	v_cmp_gt_i64_e32 vcc, s[2:3], v[2:3]
	s_and_b64 exec, exec, vcc
	s_cbranch_execz .LBB107_140
; %bb.128:
	v_cmp_gt_i64_e32 vcc, s[8:9], v[14:15]
	v_cmp_le_i64_e64 s[2:3], s[26:27], v[14:15]
	v_lshlrev_b64 v[2:3], 4, v[4:5]
	s_or_b64 s[2:3], vcc, s[2:3]
	s_and_saveexec_b64 s[40:41], s[2:3]
	s_xor_b64 s[2:3], exec, s[40:41]
	s_cbranch_execz .LBB107_134
; %bb.129:
	v_mov_b32_e32 v4, s23
	v_add_co_u32_e32 v2, vcc, s22, v2
	v_addc_co_u32_e32 v3, vcc, v4, v3, vcc
	global_load_dwordx4 v[2:5], v[2:3], off
	v_lshlrev_b64 v[6:7], 4, v[14:15]
	v_mov_b32_e32 v8, s15
	v_add_co_u32_e32 v20, vcc, s14, v6
	v_addc_co_u32_e32 v21, vcc, v8, v7, vcc
	global_load_dwordx2 v[12:13], v[20:21], off
	ds_read_b128 v[6:9], v28 offset:8192
	s_mov_b64 s[40:41], 0
	s_waitcnt vmcnt(1) lgkmcnt(0)
	v_mul_f64 v[10:11], v[4:5], -v[8:9]
	v_fma_f64 v[22:23], v[6:7], v[2:3], v[10:11]
.LBB107_130:                            ; =>This Inner Loop Header: Depth=1
	s_waitcnt vmcnt(0)
	v_add_f64 v[10:11], v[12:13], v[22:23]
	global_atomic_cmpswap_x2 v[10:11], v[20:21], v[10:13], off glc
	s_waitcnt vmcnt(0)
	v_cmp_eq_u64_e32 vcc, v[10:11], v[12:13]
	v_mov_b32_e32 v13, v11
	s_or_b64 s[40:41], vcc, s[40:41]
	v_mov_b32_e32 v12, v10
	s_andn2_b64 exec, exec, s[40:41]
	s_cbranch_execnz .LBB107_130
; %bb.131:
	s_or_b64 exec, exec, s[40:41]
	global_load_dwordx2 v[10:11], v[20:21], off offset:8
	v_mul_f64 v[4:5], v[4:5], v[6:7]
	s_mov_b64 s[40:41], 0
	v_fma_f64 v[2:3], v[8:9], v[2:3], v[4:5]
.LBB107_132:                            ; =>This Inner Loop Header: Depth=1
	s_waitcnt vmcnt(0)
	v_add_f64 v[8:9], v[10:11], v[2:3]
	global_atomic_cmpswap_x2 v[4:5], v[20:21], v[8:11], off offset:8 glc
	s_waitcnt vmcnt(0)
	v_cmp_eq_u64_e32 vcc, v[4:5], v[10:11]
	v_mov_b32_e32 v11, v5
	s_or_b64 s[40:41], vcc, s[40:41]
	v_mov_b32_e32 v10, v4
	s_andn2_b64 exec, exec, s[40:41]
	s_cbranch_execnz .LBB107_132
; %bb.133:
	s_or_b64 exec, exec, s[40:41]
                                        ; implicit-def: $vgpr2_vgpr3
.LBB107_134:
	s_andn2_saveexec_b64 s[2:3], s[2:3]
	s_cbranch_execz .LBB107_140
; %bb.135:
	v_mov_b32_e32 v4, s23
	v_add_co_u32_e32 v2, vcc, s22, v2
	v_addc_co_u32_e32 v3, vcc, v4, v3, vcc
	global_load_dwordx4 v[2:5], v[2:3], off
	ds_read_b128 v[6:9], v28 offset:8192
	v_subrev_u32_e32 v12, s8, v14
	v_mov_b32_e32 v13, 0x4000
	v_lshl_add_u32 v20, v12, 4, v13
	ds_read_b64 v[12:13], v20
	s_mov_b64 s[2:3], 0
	s_waitcnt vmcnt(0) lgkmcnt(1)
	v_mul_f64 v[10:11], v[4:5], -v[8:9]
	v_fma_f64 v[10:11], v[6:7], v[2:3], v[10:11]
.LBB107_136:                            ; =>This Inner Loop Header: Depth=1
	s_waitcnt lgkmcnt(0)
	v_add_f64 v[21:22], v[12:13], v[10:11]
	ds_cmpst_rtn_b64 v[21:22], v20, v[12:13], v[21:22]
	s_waitcnt lgkmcnt(0)
	v_cmp_eq_u64_e32 vcc, v[21:22], v[12:13]
	v_mov_b32_e32 v12, v21
	s_or_b64 s[2:3], vcc, s[2:3]
	v_mov_b32_e32 v13, v22
	s_andn2_b64 exec, exec, s[2:3]
	s_cbranch_execnz .LBB107_136
; %bb.137:
	s_or_b64 exec, exec, s[2:3]
	v_mul_f64 v[4:5], v[4:5], v[6:7]
	s_mov_b64 s[2:3], 0
	v_fma_f64 v[2:3], v[8:9], v[2:3], v[4:5]
	ds_read_b64 v[4:5], v20 offset:8
.LBB107_138:                            ; =>This Inner Loop Header: Depth=1
	s_waitcnt lgkmcnt(0)
	v_add_f64 v[6:7], v[4:5], v[2:3]
	ds_cmpst_rtn_b64 v[6:7], v20, v[4:5], v[6:7] offset:8
	s_waitcnt lgkmcnt(0)
	v_cmp_eq_u64_e32 vcc, v[6:7], v[4:5]
	v_mov_b32_e32 v4, v6
	s_or_b64 s[2:3], vcc, s[2:3]
	v_mov_b32_e32 v5, v7
	s_andn2_b64 exec, exec, s[2:3]
	s_cbranch_execnz .LBB107_138
; %bb.139:
	s_or_b64 exec, exec, s[2:3]
.LBB107_140:
	s_or_b64 exec, exec, s[38:39]
	v_lshlrev_b64 v[2:3], 4, v[14:15]
	v_mov_b32_e32 v4, s23
	v_add_co_u32_e32 v2, vcc, s22, v2
	v_addc_co_u32_e32 v3, vcc, v4, v3, vcc
	global_load_dwordx4 v[2:5], v[2:3], off
	ds_read_b128 v[6:9], v28 offset:8192
	s_and_b64 vcc, exec, s[0:1]
	s_waitcnt vmcnt(0) lgkmcnt(0)
	v_mul_f64 v[10:11], v[4:5], -v[8:9]
	v_mul_f64 v[12:13], v[4:5], v[6:7]
	v_fma_f64 v[4:5], v[6:7], v[2:3], v[10:11]
	v_fma_f64 v[6:7], v[8:9], v[2:3], v[12:13]
	v_mov_b32_e32 v2, s24
	v_mov_b32_e32 v3, s25
	ds_write_b128 v28, v[4:7] offset:8192
	v_mov_b32_e32 v4, s20
	v_mov_b32_e32 v5, s21
	s_cbranch_vccnz .LBB107_144
; %bb.141:
	v_mov_b32_e32 v2, s24
	v_mov_b32_e32 v4, s20
	s_mov_b64 s[2:3], 0
	v_mov_b32_e32 v3, s25
	v_mov_b32_e32 v5, s21
	;; [unrolled: 1-line block ×3, first 2 shown]
.LBB107_142:                            ; =>This Inner Loop Header: Depth=1
	v_add_co_u32_e32 v7, vcc, v4, v2
	v_addc_co_u32_e32 v8, vcc, v5, v3, vcc
	v_lshrrev_b32_e32 v9, 31, v8
	v_add_co_u32_e32 v7, vcc, v7, v9
	v_addc_co_u32_e32 v8, vcc, 0, v8, vcc
	v_ashrrev_i64 v[7:8], 1, v[7:8]
	v_lshlrev_b64 v[9:10], 3, v[7:8]
	v_add_co_u32_e32 v9, vcc, s16, v9
	v_addc_co_u32_e32 v10, vcc, v6, v10, vcc
	global_load_dwordx2 v[9:10], v[9:10], off
	s_waitcnt vmcnt(0)
	v_subrev_co_u32_e32 v9, vcc, s30, v9
	v_subbrev_co_u32_e32 v10, vcc, 0, v10, vcc
	v_cmp_lt_i64_e32 vcc, v[16:17], v[9:10]
	v_cndmask_b32_e32 v4, v4, v7, vcc
	v_cndmask_b32_e32 v5, v5, v8, vcc
	;; [unrolled: 1-line block ×3, first 2 shown]
	v_add_co_u32_e64 v7, s[0:1], -1, v4
	v_cndmask_b32_e32 v3, v8, v3, vcc
	v_addc_co_u32_e64 v8, s[0:1], -1, v5, s[0:1]
	v_cmp_ge_i64_e32 vcc, v[2:3], v[4:5]
	v_cmp_eq_u64_e64 s[0:1], v[2:3], v[7:8]
	s_or_b64 s[0:1], vcc, s[0:1]
	s_and_b64 s[0:1], exec, s[0:1]
	s_or_b64 s[2:3], s[0:1], s[2:3]
	s_andn2_b64 exec, exec, s[2:3]
	s_cbranch_execnz .LBB107_142
; %bb.143:
	s_or_b64 exec, exec, s[2:3]
.LBB107_144:
	v_lshlrev_b64 v[6:7], 3, v[4:5]
	v_mov_b32_e32 v8, s17
	v_add_co_u32_e32 v6, vcc, s16, v6
	v_addc_co_u32_e32 v7, vcc, v8, v7, vcc
	global_load_dwordx2 v[6:7], v[6:7], off
	v_add_co_u32_e32 v8, vcc, 0x1000, v18
	v_addc_co_u32_e32 v9, vcc, 0, v19, vcc
	global_load_dwordx2 v[8:9], v[8:9], off offset:2048
	s_waitcnt vmcnt(1)
	v_subrev_co_u32_e32 v6, vcc, s30, v6
	v_subbrev_co_u32_e32 v7, vcc, 0, v7, vcc
	v_cmp_lt_i64_e32 vcc, v[16:17], v[6:7]
	v_cndmask_b32_e32 v3, v5, v3, vcc
	v_cndmask_b32_e32 v2, v4, v2, vcc
	s_waitcnt vmcnt(0)
	v_subrev_co_u32_e32 v14, vcc, s30, v8
	v_subbrev_co_u32_e32 v15, vcc, 0, v9, vcc
	v_cmp_ne_u64_e32 vcc, v[14:15], v[2:3]
	s_and_saveexec_b64 s[2:3], vcc
	s_cbranch_execz .LBB107_158
; %bb.145:
	s_load_dwordx2 s[0:1], s[18:19], 0x0
	s_waitcnt lgkmcnt(0)
	s_sub_u32 s0, s0, s30
	s_subb_u32 s1, s1, 0
	v_cmp_gt_i64_e32 vcc, s[0:1], v[16:17]
	s_and_b64 exec, exec, vcc
	s_cbranch_execz .LBB107_158
; %bb.146:
	v_cmp_gt_i64_e32 vcc, s[8:9], v[14:15]
	v_cmp_le_i64_e64 s[0:1], s[26:27], v[14:15]
	v_lshlrev_b64 v[2:3], 4, v[2:3]
	s_or_b64 s[0:1], vcc, s[0:1]
	s_and_saveexec_b64 s[18:19], s[0:1]
	s_xor_b64 s[0:1], exec, s[18:19]
	s_cbranch_execz .LBB107_152
; %bb.147:
	v_mov_b32_e32 v4, s23
	v_add_co_u32_e32 v2, vcc, s22, v2
	v_addc_co_u32_e32 v3, vcc, v4, v3, vcc
	global_load_dwordx4 v[2:5], v[2:3], off
	v_lshlrev_b64 v[6:7], 4, v[14:15]
	v_mov_b32_e32 v8, s15
	v_add_co_u32_e32 v16, vcc, s14, v6
	v_addc_co_u32_e32 v17, vcc, v8, v7, vcc
	global_load_dwordx2 v[12:13], v[16:17], off
	ds_read_b128 v[6:9], v28 offset:12288
	s_mov_b64 s[18:19], 0
	s_waitcnt vmcnt(1) lgkmcnt(0)
	v_mul_f64 v[10:11], v[4:5], -v[8:9]
	v_fma_f64 v[18:19], v[6:7], v[2:3], v[10:11]
.LBB107_148:                            ; =>This Inner Loop Header: Depth=1
	s_waitcnt vmcnt(0)
	v_add_f64 v[10:11], v[12:13], v[18:19]
	global_atomic_cmpswap_x2 v[10:11], v[16:17], v[10:13], off glc
	s_waitcnt vmcnt(0)
	v_cmp_eq_u64_e32 vcc, v[10:11], v[12:13]
	v_mov_b32_e32 v13, v11
	s_or_b64 s[18:19], vcc, s[18:19]
	v_mov_b32_e32 v12, v10
	s_andn2_b64 exec, exec, s[18:19]
	s_cbranch_execnz .LBB107_148
; %bb.149:
	s_or_b64 exec, exec, s[18:19]
	global_load_dwordx2 v[10:11], v[16:17], off offset:8
	v_mul_f64 v[4:5], v[4:5], v[6:7]
	s_mov_b64 s[18:19], 0
	v_fma_f64 v[2:3], v[8:9], v[2:3], v[4:5]
.LBB107_150:                            ; =>This Inner Loop Header: Depth=1
	s_waitcnt vmcnt(0)
	v_add_f64 v[8:9], v[10:11], v[2:3]
	global_atomic_cmpswap_x2 v[4:5], v[16:17], v[8:11], off offset:8 glc
	s_waitcnt vmcnt(0)
	v_cmp_eq_u64_e32 vcc, v[4:5], v[10:11]
	v_mov_b32_e32 v11, v5
	s_or_b64 s[18:19], vcc, s[18:19]
	v_mov_b32_e32 v10, v4
	s_andn2_b64 exec, exec, s[18:19]
	s_cbranch_execnz .LBB107_150
; %bb.151:
	s_or_b64 exec, exec, s[18:19]
                                        ; implicit-def: $vgpr2_vgpr3
.LBB107_152:
	s_andn2_saveexec_b64 s[0:1], s[0:1]
	s_cbranch_execz .LBB107_158
; %bb.153:
	v_mov_b32_e32 v4, s23
	v_add_co_u32_e32 v2, vcc, s22, v2
	v_addc_co_u32_e32 v3, vcc, v4, v3, vcc
	global_load_dwordx4 v[2:5], v[2:3], off
	ds_read_b128 v[6:9], v28 offset:12288
	v_subrev_u32_e32 v12, s8, v14
	v_mov_b32_e32 v13, 0x4000
	v_lshl_add_u32 v16, v12, 4, v13
	ds_read_b64 v[12:13], v16
	s_mov_b64 s[0:1], 0
	s_waitcnt vmcnt(0) lgkmcnt(1)
	v_mul_f64 v[10:11], v[4:5], -v[8:9]
	v_fma_f64 v[10:11], v[6:7], v[2:3], v[10:11]
.LBB107_154:                            ; =>This Inner Loop Header: Depth=1
	s_waitcnt lgkmcnt(0)
	v_add_f64 v[17:18], v[12:13], v[10:11]
	ds_cmpst_rtn_b64 v[17:18], v16, v[12:13], v[17:18]
	s_waitcnt lgkmcnt(0)
	v_cmp_eq_u64_e32 vcc, v[17:18], v[12:13]
	v_mov_b32_e32 v12, v17
	s_or_b64 s[0:1], vcc, s[0:1]
	v_mov_b32_e32 v13, v18
	s_andn2_b64 exec, exec, s[0:1]
	s_cbranch_execnz .LBB107_154
; %bb.155:
	s_or_b64 exec, exec, s[0:1]
	v_mul_f64 v[4:5], v[4:5], v[6:7]
	s_mov_b64 s[0:1], 0
	v_fma_f64 v[2:3], v[8:9], v[2:3], v[4:5]
	ds_read_b64 v[4:5], v16 offset:8
.LBB107_156:                            ; =>This Inner Loop Header: Depth=1
	s_waitcnt lgkmcnt(0)
	v_add_f64 v[6:7], v[4:5], v[2:3]
	ds_cmpst_rtn_b64 v[6:7], v16, v[4:5], v[6:7] offset:8
	s_waitcnt lgkmcnt(0)
	v_cmp_eq_u64_e32 vcc, v[6:7], v[4:5]
	v_mov_b32_e32 v4, v6
	s_or_b64 s[0:1], vcc, s[0:1]
	v_mov_b32_e32 v5, v7
	s_andn2_b64 exec, exec, s[0:1]
	s_cbranch_execnz .LBB107_156
; %bb.157:
	s_or_b64 exec, exec, s[0:1]
.LBB107_158:
	s_or_b64 exec, exec, s[2:3]
	v_lshlrev_b64 v[2:3], 4, v[14:15]
	v_mov_b32_e32 v4, s23
	v_add_co_u32_e32 v2, vcc, s22, v2
	v_addc_co_u32_e32 v3, vcc, v4, v3, vcc
	global_load_dwordx4 v[2:5], v[2:3], off
	ds_read_b128 v[6:9], v28 offset:12288
	s_waitcnt vmcnt(0) lgkmcnt(0)
	v_mul_f64 v[10:11], v[4:5], -v[8:9]
	v_mul_f64 v[12:13], v[4:5], v[6:7]
	v_fma_f64 v[4:5], v[6:7], v[2:3], v[10:11]
	v_fma_f64 v[6:7], v[8:9], v[2:3], v[12:13]
	ds_write_b128 v28, v[4:7] offset:12288
.LBB107_159:
	s_or_b64 exec, exec, s[4:5]
	v_mov_b32_e32 v2, s10
	v_mov_b32_e32 v3, s11
	v_cmp_lt_i64_e32 vcc, s[26:27], v[2:3]
	s_waitcnt lgkmcnt(0)
	s_and_b64 s[0:1], vcc, exec
	s_cselect_b32 s10, s26, s10
	s_cselect_b32 s0, s27, s11
	s_sub_u32 s2, s10, s28
	s_subb_u32 s3, s0, s29
	v_cmp_gt_i64_e32 vcc, s[2:3], v[0:1]
	s_barrier
	s_and_saveexec_b64 s[0:1], vcc
	s_cbranch_execz .LBB107_166
; %bb.160:
	s_lshl_b64 s[4:5], s[8:9], 4
	s_add_u32 s11, s14, s4
	s_addc_u32 s8, s15, s5
	v_mov_b32_e32 v11, v1
	s_mov_b64 s[4:5], 0
	v_mov_b32_e32 v14, s8
	v_mov_b32_e32 v15, 0x4000
	;; [unrolled: 1-line block ×3, first 2 shown]
.LBB107_161:                            ; =>This Loop Header: Depth=1
                                        ;     Child Loop BB107_162 Depth 2
                                        ;     Child Loop BB107_164 Depth 2
	v_lshlrev_b64 v[2:3], 4, v[10:11]
	s_mov_b64 s[8:9], 0
	v_add_co_u32_e32 v12, vcc, s11, v2
	v_addc_co_u32_e32 v13, vcc, v14, v3, vcc
	global_load_dwordx2 v[8:9], v[12:13], off
	v_lshl_add_u32 v2, v10, 4, v15
	ds_read2_b64 v[2:5], v2 offset1:1
.LBB107_162:                            ;   Parent Loop BB107_161 Depth=1
                                        ; =>  This Inner Loop Header: Depth=2
	s_waitcnt vmcnt(0) lgkmcnt(0)
	v_add_f64 v[6:7], v[8:9], v[2:3]
	global_atomic_cmpswap_x2 v[6:7], v[12:13], v[6:9], off glc
	s_waitcnt vmcnt(0)
	v_cmp_eq_u64_e32 vcc, v[6:7], v[8:9]
	v_mov_b32_e32 v9, v7
	s_or_b64 s[8:9], vcc, s[8:9]
	v_mov_b32_e32 v8, v6
	s_andn2_b64 exec, exec, s[8:9]
	s_cbranch_execnz .LBB107_162
; %bb.163:                              ;   in Loop: Header=BB107_161 Depth=1
	s_or_b64 exec, exec, s[8:9]
	global_load_dwordx2 v[8:9], v[12:13], off offset:8
	s_mov_b64 s[8:9], 0
.LBB107_164:                            ;   Parent Loop BB107_161 Depth=1
                                        ; =>  This Inner Loop Header: Depth=2
	s_waitcnt vmcnt(0)
	v_add_f64 v[6:7], v[8:9], v[4:5]
	global_atomic_cmpswap_x2 v[2:3], v[12:13], v[6:9], off offset:8 glc
	s_waitcnt vmcnt(0)
	v_cmp_eq_u64_e32 vcc, v[2:3], v[8:9]
	v_mov_b32_e32 v9, v3
	s_or_b64 s[8:9], vcc, s[8:9]
	v_mov_b32_e32 v8, v2
	s_andn2_b64 exec, exec, s[8:9]
	s_cbranch_execnz .LBB107_164
; %bb.165:                              ;   in Loop: Header=BB107_161 Depth=1
	s_or_b64 exec, exec, s[8:9]
	v_add_co_u32_e32 v10, vcc, 0x100, v10
	v_addc_co_u32_e32 v11, vcc, 0, v11, vcc
	v_cmp_le_i64_e32 vcc, s[2:3], v[10:11]
	s_or_b64 s[4:5], vcc, s[4:5]
	s_andn2_b64 exec, exec, s[4:5]
	s_cbranch_execnz .LBB107_161
.LBB107_166:
	s_or_b64 exec, exec, s[0:1]
	s_add_i32 s0, s36, -1
	s_ashr_i32 s1, s0, 1
	s_or_b32 s0, s1, s0
	s_ashr_i32 s1, s0, 2
	s_or_b32 s0, s1, s0
	;; [unrolled: 2-line block ×5, first 2 shown]
	s_add_i32 s0, s0, 1
	s_ashr_i32 s3, s0, 1
	v_mov_b32_e32 v2, s25
	v_add_co_u32_e32 v10, vcc, s24, v0
	v_addc_co_u32_e32 v11, vcc, 0, v2, vcc
	s_cmp_gt_i32 s3, 1
	s_mov_b64 s[0:1], -1
	s_barrier
	s_cbranch_scc1 .LBB107_179
; %bb.167:
	v_cmp_gt_i64_e32 vcc, s[26:27], v[10:11]
	s_and_saveexec_b64 s[0:1], vcc
	s_cbranch_execz .LBB107_178
; %bb.168:
	s_sub_i32 s4, s10, s26
	s_lshl_b32 s4, s4, 4
	s_add_i32 s13, s4, 0x4000
	s_lshl_b32 s4, s6, 4
	v_mov_b32_e32 v13, v11
	s_sub_i32 s18, 0, s4
	s_mov_b64 s[4:5], 0
	v_mov_b32_e32 v18, s17
	v_mov_b32_e32 v19, s15
	;; [unrolled: 1-line block ×3, first 2 shown]
.LBB107_169:                            ; =>This Loop Header: Depth=1
                                        ;     Child Loop BB107_171 Depth 2
                                        ;     Child Loop BB107_174 Depth 2
	;; [unrolled: 1-line block ×3, first 2 shown]
	v_lshlrev_b64 v[2:3], 3, v[12:13]
	v_mov_b32_e32 v14, 0
	v_add_co_u32_e32 v2, vcc, s16, v2
	v_addc_co_u32_e32 v3, vcc, v18, v3, vcc
	global_load_dwordx4 v[2:5], v[2:3], off
	v_mov_b32_e32 v6, 0
	v_mov_b32_e32 v15, 0
	;; [unrolled: 1-line block ×3, first 2 shown]
	s_waitcnt vmcnt(0)
	v_cmp_lt_i64_e32 vcc, v[2:3], v[4:5]
	s_and_saveexec_b64 s[8:9], vcc
	s_cbranch_execz .LBB107_173
; %bb.170:                              ;   in Loop: Header=BB107_169 Depth=1
	v_mov_b32_e32 v6, s7
	v_subrev_co_u32_e32 v4, vcc, s6, v4
	v_subb_co_u32_e32 v5, vcc, v5, v6, vcc
	v_subrev_co_u32_e32 v8, vcc, s6, v2
	v_subb_co_u32_e32 v9, vcc, v3, v6, vcc
	v_mov_b32_e32 v14, 0
	v_mov_b32_e32 v6, 0
	v_lshl_add_u32 v2, v2, 4, s18
	v_mov_b32_e32 v15, 0
	v_mov_b32_e32 v7, 0
	s_mov_b64 s[10:11], 0
.LBB107_171:                            ;   Parent Loop BB107_169 Depth=1
                                        ; =>  This Inner Loop Header: Depth=2
	ds_read_b128 v[20:23], v2
	v_add_co_u32_e32 v8, vcc, 1, v8
	v_addc_co_u32_e32 v9, vcc, 0, v9, vcc
	s_waitcnt lgkmcnt(0)
	v_add_f64 v[6:7], v[6:7], v[20:21]
	v_add_f64 v[14:15], v[14:15], v[22:23]
	v_cmp_ge_i64_e32 vcc, v[8:9], v[4:5]
	v_add_u32_e32 v2, 16, v2
	s_or_b64 s[10:11], vcc, s[10:11]
	s_andn2_b64 exec, exec, s[10:11]
	s_cbranch_execnz .LBB107_171
; %bb.172:                              ;   in Loop: Header=BB107_169 Depth=1
	s_or_b64 exec, exec, s[10:11]
.LBB107_173:                            ;   in Loop: Header=BB107_169 Depth=1
	s_or_b64 exec, exec, s[8:9]
	v_lshlrev_b64 v[2:3], 4, v[12:13]
	s_mov_b64 s[8:9], 0
	v_add_co_u32_e32 v16, vcc, s14, v2
	v_addc_co_u32_e32 v17, vcc, v19, v3, vcc
	global_load_dwordx2 v[8:9], v[16:17], off
	v_lshl_add_u32 v2, v12, 4, s13
	ds_read2_b64 v[2:5], v2 offset1:1
	s_waitcnt lgkmcnt(0)
	v_add_f64 v[2:3], v[6:7], v[2:3]
.LBB107_174:                            ;   Parent Loop BB107_169 Depth=1
                                        ; =>  This Inner Loop Header: Depth=2
	s_waitcnt vmcnt(0)
	v_add_f64 v[6:7], v[8:9], v[2:3]
	global_atomic_cmpswap_x2 v[6:7], v[16:17], v[6:9], off glc
	s_waitcnt vmcnt(0)
	v_cmp_eq_u64_e32 vcc, v[6:7], v[8:9]
	v_mov_b32_e32 v9, v7
	s_or_b64 s[8:9], vcc, s[8:9]
	v_mov_b32_e32 v8, v6
	s_andn2_b64 exec, exec, s[8:9]
	s_cbranch_execnz .LBB107_174
; %bb.175:                              ;   in Loop: Header=BB107_169 Depth=1
	s_or_b64 exec, exec, s[8:9]
	global_load_dwordx2 v[6:7], v[16:17], off offset:8
	v_add_f64 v[2:3], v[14:15], v[4:5]
	s_mov_b64 s[8:9], 0
.LBB107_176:                            ;   Parent Loop BB107_169 Depth=1
                                        ; =>  This Inner Loop Header: Depth=2
	s_waitcnt vmcnt(0)
	v_add_f64 v[4:5], v[6:7], v[2:3]
	global_atomic_cmpswap_x2 v[4:5], v[16:17], v[4:7], off offset:8 glc
	s_waitcnt vmcnt(0)
	v_cmp_eq_u64_e32 vcc, v[4:5], v[6:7]
	v_mov_b32_e32 v7, v5
	s_or_b64 s[8:9], vcc, s[8:9]
	v_mov_b32_e32 v6, v4
	s_andn2_b64 exec, exec, s[8:9]
	s_cbranch_execnz .LBB107_176
; %bb.177:                              ;   in Loop: Header=BB107_169 Depth=1
	s_or_b64 exec, exec, s[8:9]
	v_add_co_u32_e32 v12, vcc, s12, v12
	v_addc_co_u32_e32 v13, vcc, 0, v13, vcc
	v_cmp_le_i64_e32 vcc, s[26:27], v[12:13]
	s_or_b64 s[4:5], vcc, s[4:5]
	s_andn2_b64 exec, exec, s[4:5]
	s_cbranch_execnz .LBB107_169
.LBB107_178:
	s_or_b64 exec, exec, s[0:1]
	s_mov_b64 s[0:1], 0
.LBB107_179:
	s_andn2_b64 vcc, exec, s[0:1]
	s_cbranch_vccnz .LBB107_199
; %bb.180:
	v_cvt_f32_u32_e32 v2, s3
	s_sub_i32 s8, 0, s3
	v_mov_b32_e32 v6, s35
	v_rcp_iflag_f32_e32 v2, v2
	v_mul_f32_e32 v2, 0x4f7ffffe, v2
	v_cvt_u32_f32_e32 v2, v2
	v_mul_lo_u32 v3, s8, v2
	v_mul_hi_u32 v3, v2, v3
	v_add_u32_e32 v2, v2, v3
	v_mul_hi_u32 v2, v0, v2
	v_mov_b32_e32 v3, 0
	v_mul_lo_u32 v4, v2, s3
	v_add_u32_e32 v5, 1, v2
	v_sub_u32_e32 v4, v0, v4
	v_cmp_le_u32_e32 vcc, s3, v4
	v_cndmask_b32_e32 v2, v2, v5, vcc
	v_subrev_u32_e32 v5, s3, v4
	v_cndmask_b32_e32 v4, v4, v5, vcc
	v_add_u32_e32 v5, 1, v2
	v_cmp_le_u32_e32 vcc, s3, v4
	v_cndmask_b32_e32 v2, v2, v5, vcc
	v_lshlrev_b64 v[4:5], 3, v[2:3]
	v_add_co_u32_e32 v4, vcc, s34, v4
	v_addc_co_u32_e32 v5, vcc, v6, v5, vcc
	global_load_dwordx4 v[6:9], v[4:5], off
	v_mov_b32_e32 v4, s7
	v_mov_b32_e32 v5, s7
	s_waitcnt vmcnt(0)
	v_subrev_co_u32_e32 v6, vcc, s6, v6
	v_subb_co_u32_e32 v7, vcc, v7, v4, vcc
	v_subrev_co_u32_e32 v15, vcc, s6, v8
	v_subb_co_u32_e32 v16, vcc, v9, v5, vcc
	v_sub_co_u32_e32 v12, vcc, v15, v6
	v_subb_co_u32_e32 v5, vcc, v16, v7, vcc
	v_mov_b32_e32 v4, v3
	v_cmp_ne_u64_e32 vcc, 0, v[4:5]
                                        ; implicit-def: $vgpr8_vgpr9
	s_and_saveexec_b64 s[0:1], vcc
	s_xor_b64 s[4:5], exec, s[0:1]
	s_cbranch_execz .LBB107_182
; %bb.181:
	s_add_u32 s0, s3, 0
	s_addc_u32 s1, 0, 0
	s_xor_b64 s[6:7], s[0:1], 0
	v_cvt_f32_u32_e32 v4, s6
	v_cvt_f32_u32_e32 v8, s7
	s_sub_u32 s9, 0, s6
	s_subb_u32 s10, 0, s7
	v_ashrrev_i32_e32 v13, 31, v5
	v_madmk_f32 v4, v8, 0x4f800000, v4
	v_rcp_f32_e32 v4, v4
	v_mul_f32_e32 v4, 0x5f7ffffc, v4
	v_mul_f32_e32 v8, 0x2f800000, v4
	v_trunc_f32_e32 v8, v8
	v_madmk_f32 v4, v8, 0xcf800000, v4
	v_cvt_u32_f32_e32 v8, v8
	v_cvt_u32_f32_e32 v4, v4
	v_readfirstlane_b32 s11, v8
	v_readfirstlane_b32 s0, v4
	s_mul_i32 s1, s9, s11
	s_mul_hi_u32 s13, s9, s0
	s_mul_i32 s12, s10, s0
	s_add_i32 s1, s13, s1
	s_mul_i32 s16, s9, s0
	s_add_i32 s1, s1, s12
	s_mul_i32 s13, s0, s1
	s_mul_hi_u32 s17, s0, s16
	s_mul_hi_u32 s12, s0, s1
	s_add_u32 s13, s17, s13
	s_addc_u32 s12, 0, s12
	s_mul_hi_u32 s18, s11, s16
	s_mul_i32 s16, s11, s16
	s_add_u32 s13, s13, s16
	s_mul_hi_u32 s17, s11, s1
	s_addc_u32 s12, s12, s18
	s_addc_u32 s13, s17, 0
	s_mul_i32 s1, s11, s1
	s_add_u32 s1, s12, s1
	s_addc_u32 s12, 0, s13
	s_add_u32 s13, s0, s1
	s_cselect_b64 s[0:1], -1, 0
	s_cmp_lg_u64 s[0:1], 0
	s_addc_u32 s11, s11, s12
	s_mul_i32 s0, s9, s11
	s_mul_hi_u32 s1, s9, s13
	s_add_i32 s0, s1, s0
	s_mul_i32 s10, s10, s13
	s_add_i32 s0, s0, s10
	s_mul_i32 s9, s9, s13
	s_mul_hi_u32 s10, s11, s9
	s_mul_i32 s12, s11, s9
	s_mul_i32 s17, s13, s0
	s_mul_hi_u32 s9, s13, s9
	s_mul_hi_u32 s16, s13, s0
	s_add_u32 s9, s9, s17
	s_addc_u32 s16, 0, s16
	s_add_u32 s9, s9, s12
	s_mul_hi_u32 s1, s11, s0
	s_addc_u32 s9, s16, s10
	s_addc_u32 s1, s1, 0
	s_mul_i32 s0, s11, s0
	s_add_u32 s0, s9, s0
	s_addc_u32 s9, 0, s1
	s_add_u32 s10, s13, s0
	s_cselect_b64 s[0:1], -1, 0
	s_cmp_lg_u64 s[0:1], 0
	v_add_co_u32_e32 v4, vcc, v12, v13
	s_addc_u32 s9, s11, s9
	v_xor_b32_e32 v12, v4, v13
	v_addc_co_u32_e32 v8, vcc, v5, v13, vcc
	v_mad_u64_u32 v[4:5], s[0:1], v12, s9, 0
	v_mul_hi_u32 v9, v12, s10
	v_xor_b32_e32 v14, v8, v13
	v_add_co_u32_e32 v17, vcc, v9, v4
	v_addc_co_u32_e32 v18, vcc, 0, v5, vcc
	v_mad_u64_u32 v[4:5], s[0:1], v14, s10, 0
	v_mad_u64_u32 v[8:9], s[0:1], v14, s9, 0
	v_add_co_u32_e32 v4, vcc, v17, v4
	v_addc_co_u32_e32 v4, vcc, v18, v5, vcc
	v_addc_co_u32_e32 v5, vcc, 0, v9, vcc
	v_add_co_u32_e32 v8, vcc, v4, v8
	v_addc_co_u32_e32 v9, vcc, 0, v5, vcc
	v_mul_lo_u32 v17, s7, v8
	v_mul_lo_u32 v18, s6, v9
	v_mad_u64_u32 v[4:5], s[0:1], s6, v8, 0
	v_add3_u32 v5, v5, v18, v17
	v_sub_u32_e32 v17, v14, v5
	v_mov_b32_e32 v18, s7
	v_sub_co_u32_e32 v4, vcc, v12, v4
	v_subb_co_u32_e64 v12, s[0:1], v17, v18, vcc
	v_subrev_co_u32_e64 v17, s[0:1], s6, v4
	v_subbrev_co_u32_e64 v12, s[0:1], 0, v12, s[0:1]
	v_cmp_le_u32_e64 s[0:1], s7, v12
	v_cndmask_b32_e64 v18, 0, -1, s[0:1]
	v_cmp_le_u32_e64 s[0:1], s6, v17
	v_cndmask_b32_e64 v17, 0, -1, s[0:1]
	v_cmp_eq_u32_e64 s[0:1], s7, v12
	v_cndmask_b32_e64 v12, v18, v17, s[0:1]
	v_add_co_u32_e64 v17, s[0:1], 2, v8
	v_subb_co_u32_e32 v5, vcc, v14, v5, vcc
	v_addc_co_u32_e64 v18, s[0:1], 0, v9, s[0:1]
	v_cmp_le_u32_e32 vcc, s7, v5
	v_add_co_u32_e64 v19, s[0:1], 1, v8
	v_cndmask_b32_e64 v14, 0, -1, vcc
	v_cmp_le_u32_e32 vcc, s6, v4
	v_addc_co_u32_e64 v20, s[0:1], 0, v9, s[0:1]
	v_cndmask_b32_e64 v4, 0, -1, vcc
	v_cmp_eq_u32_e32 vcc, s7, v5
	v_cmp_ne_u32_e64 s[0:1], 0, v12
	v_cndmask_b32_e32 v4, v14, v4, vcc
	v_cmp_ne_u32_e32 vcc, 0, v4
	v_cndmask_b32_e64 v5, v19, v17, s[0:1]
	v_cndmask_b32_e64 v12, v20, v18, s[0:1]
	v_cndmask_b32_e32 v5, v8, v5, vcc
	v_cndmask_b32_e32 v4, v9, v12, vcc
	v_xor_b32_e32 v5, v5, v13
	v_xor_b32_e32 v4, v4, v13
	v_sub_co_u32_e32 v8, vcc, v5, v13
	v_subb_co_u32_e32 v9, vcc, v4, v13, vcc
                                        ; implicit-def: $vgpr12
.LBB107_182:
	s_andn2_saveexec_b64 s[0:1], s[4:5]
	s_cbranch_execz .LBB107_184
; %bb.183:
	v_cvt_f32_u32_e32 v4, s3
	v_rcp_iflag_f32_e32 v4, v4
	v_mul_f32_e32 v4, 0x4f7ffffe, v4
	v_cvt_u32_f32_e32 v4, v4
	v_mul_lo_u32 v5, s8, v4
	v_mul_hi_u32 v5, v4, v5
	v_add_u32_e32 v4, v4, v5
	v_mul_hi_u32 v4, v12, v4
	v_mul_lo_u32 v5, v4, s3
	v_add_u32_e32 v8, 1, v4
	v_sub_u32_e32 v5, v12, v5
	v_subrev_u32_e32 v9, s3, v5
	v_cmp_le_u32_e32 vcc, s3, v5
	v_cndmask_b32_e32 v5, v5, v9, vcc
	v_cndmask_b32_e32 v4, v4, v8, vcc
	v_add_u32_e32 v8, 1, v4
	v_cmp_le_u32_e32 vcc, s3, v5
	v_cndmask_b32_e32 v8, v4, v8, vcc
	v_mov_b32_e32 v9, 0
.LBB107_184:
	s_or_b64 exec, exec, s[0:1]
	v_cmp_gt_i64_e32 vcc, s[28:29], v[2:3]
	v_mov_b32_e32 v4, 0
	v_mov_b32_e32 v2, 0
	;; [unrolled: 1-line block ×4, first 2 shown]
	s_and_saveexec_b64 s[0:1], vcc
	s_cbranch_execz .LBB107_192
; %bb.185:
	s_add_i32 s4, s3, -1
	v_and_b32_e32 v12, s4, v0
	v_cmp_lt_i64_e32 vcc, 0, v[8:9]
	v_mov_b32_e32 v4, 0
	v_mov_b32_e32 v2, 0
	s_mov_b64 s[4:5], 0
	v_mov_b32_e32 v5, 0
	v_mov_b32_e32 v3, 0
	v_lshlrev_b32_e32 v17, 4, v12
	s_and_saveexec_b64 s[6:7], vcc
	s_cbranch_execz .LBB107_189
; %bb.186:
	v_mov_b32_e32 v4, 0
	v_mov_b32_e32 v5, 0
	;; [unrolled: 1-line block ×4, first 2 shown]
	v_lshl_add_u32 v18, v6, 4, v17
	s_lshl_b32 s8, s3, 4
	v_mov_b32_e32 v13, v8
	v_mov_b32_e32 v3, v5
.LBB107_187:                            ; =>This Inner Loop Header: Depth=1
	ds_read_b128 v[19:22], v18
	v_add_co_u32_e32 v13, vcc, -1, v13
	v_addc_co_u32_e32 v14, vcc, -1, v14, vcc
	s_waitcnt lgkmcnt(0)
	v_add_f64 v[2:3], v[2:3], v[19:20]
	v_add_f64 v[4:5], v[4:5], v[21:22]
	v_cmp_eq_u64_e32 vcc, 0, v[13:14]
	v_add_u32_e32 v18, s8, v18
	s_or_b64 s[4:5], vcc, s[4:5]
	s_andn2_b64 exec, exec, s[4:5]
	s_cbranch_execnz .LBB107_187
; %bb.188:
	s_or_b64 exec, exec, s[4:5]
.LBB107_189:
	s_or_b64 exec, exec, s[6:7]
	v_mad_u64_u32 v[6:7], s[4:5], v8, s3, v[6:7]
	v_mov_b32_e32 v13, 0
	v_mad_u64_u32 v[7:8], s[4:5], v9, s3, v[7:8]
	v_sub_co_u32_e32 v8, vcc, v15, v6
	v_subb_co_u32_e32 v9, vcc, v16, v7, vcc
	v_cmp_gt_i64_e32 vcc, v[8:9], v[12:13]
	s_and_saveexec_b64 s[4:5], vcc
	s_cbranch_execz .LBB107_191
; %bb.190:
	v_lshl_add_u32 v6, v6, 4, v17
	ds_read_b128 v[6:9], v6
	s_waitcnt lgkmcnt(0)
	v_add_f64 v[2:3], v[2:3], v[6:7]
	v_add_f64 v[4:5], v[4:5], v[8:9]
.LBB107_191:
	s_or_b64 exec, exec, s[4:5]
.LBB107_192:
	s_or_b64 exec, exec, s[0:1]
	v_cmp_gt_i64_e32 vcc, s[28:29], v[0:1]
	s_barrier
	ds_write_b128 v28, v[2:5]
	s_waitcnt lgkmcnt(0)
	s_barrier
	s_and_b64 exec, exec, vcc
	s_cbranch_execz .LBB107_199
; %bb.193:
	v_mul_lo_u32 v1, s3, v0
	v_mov_b32_e32 v8, 0
	v_mov_b32_e32 v4, 0
	;; [unrolled: 1-line block ×4, first 2 shown]
	v_lshlrev_b32_e32 v1, 4, v1
.LBB107_194:                            ; =>This Inner Loop Header: Depth=1
	ds_read_b128 v[12:15], v1
	s_add_i32 s3, s3, -1
	s_cmp_eq_u32 s3, 0
	v_add_u32_e32 v1, 16, v1
	s_waitcnt lgkmcnt(0)
	v_add_f64 v[4:5], v[4:5], v[12:13]
	v_add_f64 v[8:9], v[8:9], v[14:15]
	s_cbranch_scc0 .LBB107_194
; %bb.195:
	v_lshlrev_b64 v[1:2], 4, v[10:11]
	v_mov_b32_e32 v3, s15
	v_add_co_u32_e32 v10, vcc, s14, v1
	v_addc_co_u32_e32 v11, vcc, v3, v2, vcc
	global_load_dwordx2 v[6:7], v[10:11], off
	s_lshl_b32 s0, s2, 4
	s_addk_i32 s0, 0x4000
	v_lshl_add_u32 v0, v0, 4, s0
	ds_read2_b64 v[0:3], v0 offset1:1
	s_mov_b64 s[0:1], 0
	s_waitcnt lgkmcnt(0)
	v_add_f64 v[0:1], v[4:5], v[0:1]
.LBB107_196:                            ; =>This Inner Loop Header: Depth=1
	s_waitcnt vmcnt(0)
	v_add_f64 v[4:5], v[6:7], v[0:1]
	global_atomic_cmpswap_x2 v[4:5], v[10:11], v[4:7], off glc
	s_waitcnt vmcnt(0)
	v_cmp_eq_u64_e32 vcc, v[4:5], v[6:7]
	v_mov_b32_e32 v7, v5
	s_or_b64 s[0:1], vcc, s[0:1]
	v_mov_b32_e32 v6, v4
	s_andn2_b64 exec, exec, s[0:1]
	s_cbranch_execnz .LBB107_196
; %bb.197:
	s_or_b64 exec, exec, s[0:1]
	global_load_dwordx2 v[4:5], v[10:11], off offset:8
	v_add_f64 v[0:1], v[8:9], v[2:3]
	s_mov_b64 s[0:1], 0
.LBB107_198:                            ; =>This Inner Loop Header: Depth=1
	s_waitcnt vmcnt(0)
	v_add_f64 v[2:3], v[4:5], v[0:1]
	global_atomic_cmpswap_x2 v[2:3], v[10:11], v[2:5], off offset:8 glc
	s_waitcnt vmcnt(0)
	v_cmp_eq_u64_e32 vcc, v[2:3], v[4:5]
	v_mov_b32_e32 v5, v3
	s_or_b64 s[0:1], vcc, s[0:1]
	v_mov_b32_e32 v4, v2
	s_andn2_b64 exec, exec, s[0:1]
	s_cbranch_execnz .LBB107_198
.LBB107_199:
	s_endpgm
	.section	.rodata,"a",@progbits
	.p2align	6, 0x0
	.amdhsa_kernel _ZN9rocsparseL27csrmvn_symm_adaptive_kernelIlld21rocsparse_complex_numIdES2_S2_EEvbT_S3_PKS3_NS_24const_host_device_scalarIT4_EES5_PKT0_PKT1_PKT2_S8_PT3_21rocsparse_index_base_b
		.amdhsa_group_segment_fixed_size 16384
		.amdhsa_private_segment_fixed_size 0
		.amdhsa_kernarg_size 368
		.amdhsa_user_sgpr_count 6
		.amdhsa_user_sgpr_private_segment_buffer 1
		.amdhsa_user_sgpr_dispatch_ptr 0
		.amdhsa_user_sgpr_queue_ptr 0
		.amdhsa_user_sgpr_kernarg_segment_ptr 1
		.amdhsa_user_sgpr_dispatch_id 0
		.amdhsa_user_sgpr_flat_scratch_init 0
		.amdhsa_user_sgpr_private_segment_size 0
		.amdhsa_uses_dynamic_stack 0
		.amdhsa_system_sgpr_private_segment_wavefront_offset 0
		.amdhsa_system_sgpr_workgroup_id_x 1
		.amdhsa_system_sgpr_workgroup_id_y 0
		.amdhsa_system_sgpr_workgroup_id_z 0
		.amdhsa_system_sgpr_workgroup_info 0
		.amdhsa_system_vgpr_workitem_id 0
		.amdhsa_next_free_vgpr 49
		.amdhsa_next_free_sgpr 98
		.amdhsa_reserve_vcc 1
		.amdhsa_reserve_flat_scratch 0
		.amdhsa_float_round_mode_32 0
		.amdhsa_float_round_mode_16_64 0
		.amdhsa_float_denorm_mode_32 3
		.amdhsa_float_denorm_mode_16_64 3
		.amdhsa_dx10_clamp 1
		.amdhsa_ieee_mode 1
		.amdhsa_fp16_overflow 0
		.amdhsa_exception_fp_ieee_invalid_op 0
		.amdhsa_exception_fp_denorm_src 0
		.amdhsa_exception_fp_ieee_div_zero 0
		.amdhsa_exception_fp_ieee_overflow 0
		.amdhsa_exception_fp_ieee_underflow 0
		.amdhsa_exception_fp_ieee_inexact 0
		.amdhsa_exception_int_div_zero 0
	.end_amdhsa_kernel
	.section	.text._ZN9rocsparseL27csrmvn_symm_adaptive_kernelIlld21rocsparse_complex_numIdES2_S2_EEvbT_S3_PKS3_NS_24const_host_device_scalarIT4_EES5_PKT0_PKT1_PKT2_S8_PT3_21rocsparse_index_base_b,"axG",@progbits,_ZN9rocsparseL27csrmvn_symm_adaptive_kernelIlld21rocsparse_complex_numIdES2_S2_EEvbT_S3_PKS3_NS_24const_host_device_scalarIT4_EES5_PKT0_PKT1_PKT2_S8_PT3_21rocsparse_index_base_b,comdat
.Lfunc_end107:
	.size	_ZN9rocsparseL27csrmvn_symm_adaptive_kernelIlld21rocsparse_complex_numIdES2_S2_EEvbT_S3_PKS3_NS_24const_host_device_scalarIT4_EES5_PKT0_PKT1_PKT2_S8_PT3_21rocsparse_index_base_b, .Lfunc_end107-_ZN9rocsparseL27csrmvn_symm_adaptive_kernelIlld21rocsparse_complex_numIdES2_S2_EEvbT_S3_PKS3_NS_24const_host_device_scalarIT4_EES5_PKT0_PKT1_PKT2_S8_PT3_21rocsparse_index_base_b
                                        ; -- End function
	.set _ZN9rocsparseL27csrmvn_symm_adaptive_kernelIlld21rocsparse_complex_numIdES2_S2_EEvbT_S3_PKS3_NS_24const_host_device_scalarIT4_EES5_PKT0_PKT1_PKT2_S8_PT3_21rocsparse_index_base_b.num_vgpr, 33
	.set _ZN9rocsparseL27csrmvn_symm_adaptive_kernelIlld21rocsparse_complex_numIdES2_S2_EEvbT_S3_PKS3_NS_24const_host_device_scalarIT4_EES5_PKT0_PKT1_PKT2_S8_PT3_21rocsparse_index_base_b.num_agpr, 0
	.set _ZN9rocsparseL27csrmvn_symm_adaptive_kernelIlld21rocsparse_complex_numIdES2_S2_EEvbT_S3_PKS3_NS_24const_host_device_scalarIT4_EES5_PKT0_PKT1_PKT2_S8_PT3_21rocsparse_index_base_b.numbered_sgpr, 52
	.set _ZN9rocsparseL27csrmvn_symm_adaptive_kernelIlld21rocsparse_complex_numIdES2_S2_EEvbT_S3_PKS3_NS_24const_host_device_scalarIT4_EES5_PKT0_PKT1_PKT2_S8_PT3_21rocsparse_index_base_b.num_named_barrier, 0
	.set _ZN9rocsparseL27csrmvn_symm_adaptive_kernelIlld21rocsparse_complex_numIdES2_S2_EEvbT_S3_PKS3_NS_24const_host_device_scalarIT4_EES5_PKT0_PKT1_PKT2_S8_PT3_21rocsparse_index_base_b.private_seg_size, 0
	.set _ZN9rocsparseL27csrmvn_symm_adaptive_kernelIlld21rocsparse_complex_numIdES2_S2_EEvbT_S3_PKS3_NS_24const_host_device_scalarIT4_EES5_PKT0_PKT1_PKT2_S8_PT3_21rocsparse_index_base_b.uses_vcc, 1
	.set _ZN9rocsparseL27csrmvn_symm_adaptive_kernelIlld21rocsparse_complex_numIdES2_S2_EEvbT_S3_PKS3_NS_24const_host_device_scalarIT4_EES5_PKT0_PKT1_PKT2_S8_PT3_21rocsparse_index_base_b.uses_flat_scratch, 0
	.set _ZN9rocsparseL27csrmvn_symm_adaptive_kernelIlld21rocsparse_complex_numIdES2_S2_EEvbT_S3_PKS3_NS_24const_host_device_scalarIT4_EES5_PKT0_PKT1_PKT2_S8_PT3_21rocsparse_index_base_b.has_dyn_sized_stack, 0
	.set _ZN9rocsparseL27csrmvn_symm_adaptive_kernelIlld21rocsparse_complex_numIdES2_S2_EEvbT_S3_PKS3_NS_24const_host_device_scalarIT4_EES5_PKT0_PKT1_PKT2_S8_PT3_21rocsparse_index_base_b.has_recursion, 0
	.set _ZN9rocsparseL27csrmvn_symm_adaptive_kernelIlld21rocsparse_complex_numIdES2_S2_EEvbT_S3_PKS3_NS_24const_host_device_scalarIT4_EES5_PKT0_PKT1_PKT2_S8_PT3_21rocsparse_index_base_b.has_indirect_call, 0
	.section	.AMDGPU.csdata,"",@progbits
; Kernel info:
; codeLenInByte = 10228
; TotalNumSgprs: 56
; NumVgprs: 33
; ScratchSize: 0
; MemoryBound: 0
; FloatMode: 240
; IeeeMode: 1
; LDSByteSize: 16384 bytes/workgroup (compile time only)
; SGPRBlocks: 12
; VGPRBlocks: 12
; NumSGPRsForWavesPerEU: 102
; NumVGPRsForWavesPerEU: 49
; Occupancy: 4
; WaveLimiterHint : 1
; COMPUTE_PGM_RSRC2:SCRATCH_EN: 0
; COMPUTE_PGM_RSRC2:USER_SGPR: 6
; COMPUTE_PGM_RSRC2:TRAP_HANDLER: 0
; COMPUTE_PGM_RSRC2:TGID_X_EN: 1
; COMPUTE_PGM_RSRC2:TGID_Y_EN: 0
; COMPUTE_PGM_RSRC2:TGID_Z_EN: 0
; COMPUTE_PGM_RSRC2:TIDIG_COMP_CNT: 0
	.section	.text._ZL33csrmvn_symm_large_adaptive_kernelIlld21rocsparse_complex_numIdES1_S1_EvbT_PKS2_N9rocsparse24const_host_device_scalarIT4_EES4_PKT0_PKT1_PKT2_S8_PT3_21rocsparse_index_base_b,"axG",@progbits,_ZL33csrmvn_symm_large_adaptive_kernelIlld21rocsparse_complex_numIdES1_S1_EvbT_PKS2_N9rocsparse24const_host_device_scalarIT4_EES4_PKT0_PKT1_PKT2_S8_PT3_21rocsparse_index_base_b,comdat
	.globl	_ZL33csrmvn_symm_large_adaptive_kernelIlld21rocsparse_complex_numIdES1_S1_EvbT_PKS2_N9rocsparse24const_host_device_scalarIT4_EES4_PKT0_PKT1_PKT2_S8_PT3_21rocsparse_index_base_b ; -- Begin function _ZL33csrmvn_symm_large_adaptive_kernelIlld21rocsparse_complex_numIdES1_S1_EvbT_PKS2_N9rocsparse24const_host_device_scalarIT4_EES4_PKT0_PKT1_PKT2_S8_PT3_21rocsparse_index_base_b
	.p2align	8
	.type	_ZL33csrmvn_symm_large_adaptive_kernelIlld21rocsparse_complex_numIdES1_S1_EvbT_PKS2_N9rocsparse24const_host_device_scalarIT4_EES4_PKT0_PKT1_PKT2_S8_PT3_21rocsparse_index_base_b,@function
_ZL33csrmvn_symm_large_adaptive_kernelIlld21rocsparse_complex_numIdES1_S1_EvbT_PKS2_N9rocsparse24const_host_device_scalarIT4_EES4_PKT0_PKT1_PKT2_S8_PT3_21rocsparse_index_base_b: ; @_ZL33csrmvn_symm_large_adaptive_kernelIlld21rocsparse_complex_numIdES1_S1_EvbT_PKS2_N9rocsparse24const_host_device_scalarIT4_EES4_PKT0_PKT1_PKT2_S8_PT3_21rocsparse_index_base_b
; %bb.0:
	s_load_dwordx2 s[24:25], s[4:5], 0x60
	s_load_dwordx2 s[0:1], s[4:5], 0x18
	s_add_u32 s7, s4, 24
	s_addc_u32 s10, s5, 0
	s_waitcnt lgkmcnt(0)
	s_bitcmp1_b32 s25, 0
	s_cselect_b64 s[8:9], -1, 0
	s_and_b64 s[2:3], s[8:9], exec
	s_cselect_b32 s1, s10, s1
	s_cselect_b32 s0, s7, s0
	v_mov_b32_e32 v1, s0
	v_mov_b32_e32 v2, s1
	flat_load_dwordx4 v[1:4], v[1:2]
	s_waitcnt vmcnt(0) lgkmcnt(0)
	v_cmp_eq_f64_e32 vcc, 0, v[1:2]
	v_cmp_eq_f64_e64 s[0:1], 0, v[3:4]
	s_and_b64 s[10:11], vcc, s[0:1]
	s_mov_b64 s[0:1], -1
	s_and_saveexec_b64 s[2:3], s[10:11]
	s_cbranch_execz .LBB108_2
; %bb.1:
	s_load_dwordx2 s[0:1], s[4:5], 0x48
	s_add_u32 s7, s4, 0x48
	s_addc_u32 s10, s5, 0
	s_and_b64 s[8:9], s[8:9], exec
	s_waitcnt lgkmcnt(0)
	s_cselect_b32 s1, s10, s1
	s_cselect_b32 s0, s7, s0
	v_mov_b32_e32 v5, s0
	v_mov_b32_e32 v6, s1
	flat_load_dwordx4 v[5:8], v[5:6]
	s_waitcnt vmcnt(0) lgkmcnt(0)
	v_cmp_neq_f64_e32 vcc, 1.0, v[5:6]
	v_cmp_neq_f64_e64 s[0:1], 0, v[7:8]
	s_or_b64 s[0:1], vcc, s[0:1]
	s_orn2_b64 s[0:1], s[0:1], exec
.LBB108_2:
	s_or_b64 exec, exec, s[2:3]
	s_and_saveexec_b64 s[2:3], s[0:1]
	s_cbranch_execz .LBB108_45
; %bb.3:
	s_load_dwordx2 s[8:9], s[4:5], 0x10
	s_mov_b32 s0, 0
	s_mov_b32 s3, s0
	s_mov_b32 s1, s0
	s_mov_b32 s2, s0
	v_mov_b32_e32 v8, s3
	s_ashr_i32 s7, s6, 31
	v_mov_b32_e32 v7, s2
	v_mov_b32_e32 v6, s1
	;; [unrolled: 1-line block ×3, first 2 shown]
	s_lshl_b64 s[0:1], s[6:7], 3
	s_waitcnt lgkmcnt(0)
	s_add_u32 s0, s8, s0
	v_lshlrev_b32_e32 v17, 4, v0
	s_addc_u32 s1, s9, s1
	ds_write_b128 v17, v[5:8]
	ds_write_b128 v17, v[5:8] offset:4096
	ds_write_b128 v17, v[5:8] offset:8192
	;; [unrolled: 1-line block ×3, first 2 shown]
	s_waitcnt lgkmcnt(0)
	s_barrier
	s_load_dwordx4 s[20:23], s[0:1], 0x0
	s_load_dwordx2 s[26:27], s[4:5], 0x58
	s_load_dwordx8 s[12:19], s[4:5], 0x28
	v_subrev_co_u32_e64 v18, s[0:1], s24, v0
	s_waitcnt lgkmcnt(0)
	v_mov_b32_e32 v5, s22
	v_mov_b32_e32 v6, s23
	v_cmp_ge_i64_e32 vcc, s[20:21], v[5:6]
	v_mov_b32_e32 v20, 0
	v_subb_co_u32_e64 v19, s[0:1], 0, 0, s[0:1]
	s_cbranch_vccnz .LBB108_33
; %bb.4:
	s_movk_i32 s25, 0x100
	s_mov_b32 s28, 0
	v_mov_b32_e32 v13, s22
	v_cmp_gt_u32_e64 s[0:1], s25, v0
	v_cmp_gt_u32_e64 s[2:3], 64, v0
	;; [unrolled: 1-line block ×4, first 2 shown]
	v_cmp_eq_u32_e64 s[8:9], 0, v0
	s_brev_b32 s29, 1
	v_mov_b32_e32 v14, s23
	s_mov_b64 s[30:31], s[20:21]
	s_branch .LBB108_6
.LBB108_5:                              ;   in Loop: Header=BB108_6 Depth=1
	s_or_b64 exec, exec, s[10:11]
	s_add_u32 s30, s30, 1
	s_addc_u32 s31, s31, 0
	v_cmp_ge_i64_e32 vcc, s[30:31], v[13:14]
	s_cbranch_vccnz .LBB108_33
.LBB108_6:                              ; =>This Loop Header: Depth=1
                                        ;     Child Loop BB108_8 Depth 2
                                        ;     Child Loop BB108_22 Depth 2
	;; [unrolled: 1-line block ×5, first 2 shown]
	s_lshl_b64 s[10:11], s[30:31], 3
	s_add_u32 s10, s12, s10
	s_addc_u32 s11, s13, s11
	s_load_dwordx4 s[36:39], s[10:11], 0x0
	v_mov_b32_e32 v7, 0
	v_mov_b32_e32 v5, 0
	;; [unrolled: 1-line block ×4, first 2 shown]
	s_waitcnt lgkmcnt(0)
	s_sub_u32 s34, s38, s24
	v_mov_b32_e32 v0, s37
	v_add_co_u32_e32 v9, vcc, s36, v18
	s_subb_u32 s35, s39, 0
	v_addc_co_u32_e32 v10, vcc, v0, v19, vcc
	v_cmp_gt_i64_e32 vcc, s[34:35], v[9:10]
	s_and_saveexec_b64 s[36:37], vcc
	s_cbranch_execz .LBB108_10
; %bb.7:                                ;   in Loop: Header=BB108_6 Depth=1
	v_lshlrev_b64 v[5:6], 3, v[9:10]
	v_mov_b32_e32 v0, s15
	v_add_co_u32_e32 v11, vcc, s14, v5
	v_addc_co_u32_e32 v12, vcc, v0, v6, vcc
	v_mov_b32_e32 v0, s17
	v_add_co_u32_e32 v15, vcc, s16, v5
	v_mov_b32_e32 v7, 0
	v_addc_co_u32_e32 v16, vcc, v0, v6, vcc
	v_mov_b32_e32 v8, 0
	v_mov_b32_e32 v5, v7
	s_mov_b64 s[38:39], 0
	v_mov_b32_e32 v6, v8
.LBB108_8:                              ;   Parent Loop BB108_6 Depth=1
                                        ; =>  This Inner Loop Header: Depth=2
	global_load_dwordx2 v[21:22], v[11:12], off
	global_load_dwordx2 v[25:26], v[15:16], off
	v_mov_b32_e32 v0, s19
	s_waitcnt vmcnt(1)
	v_subrev_co_u32_e32 v21, vcc, s24, v21
	v_subbrev_co_u32_e32 v22, vcc, 0, v22, vcc
	v_lshlrev_b64 v[21:22], 4, v[21:22]
	v_add_co_u32_e32 v21, vcc, s18, v21
	v_addc_co_u32_e32 v22, vcc, v0, v22, vcc
	global_load_dwordx4 v[21:24], v[21:22], off
	v_add_co_u32_e32 v9, vcc, s25, v9
	v_addc_co_u32_e32 v10, vcc, 0, v10, vcc
	v_add_co_u32_e32 v11, vcc, 0x800, v11
	v_addc_co_u32_e32 v12, vcc, 0, v12, vcc
	v_cmp_le_i64_e64 s[10:11], s[34:35], v[9:10]
	v_add_co_u32_e32 v15, vcc, 0x800, v15
	s_or_b64 s[38:39], s[10:11], s[38:39]
	v_addc_co_u32_e32 v16, vcc, 0, v16, vcc
	s_waitcnt vmcnt(0)
	v_fma_f64 v[5:6], v[25:26], v[21:22], v[5:6]
	v_fma_f64 v[7:8], v[21:22], 0, v[7:8]
	;; [unrolled: 1-line block ×4, first 2 shown]
	s_andn2_b64 exec, exec, s[38:39]
	s_cbranch_execnz .LBB108_8
; %bb.9:                                ;   in Loop: Header=BB108_6 Depth=1
	s_or_b64 exec, exec, s[38:39]
.LBB108_10:                             ;   in Loop: Header=BB108_6 Depth=1
	s_or_b64 exec, exec, s[36:37]
	ds_write_b128 v17, v[5:8]
	s_waitcnt lgkmcnt(0)
	s_barrier
	s_and_saveexec_b64 s[10:11], s[0:1]
	s_cbranch_execz .LBB108_12
; %bb.11:                               ;   in Loop: Header=BB108_6 Depth=1
	ds_read_b128 v[5:8], v17 offset:4096
	ds_read_b128 v[9:12], v17 offset:8192
	ds_read_b128 v[21:24], v17 offset:12288
	ds_read_b128 v[25:28], v17
	s_waitcnt lgkmcnt(2)
	v_add_f64 v[5:6], v[9:10], v[5:6]
	v_add_f64 v[7:8], v[11:12], v[7:8]
	s_waitcnt lgkmcnt(1)
	v_add_f64 v[5:6], v[5:6], v[21:22]
	v_add_f64 v[7:8], v[7:8], v[23:24]
	s_waitcnt lgkmcnt(0)
	v_add_f64 v[5:6], v[5:6], v[25:26]
	v_add_f64 v[7:8], v[7:8], v[27:28]
	ds_write_b128 v17, v[5:8]
.LBB108_12:                             ;   in Loop: Header=BB108_6 Depth=1
	s_or_b64 exec, exec, s[10:11]
	s_waitcnt lgkmcnt(0)
	s_barrier
	s_and_saveexec_b64 s[10:11], s[2:3]
	s_cbranch_execz .LBB108_14
; %bb.13:                               ;   in Loop: Header=BB108_6 Depth=1
	ds_read_b128 v[5:8], v17 offset:1024
	ds_read_b128 v[9:12], v17 offset:2048
	ds_read_b128 v[21:24], v17 offset:3072
	ds_read_b128 v[25:28], v17
	s_waitcnt lgkmcnt(2)
	v_add_f64 v[5:6], v[9:10], v[5:6]
	v_add_f64 v[7:8], v[11:12], v[7:8]
	s_waitcnt lgkmcnt(1)
	v_add_f64 v[5:6], v[5:6], v[21:22]
	v_add_f64 v[7:8], v[7:8], v[23:24]
	s_waitcnt lgkmcnt(0)
	v_add_f64 v[5:6], v[5:6], v[25:26]
	v_add_f64 v[7:8], v[7:8], v[27:28]
	ds_write_b128 v17, v[5:8]
.LBB108_14:                             ;   in Loop: Header=BB108_6 Depth=1
	s_or_b64 exec, exec, s[10:11]
	;; [unrolled: 21-line block ×5, first 2 shown]
	s_waitcnt lgkmcnt(0)
	s_barrier
	s_and_saveexec_b64 s[10:11], s[8:9]
	s_cbranch_execz .LBB108_5
; %bb.21:                               ;   in Loop: Header=BB108_6 Depth=1
	ds_read_b128 v[5:8], v20
	v_mov_b32_e32 v15, 0
	s_mov_b64 s[34:35], exec
	v_bfrev_b32_e32 v16, 1
	s_waitcnt lgkmcnt(0)
	v_mul_f64 v[9:10], v[7:8], -v[3:4]
	v_fma_f64 v[9:10], v[1:2], v[5:6], v[9:10]
.LBB108_22:                             ;   Parent Loop BB108_6 Depth=1
                                        ; =>  This Inner Loop Header: Depth=2
	s_ff1_i32_b64 s33, s[34:35]
	v_readlane_b32 s37, v10, s33
	v_readlane_b32 s36, v9, s33
	v_add_f64 v[15:16], v[15:16], s[36:37]
	s_lshl_b64 s[36:37], 1, s33
	s_andn2_b64 s[34:35], s[34:35], s[36:37]
	s_cmp_lg_u64 s[34:35], 0
	s_cbranch_scc1 .LBB108_22
; %bb.23:                               ;   in Loop: Header=BB108_6 Depth=1
	s_lshl_b64 s[34:35], s[30:31], 4
	v_mbcnt_lo_u32_b32 v0, exec_lo, 0
	s_add_u32 s34, s26, s34
	v_mbcnt_hi_u32_b32 v0, exec_hi, v0
	s_addc_u32 s35, s27, s35
	v_cmp_eq_u32_e32 vcc, 0, v0
	s_and_saveexec_b64 s[36:37], vcc
	s_xor_b64 s[36:37], exec, s[36:37]
	s_cbranch_execz .LBB108_27
; %bb.24:                               ;   in Loop: Header=BB108_6 Depth=1
	global_load_dwordx2 v[11:12], v20, s[34:35]
	s_mov_b64 s[38:39], 0
.LBB108_25:                             ;   Parent Loop BB108_6 Depth=1
                                        ; =>  This Inner Loop Header: Depth=2
	s_waitcnt vmcnt(0)
	v_add_f64 v[9:10], v[11:12], v[15:16]
	global_atomic_cmpswap_x2 v[9:10], v20, v[9:12], s[34:35] glc
	s_waitcnt vmcnt(0)
	v_cmp_eq_u64_e32 vcc, v[9:10], v[11:12]
	v_mov_b32_e32 v12, v10
	s_or_b64 s[38:39], vcc, s[38:39]
	v_mov_b32_e32 v11, v9
	s_andn2_b64 exec, exec, s[38:39]
	s_cbranch_execnz .LBB108_25
; %bb.26:                               ;   in Loop: Header=BB108_6 Depth=1
	s_or_b64 exec, exec, s[38:39]
.LBB108_27:                             ;   in Loop: Header=BB108_6 Depth=1
	s_or_b64 exec, exec, s[36:37]
	v_mul_f64 v[7:8], v[1:2], v[7:8]
	v_mov_b32_e32 v9, 0
	s_mov_b64 s[36:37], exec
	v_bfrev_b32_e32 v10, 1
	v_fma_f64 v[5:6], v[3:4], v[5:6], v[7:8]
.LBB108_28:                             ;   Parent Loop BB108_6 Depth=1
                                        ; =>  This Inner Loop Header: Depth=2
	s_ff1_i32_b64 s33, s[36:37]
	v_readlane_b32 s39, v6, s33
	v_readlane_b32 s38, v5, s33
	v_add_f64 v[9:10], v[9:10], s[38:39]
	s_lshl_b64 s[38:39], 1, s33
	s_andn2_b64 s[36:37], s[36:37], s[38:39]
	s_cmp_lg_u64 s[36:37], 0
	s_cbranch_scc1 .LBB108_28
; %bb.29:                               ;   in Loop: Header=BB108_6 Depth=1
	v_mbcnt_lo_u32_b32 v0, exec_lo, 0
	v_mbcnt_hi_u32_b32 v0, exec_hi, v0
	v_cmp_eq_u32_e32 vcc, 0, v0
	s_and_saveexec_b64 s[36:37], vcc
	s_xor_b64 s[36:37], exec, s[36:37]
	s_cbranch_execz .LBB108_5
; %bb.30:                               ;   in Loop: Header=BB108_6 Depth=1
	global_load_dwordx2 v[7:8], v20, s[34:35] offset:8
	s_mov_b64 s[36:37], 0
.LBB108_31:                             ;   Parent Loop BB108_6 Depth=1
                                        ; =>  This Inner Loop Header: Depth=2
	s_waitcnt vmcnt(0)
	v_add_f64 v[5:6], v[7:8], v[9:10]
	global_atomic_cmpswap_x2 v[5:6], v20, v[5:8], s[34:35] offset:8 glc
	s_waitcnt vmcnt(0)
	v_cmp_eq_u64_e32 vcc, v[5:6], v[7:8]
	v_mov_b32_e32 v8, v6
	s_or_b64 s[36:37], vcc, s[36:37]
	v_mov_b32_e32 v7, v5
	s_andn2_b64 exec, exec, s[36:37]
	s_cbranch_execnz .LBB108_31
; %bb.32:                               ;   in Loop: Header=BB108_6 Depth=1
	s_or_b64 exec, exec, s[36:37]
	s_branch .LBB108_5
.LBB108_33:
	s_lshl_b64 s[0:1], s[20:21], 3
	s_add_u32 s0, s12, s0
	s_addc_u32 s1, s13, s1
	s_lshl_b64 s[2:3], s[22:23], 3
	s_add_u32 s2, s12, s2
	s_addc_u32 s3, s13, s3
	s_load_dwordx2 s[6:7], s[0:1], 0x0
	s_load_dwordx2 s[4:5], s[2:3], 0x0
	s_waitcnt lgkmcnt(0)
	v_mov_b32_e32 v0, s7
	s_sub_u32 s4, s4, s24
	v_add_co_u32_e32 v13, vcc, s6, v18
	s_subb_u32 s5, s5, 0
	v_addc_co_u32_e32 v14, vcc, v0, v19, vcc
	v_cmp_gt_i64_e32 vcc, s[4:5], v[13:14]
	s_and_b64 exec, exec, vcc
	s_cbranch_execz .LBB108_45
; %bb.34:
	s_add_u32 s6, s22, -1
	s_addc_u32 s7, s23, -1
	s_add_u32 s0, s22, -2
	s_addc_u32 s1, s23, -1
	s_cmp_lg_u64 s[20:21], s[0:1]
	s_mov_b32 s0, 0
	s_brev_b32 s1, 1
	v_mul_f64 v[15:16], v[3:4], s[0:1]
	v_mul_f64 v[17:18], v[1:2], 0
	v_mov_b32_e32 v5, s6
	v_mov_b32_e32 v6, s7
	v_cmp_lt_i64_e32 vcc, s[20:21], v[5:6]
	s_cselect_b64 s[0:1], -1, 0
	s_and_b64 s[0:1], vcc, s[0:1]
	v_cndmask_b32_e64 v0, 0, 1, s[0:1]
	s_mov_b64 s[8:9], 0
	v_cmp_ne_u32_e64 s[0:1], 1, v0
	v_mov_b32_e32 v0, s13
	v_mov_b32_e32 v27, s15
	s_branch .LBB108_36
.LBB108_35:                             ;   in Loop: Header=BB108_36 Depth=1
	s_or_b64 exec, exec, s[2:3]
	v_add_co_u32_e32 v13, vcc, 0x100, v13
	v_addc_co_u32_e32 v14, vcc, 0, v14, vcc
	v_cmp_le_i64_e32 vcc, s[4:5], v[13:14]
	s_or_b64 s[8:9], vcc, s[8:9]
	s_andn2_b64 exec, exec, s[8:9]
	s_cbranch_execz .LBB108_45
.LBB108_36:                             ; =>This Loop Header: Depth=1
                                        ;     Child Loop BB108_38 Depth 2
                                        ;     Child Loop BB108_42 Depth 2
                                        ;     Child Loop BB108_44 Depth 2
	v_mov_b32_e32 v5, s20
	v_mov_b32_e32 v8, s7
	s_and_b64 vcc, exec, s[0:1]
	v_mov_b32_e32 v6, s21
	v_mov_b32_e32 v7, s6
	s_cbranch_vccnz .LBB108_40
; %bb.37:                               ;   in Loop: Header=BB108_36 Depth=1
	v_mov_b32_e32 v5, s20
	v_mov_b32_e32 v8, s7
	s_mov_b64 s[10:11], 0
	v_mov_b32_e32 v6, s21
	v_mov_b32_e32 v7, s6
.LBB108_38:                             ;   Parent Loop BB108_36 Depth=1
                                        ; =>  This Inner Loop Header: Depth=2
	v_add_co_u32_e32 v9, vcc, v7, v5
	v_addc_co_u32_e32 v10, vcc, v8, v6, vcc
	v_lshrrev_b32_e32 v11, 31, v10
	v_add_co_u32_e32 v9, vcc, v9, v11
	v_addc_co_u32_e32 v10, vcc, 0, v10, vcc
	v_ashrrev_i64 v[9:10], 1, v[9:10]
	v_mov_b32_e32 v19, s13
	v_lshlrev_b64 v[11:12], 3, v[9:10]
	v_add_co_u32_e32 v11, vcc, s12, v11
	v_addc_co_u32_e32 v12, vcc, v19, v12, vcc
	global_load_dwordx2 v[11:12], v[11:12], off
	s_waitcnt vmcnt(0)
	v_subrev_co_u32_e32 v11, vcc, s24, v11
	v_subbrev_co_u32_e32 v12, vcc, 0, v12, vcc
	v_cmp_lt_i64_e32 vcc, v[13:14], v[11:12]
	v_cndmask_b32_e32 v7, v7, v9, vcc
	v_cndmask_b32_e32 v8, v8, v10, vcc
	;; [unrolled: 1-line block ×3, first 2 shown]
	v_add_co_u32_e64 v9, s[2:3], -1, v7
	v_cndmask_b32_e32 v6, v10, v6, vcc
	v_addc_co_u32_e64 v10, s[2:3], -1, v8, s[2:3]
	v_cmp_ge_i64_e32 vcc, v[5:6], v[7:8]
	v_cmp_eq_u64_e64 s[2:3], v[5:6], v[9:10]
	s_or_b64 s[2:3], vcc, s[2:3]
	s_and_b64 s[2:3], exec, s[2:3]
	s_or_b64 s[10:11], s[2:3], s[10:11]
	s_andn2_b64 exec, exec, s[10:11]
	s_cbranch_execnz .LBB108_38
; %bb.39:                               ;   in Loop: Header=BB108_36 Depth=1
	s_or_b64 exec, exec, s[10:11]
.LBB108_40:                             ;   in Loop: Header=BB108_36 Depth=1
	v_lshlrev_b64 v[9:10], 3, v[7:8]
	v_lshlrev_b64 v[11:12], 3, v[13:14]
	v_add_co_u32_e32 v9, vcc, s12, v9
	v_addc_co_u32_e32 v10, vcc, v0, v10, vcc
	global_load_dwordx2 v[9:10], v[9:10], off
	v_add_co_u32_e32 v19, vcc, s14, v11
	v_addc_co_u32_e32 v20, vcc, v27, v12, vcc
	global_load_dwordx2 v[19:20], v[19:20], off
	s_waitcnt vmcnt(1)
	v_subrev_co_u32_e32 v9, vcc, s24, v9
	v_subbrev_co_u32_e32 v10, vcc, 0, v10, vcc
	v_cmp_lt_i64_e32 vcc, v[13:14], v[9:10]
	v_cndmask_b32_e32 v6, v8, v6, vcc
	v_cndmask_b32_e32 v5, v7, v5, vcc
	s_waitcnt vmcnt(0)
	v_subrev_co_u32_e32 v9, vcc, s24, v19
	v_subbrev_co_u32_e32 v10, vcc, 0, v20, vcc
	v_cmp_ne_u64_e32 vcc, v[9:10], v[5:6]
	s_and_saveexec_b64 s[2:3], vcc
	s_cbranch_execz .LBB108_35
; %bb.41:                               ;   in Loop: Header=BB108_36 Depth=1
	v_mov_b32_e32 v8, s17
	v_add_co_u32_e32 v7, vcc, s16, v11
	v_addc_co_u32_e32 v8, vcc, v8, v12, vcc
	global_load_dwordx2 v[23:24], v[7:8], off
	v_lshlrev_b64 v[5:6], 4, v[5:6]
	v_mov_b32_e32 v7, s19
	v_add_co_u32_e32 v5, vcc, s18, v5
	v_addc_co_u32_e32 v6, vcc, v7, v6, vcc
	global_load_dwordx4 v[5:8], v[5:6], off
	v_lshlrev_b64 v[9:10], 4, v[9:10]
	v_mov_b32_e32 v11, s27
	v_add_co_u32_e32 v19, vcc, s26, v9
	v_addc_co_u32_e32 v20, vcc, v11, v10, vcc
	global_load_dwordx2 v[11:12], v[19:20], off
	s_mov_b64 s[10:11], 0
	s_waitcnt vmcnt(2)
	v_fma_f64 v[21:22], v[3:4], v[23:24], v[17:18]
	v_fma_f64 v[23:24], v[1:2], v[23:24], v[15:16]
	s_waitcnt vmcnt(1)
	v_mul_f64 v[9:10], v[7:8], -v[21:22]
	v_fma_f64 v[25:26], v[23:24], v[5:6], v[9:10]
.LBB108_42:                             ;   Parent Loop BB108_36 Depth=1
                                        ; =>  This Inner Loop Header: Depth=2
	s_waitcnt vmcnt(0)
	v_add_f64 v[9:10], v[11:12], v[25:26]
	global_atomic_cmpswap_x2 v[9:10], v[19:20], v[9:12], off glc
	s_waitcnt vmcnt(0)
	v_cmp_eq_u64_e32 vcc, v[9:10], v[11:12]
	v_mov_b32_e32 v12, v10
	s_or_b64 s[10:11], vcc, s[10:11]
	v_mov_b32_e32 v11, v9
	s_andn2_b64 exec, exec, s[10:11]
	s_cbranch_execnz .LBB108_42
; %bb.43:                               ;   in Loop: Header=BB108_36 Depth=1
	s_or_b64 exec, exec, s[10:11]
	global_load_dwordx2 v[9:10], v[19:20], off offset:8
	v_mul_f64 v[7:8], v[23:24], v[7:8]
	s_mov_b64 s[10:11], 0
	v_fma_f64 v[5:6], v[21:22], v[5:6], v[7:8]
.LBB108_44:                             ;   Parent Loop BB108_36 Depth=1
                                        ; =>  This Inner Loop Header: Depth=2
	s_waitcnt vmcnt(0)
	v_add_f64 v[7:8], v[9:10], v[5:6]
	global_atomic_cmpswap_x2 v[7:8], v[19:20], v[7:10], off offset:8 glc
	s_waitcnt vmcnt(0)
	v_cmp_eq_u64_e32 vcc, v[7:8], v[9:10]
	v_mov_b32_e32 v10, v8
	s_or_b64 s[10:11], vcc, s[10:11]
	v_mov_b32_e32 v9, v7
	s_andn2_b64 exec, exec, s[10:11]
	s_cbranch_execnz .LBB108_44
	s_branch .LBB108_35
.LBB108_45:
	s_endpgm
	.section	.rodata,"a",@progbits
	.p2align	6, 0x0
	.amdhsa_kernel _ZL33csrmvn_symm_large_adaptive_kernelIlld21rocsparse_complex_numIdES1_S1_EvbT_PKS2_N9rocsparse24const_host_device_scalarIT4_EES4_PKT0_PKT1_PKT2_S8_PT3_21rocsparse_index_base_b
		.amdhsa_group_segment_fixed_size 16384
		.amdhsa_private_segment_fixed_size 0
		.amdhsa_kernarg_size 104
		.amdhsa_user_sgpr_count 6
		.amdhsa_user_sgpr_private_segment_buffer 1
		.amdhsa_user_sgpr_dispatch_ptr 0
		.amdhsa_user_sgpr_queue_ptr 0
		.amdhsa_user_sgpr_kernarg_segment_ptr 1
		.amdhsa_user_sgpr_dispatch_id 0
		.amdhsa_user_sgpr_flat_scratch_init 0
		.amdhsa_user_sgpr_private_segment_size 0
		.amdhsa_uses_dynamic_stack 0
		.amdhsa_system_sgpr_private_segment_wavefront_offset 0
		.amdhsa_system_sgpr_workgroup_id_x 1
		.amdhsa_system_sgpr_workgroup_id_y 0
		.amdhsa_system_sgpr_workgroup_id_z 0
		.amdhsa_system_sgpr_workgroup_info 0
		.amdhsa_system_vgpr_workitem_id 0
		.amdhsa_next_free_vgpr 49
		.amdhsa_next_free_sgpr 98
		.amdhsa_reserve_vcc 1
		.amdhsa_reserve_flat_scratch 0
		.amdhsa_float_round_mode_32 0
		.amdhsa_float_round_mode_16_64 0
		.amdhsa_float_denorm_mode_32 3
		.amdhsa_float_denorm_mode_16_64 3
		.amdhsa_dx10_clamp 1
		.amdhsa_ieee_mode 1
		.amdhsa_fp16_overflow 0
		.amdhsa_exception_fp_ieee_invalid_op 0
		.amdhsa_exception_fp_denorm_src 0
		.amdhsa_exception_fp_ieee_div_zero 0
		.amdhsa_exception_fp_ieee_overflow 0
		.amdhsa_exception_fp_ieee_underflow 0
		.amdhsa_exception_fp_ieee_inexact 0
		.amdhsa_exception_int_div_zero 0
	.end_amdhsa_kernel
	.section	.text._ZL33csrmvn_symm_large_adaptive_kernelIlld21rocsparse_complex_numIdES1_S1_EvbT_PKS2_N9rocsparse24const_host_device_scalarIT4_EES4_PKT0_PKT1_PKT2_S8_PT3_21rocsparse_index_base_b,"axG",@progbits,_ZL33csrmvn_symm_large_adaptive_kernelIlld21rocsparse_complex_numIdES1_S1_EvbT_PKS2_N9rocsparse24const_host_device_scalarIT4_EES4_PKT0_PKT1_PKT2_S8_PT3_21rocsparse_index_base_b,comdat
.Lfunc_end108:
	.size	_ZL33csrmvn_symm_large_adaptive_kernelIlld21rocsparse_complex_numIdES1_S1_EvbT_PKS2_N9rocsparse24const_host_device_scalarIT4_EES4_PKT0_PKT1_PKT2_S8_PT3_21rocsparse_index_base_b, .Lfunc_end108-_ZL33csrmvn_symm_large_adaptive_kernelIlld21rocsparse_complex_numIdES1_S1_EvbT_PKS2_N9rocsparse24const_host_device_scalarIT4_EES4_PKT0_PKT1_PKT2_S8_PT3_21rocsparse_index_base_b
                                        ; -- End function
	.set _ZL33csrmvn_symm_large_adaptive_kernelIlld21rocsparse_complex_numIdES1_S1_EvbT_PKS2_N9rocsparse24const_host_device_scalarIT4_EES4_PKT0_PKT1_PKT2_S8_PT3_21rocsparse_index_base_b.num_vgpr, 29
	.set _ZL33csrmvn_symm_large_adaptive_kernelIlld21rocsparse_complex_numIdES1_S1_EvbT_PKS2_N9rocsparse24const_host_device_scalarIT4_EES4_PKT0_PKT1_PKT2_S8_PT3_21rocsparse_index_base_b.num_agpr, 0
	.set _ZL33csrmvn_symm_large_adaptive_kernelIlld21rocsparse_complex_numIdES1_S1_EvbT_PKS2_N9rocsparse24const_host_device_scalarIT4_EES4_PKT0_PKT1_PKT2_S8_PT3_21rocsparse_index_base_b.numbered_sgpr, 40
	.set _ZL33csrmvn_symm_large_adaptive_kernelIlld21rocsparse_complex_numIdES1_S1_EvbT_PKS2_N9rocsparse24const_host_device_scalarIT4_EES4_PKT0_PKT1_PKT2_S8_PT3_21rocsparse_index_base_b.num_named_barrier, 0
	.set _ZL33csrmvn_symm_large_adaptive_kernelIlld21rocsparse_complex_numIdES1_S1_EvbT_PKS2_N9rocsparse24const_host_device_scalarIT4_EES4_PKT0_PKT1_PKT2_S8_PT3_21rocsparse_index_base_b.private_seg_size, 0
	.set _ZL33csrmvn_symm_large_adaptive_kernelIlld21rocsparse_complex_numIdES1_S1_EvbT_PKS2_N9rocsparse24const_host_device_scalarIT4_EES4_PKT0_PKT1_PKT2_S8_PT3_21rocsparse_index_base_b.uses_vcc, 1
	.set _ZL33csrmvn_symm_large_adaptive_kernelIlld21rocsparse_complex_numIdES1_S1_EvbT_PKS2_N9rocsparse24const_host_device_scalarIT4_EES4_PKT0_PKT1_PKT2_S8_PT3_21rocsparse_index_base_b.uses_flat_scratch, 0
	.set _ZL33csrmvn_symm_large_adaptive_kernelIlld21rocsparse_complex_numIdES1_S1_EvbT_PKS2_N9rocsparse24const_host_device_scalarIT4_EES4_PKT0_PKT1_PKT2_S8_PT3_21rocsparse_index_base_b.has_dyn_sized_stack, 0
	.set _ZL33csrmvn_symm_large_adaptive_kernelIlld21rocsparse_complex_numIdES1_S1_EvbT_PKS2_N9rocsparse24const_host_device_scalarIT4_EES4_PKT0_PKT1_PKT2_S8_PT3_21rocsparse_index_base_b.has_recursion, 0
	.set _ZL33csrmvn_symm_large_adaptive_kernelIlld21rocsparse_complex_numIdES1_S1_EvbT_PKS2_N9rocsparse24const_host_device_scalarIT4_EES4_PKT0_PKT1_PKT2_S8_PT3_21rocsparse_index_base_b.has_indirect_call, 0
	.section	.AMDGPU.csdata,"",@progbits
; Kernel info:
; codeLenInByte = 2448
; TotalNumSgprs: 44
; NumVgprs: 29
; ScratchSize: 0
; MemoryBound: 0
; FloatMode: 240
; IeeeMode: 1
; LDSByteSize: 16384 bytes/workgroup (compile time only)
; SGPRBlocks: 12
; VGPRBlocks: 12
; NumSGPRsForWavesPerEU: 102
; NumVGPRsForWavesPerEU: 49
; Occupancy: 4
; WaveLimiterHint : 1
; COMPUTE_PGM_RSRC2:SCRATCH_EN: 0
; COMPUTE_PGM_RSRC2:USER_SGPR: 6
; COMPUTE_PGM_RSRC2:TRAP_HANDLER: 0
; COMPUTE_PGM_RSRC2:TGID_X_EN: 1
; COMPUTE_PGM_RSRC2:TGID_Y_EN: 0
; COMPUTE_PGM_RSRC2:TGID_Z_EN: 0
; COMPUTE_PGM_RSRC2:TIDIG_COMP_CNT: 0
	.section	.text._ZN9rocsparseL22csrmvn_adaptive_kernelIii21rocsparse_complex_numIfES1_IdES3_S3_EEvbT_PKS4_PjPKT0_NS_24const_host_device_scalarIT4_EES6_SA_PKT1_PKT2_SD_PT3_21rocsparse_index_base_b,"axG",@progbits,_ZN9rocsparseL22csrmvn_adaptive_kernelIii21rocsparse_complex_numIfES1_IdES3_S3_EEvbT_PKS4_PjPKT0_NS_24const_host_device_scalarIT4_EES6_SA_PKT1_PKT2_SD_PT3_21rocsparse_index_base_b,comdat
	.globl	_ZN9rocsparseL22csrmvn_adaptive_kernelIii21rocsparse_complex_numIfES1_IdES3_S3_EEvbT_PKS4_PjPKT0_NS_24const_host_device_scalarIT4_EES6_SA_PKT1_PKT2_SD_PT3_21rocsparse_index_base_b ; -- Begin function _ZN9rocsparseL22csrmvn_adaptive_kernelIii21rocsparse_complex_numIfES1_IdES3_S3_EEvbT_PKS4_PjPKT0_NS_24const_host_device_scalarIT4_EES6_SA_PKT1_PKT2_SD_PT3_21rocsparse_index_base_b
	.p2align	8
	.type	_ZN9rocsparseL22csrmvn_adaptive_kernelIii21rocsparse_complex_numIfES1_IdES3_S3_EEvbT_PKS4_PjPKT0_NS_24const_host_device_scalarIT4_EES6_SA_PKT1_PKT2_SD_PT3_21rocsparse_index_base_b,@function
_ZN9rocsparseL22csrmvn_adaptive_kernelIii21rocsparse_complex_numIfES1_IdES3_S3_EEvbT_PKS4_PjPKT0_NS_24const_host_device_scalarIT4_EES6_SA_PKT1_PKT2_SD_PT3_21rocsparse_index_base_b: ; @_ZN9rocsparseL22csrmvn_adaptive_kernelIii21rocsparse_complex_numIfES1_IdES3_S3_EEvbT_PKS4_PjPKT0_NS_24const_host_device_scalarIT4_EES6_SA_PKT1_PKT2_SD_PT3_21rocsparse_index_base_b
; %bb.0:
	s_load_dwordx2 s[0:1], s[4:5], 0x20
	s_load_dwordx2 s[40:41], s[4:5], 0x68
	s_add_u32 s7, s4, 32
	s_addc_u32 s8, s5, 0
	s_add_u32 s9, s4, 0x50
	s_addc_u32 s10, s5, 0
	s_waitcnt lgkmcnt(0)
	s_bitcmp1_b32 s41, 0
	s_cselect_b32 s1, s8, s1
	s_cselect_b32 s0, s7, s0
	v_mov_b32_e32 v1, s0
	v_mov_b32_e32 v2, s1
	flat_load_dwordx4 v[5:8], v[1:2]
	s_load_dwordx2 s[2:3], s[4:5], 0x50
	s_waitcnt lgkmcnt(0)
	s_cselect_b32 s0, s10, s3
	s_cselect_b32 s1, s9, s2
	v_mov_b32_e32 v1, s1
	v_mov_b32_e32 v2, s0
	flat_load_dwordx4 v[1:4], v[1:2]
	s_waitcnt vmcnt(0)
	v_cmp_eq_f64_e32 vcc, 0, v[5:6]
	v_cmp_eq_f64_e64 s[0:1], 0, v[7:8]
	s_and_b64 s[8:9], vcc, s[0:1]
	s_mov_b64 s[0:1], -1
	s_and_saveexec_b64 s[2:3], s[8:9]
	s_cbranch_execz .LBB109_2
; %bb.1:
	s_waitcnt lgkmcnt(0)
	v_cmp_neq_f64_e32 vcc, 1.0, v[1:2]
	v_cmp_neq_f64_e64 s[0:1], 0, v[3:4]
	s_or_b64 s[0:1], vcc, s[0:1]
	s_orn2_b64 s[0:1], s[0:1], exec
.LBB109_2:
	s_or_b64 exec, exec, s[2:3]
	s_and_saveexec_b64 s[2:3], s[0:1]
	s_cbranch_execz .LBB109_116
; %bb.3:
	s_load_dwordx4 s[36:39], s[4:5], 0x0
	s_load_dwordx2 s[0:1], s[4:5], 0x18
	s_waitcnt lgkmcnt(0)
	s_bitcmp1_b32 s36, 0
	s_cselect_b64 s[42:43], -1, 0
	s_ashr_i32 s7, s6, 31
	s_lshl_b64 s[46:47], s[6:7], 2
	s_add_u32 s2, s38, s46
	s_addc_u32 s3, s39, s47
	s_load_dwordx2 s[34:35], s[2:3], 0x0
	s_load_dwordx2 s[22:23], s[4:5], 0x60
	s_load_dwordx8 s[24:31], s[4:5], 0x30
	s_waitcnt lgkmcnt(0)
	s_sub_i32 s2, s35, s34
	s_add_u32 s0, s0, s46
	s_mov_b32 s44, s34
	s_addc_u32 s1, s1, s47
	s_ashr_i32 s45, s34, 31
	s_load_dword s33, s[0:1], 0x0
	s_lshl_b64 s[0:1], s[44:45], 2
	s_add_u32 s38, s24, s0
	s_addc_u32 s39, s25, s1
	s_load_dword s36, s[38:39], 0x0
	s_cmp_lt_i32 s2, 2
	s_mov_b64 s[0:1], -1
	s_cbranch_scc0 .LBB109_72
; %bb.4:
	s_cmp_lg_u32 s2, 1
	s_cselect_b64 s[0:1], -1, 0
	s_waitcnt lgkmcnt(0)
	s_cmp_lg_u32 s33, 0
	s_cselect_b64 s[2:3], -1, 0
	s_or_b64 s[0:1], s[0:1], s[2:3]
	s_mov_b64 s[18:19], -1
	s_and_b64 vcc, exec, s[0:1]
	v_cmp_gt_u32_e64 s[0:1], 64, v0
	v_cmp_gt_u32_e64 s[2:3], 32, v0
	;; [unrolled: 1-line block ×6, first 2 shown]
	v_cmp_eq_u32_e64 s[16:17], 0, v0
	s_cbranch_vccnz .LBB109_32
; %bb.5:
	v_cmp_neq_f64_e32 vcc, 0, v[1:2]
	v_cmp_neq_f64_e64 s[20:21], 0, v[3:4]
	s_movk_i32 s7, 0x80
	v_cmp_gt_u32_e64 s[18:19], s7, v0
	v_subrev_u32_e32 v19, s40, v0
	v_lshlrev_b32_e32 v20, 4, v0
	v_mov_b32_e32 v21, 0
	s_mov_b32 s50, s34
	s_or_b64 s[48:49], vcc, s[20:21]
	s_add_u32 s7, s28, 4
	s_addc_u32 s41, s29, 0
	s_branch .LBB109_8
.LBB109_6:                              ;   in Loop: Header=BB109_8 Depth=1
	s_or_b64 exec, exec, s[52:53]
	s_lshl_b64 s[52:53], s[50:51], 4
	s_add_u32 s52, s22, s52
	s_addc_u32 s53, s23, s53
	s_waitcnt lgkmcnt(0)
	global_store_dwordx4 v21, v[9:12], s[52:53]
.LBB109_7:                              ;   in Loop: Header=BB109_8 Depth=1
	s_or_b64 exec, exec, s[20:21]
	s_add_i32 s50, s50, 1
	s_cmp_ge_i32 s50, s35
	s_cbranch_scc1 .LBB109_31
.LBB109_8:                              ; =>This Loop Header: Depth=1
                                        ;     Child Loop BB109_10 Depth 2
	s_ashr_i32 s51, s50, 31
	s_lshl_b64 s[20:21], s[50:51], 2
	s_add_u32 s20, s24, s20
	s_addc_u32 s21, s25, s21
	s_load_dwordx2 s[52:53], s[20:21], 0x0
	v_mov_b32_e32 v11, 0
	v_mov_b32_e32 v9, 0
	;; [unrolled: 1-line block ×4, first 2 shown]
	s_waitcnt lgkmcnt(0)
	s_sub_i32 s56, s53, s40
	v_add_u32_e32 v13, s52, v19
	v_cmp_gt_i32_e32 vcc, s56, v13
	s_and_saveexec_b64 s[52:53], vcc
	s_cbranch_execz .LBB109_12
; %bb.9:                                ;   in Loop: Header=BB109_8 Depth=1
	v_ashrrev_i32_e32 v14, 31, v13
	v_lshlrev_b64 v[9:10], 3, v[13:14]
	v_mov_b32_e32 v11, s41
	v_add_co_u32_e32 v15, vcc, s7, v9
	v_addc_co_u32_e32 v16, vcc, v11, v10, vcc
	v_lshlrev_b64 v[9:10], 2, v[13:14]
	v_mov_b32_e32 v11, s27
	v_add_co_u32_e32 v17, vcc, s26, v9
	v_addc_co_u32_e32 v18, vcc, v11, v10, vcc
	v_mov_b32_e32 v11, 0
	v_mov_b32_e32 v12, 0
	;; [unrolled: 1-line block ×3, first 2 shown]
	s_mov_b64 s[54:55], 0
	v_mov_b32_e32 v10, v12
.LBB109_10:                             ;   Parent Loop BB109_8 Depth=1
                                        ; =>  This Inner Loop Header: Depth=2
	global_load_dword v14, v[17:18], off
	global_load_dwordx2 v[26:27], v[15:16], off offset:-4
	v_mov_b32_e32 v24, s31
	v_add_u32_e32 v13, 0x100, v13
	v_cmp_le_i32_e64 s[20:21], s56, v13
	s_or_b64 s[54:55], s[20:21], s[54:55]
	s_waitcnt vmcnt(1)
	v_subrev_u32_e32 v22, s40, v14
	v_ashrrev_i32_e32 v23, 31, v22
	v_lshlrev_b64 v[22:23], 4, v[22:23]
	s_waitcnt vmcnt(0)
	v_cndmask_b32_e64 v14, v27, -v27, s[42:43]
	v_add_co_u32_e32 v22, vcc, s30, v22
	v_addc_co_u32_e32 v23, vcc, v24, v23, vcc
	global_load_dwordx4 v[22:25], v[22:23], off
	v_cvt_f64_f32_e32 v[27:28], v14
	v_cvt_f64_f32_e32 v[31:32], v26
	v_add_co_u32_e32 v15, vcc, 0x800, v15
	v_mul_f64 v[29:30], -v[7:8], v[27:28]
	v_mul_f64 v[27:28], v[5:6], v[27:28]
	v_addc_co_u32_e32 v16, vcc, 0, v16, vcc
	v_add_co_u32_e32 v17, vcc, 0x400, v17
	v_addc_co_u32_e32 v18, vcc, 0, v18, vcc
	v_fma_f64 v[29:30], v[5:6], v[31:32], v[29:30]
	v_fma_f64 v[26:27], v[7:8], v[31:32], v[27:28]
	s_waitcnt vmcnt(0)
	v_fma_f64 v[9:10], v[29:30], v[22:23], v[9:10]
	v_fma_f64 v[11:12], v[26:27], v[22:23], v[11:12]
	v_fma_f64 v[9:10], -v[26:27], v[24:25], v[9:10]
	v_fma_f64 v[11:12], v[29:30], v[24:25], v[11:12]
	s_andn2_b64 exec, exec, s[54:55]
	s_cbranch_execnz .LBB109_10
; %bb.11:                               ;   in Loop: Header=BB109_8 Depth=1
	s_or_b64 exec, exec, s[54:55]
.LBB109_12:                             ;   in Loop: Header=BB109_8 Depth=1
	s_or_b64 exec, exec, s[52:53]
	ds_write_b128 v20, v[9:12]
	s_waitcnt vmcnt(0) lgkmcnt(0)
	s_barrier
	s_and_saveexec_b64 s[20:21], s[18:19]
	s_cbranch_execz .LBB109_14
; %bb.13:                               ;   in Loop: Header=BB109_8 Depth=1
	ds_read_b128 v[9:12], v20 offset:2048
	ds_read_b128 v[13:16], v20
	s_waitcnt lgkmcnt(0)
	v_add_f64 v[9:10], v[9:10], v[13:14]
	v_add_f64 v[11:12], v[11:12], v[15:16]
	ds_write_b128 v20, v[9:12]
.LBB109_14:                             ;   in Loop: Header=BB109_8 Depth=1
	s_or_b64 exec, exec, s[20:21]
	s_waitcnt lgkmcnt(0)
	s_barrier
	s_and_saveexec_b64 s[20:21], s[0:1]
	s_cbranch_execz .LBB109_16
; %bb.15:                               ;   in Loop: Header=BB109_8 Depth=1
	ds_read_b128 v[9:12], v20 offset:1024
	ds_read_b128 v[13:16], v20
	s_waitcnt lgkmcnt(0)
	v_add_f64 v[9:10], v[9:10], v[13:14]
	v_add_f64 v[11:12], v[11:12], v[15:16]
	ds_write_b128 v20, v[9:12]
.LBB109_16:                             ;   in Loop: Header=BB109_8 Depth=1
	s_or_b64 exec, exec, s[20:21]
	s_waitcnt lgkmcnt(0)
	;; [unrolled: 13-line block ×6, first 2 shown]
	s_barrier
	s_and_saveexec_b64 s[20:21], s[14:15]
	s_cbranch_execz .LBB109_26
; %bb.25:                               ;   in Loop: Header=BB109_8 Depth=1
	ds_read_b128 v[9:12], v20
	ds_read_b128 v[13:16], v20 offset:32
	s_waitcnt lgkmcnt(0)
	v_add_f64 v[9:10], v[13:14], v[9:10]
	v_add_f64 v[11:12], v[15:16], v[11:12]
	ds_write_b128 v20, v[9:12]
.LBB109_26:                             ;   in Loop: Header=BB109_8 Depth=1
	s_or_b64 exec, exec, s[20:21]
	s_waitcnt lgkmcnt(0)
	s_barrier
	s_and_saveexec_b64 s[20:21], s[16:17]
	s_cbranch_execz .LBB109_28
; %bb.27:                               ;   in Loop: Header=BB109_8 Depth=1
	ds_read_b128 v[9:12], v21
	ds_read_b128 v[13:16], v21 offset:16
	s_waitcnt lgkmcnt(0)
	v_add_f64 v[9:10], v[13:14], v[9:10]
	v_add_f64 v[11:12], v[15:16], v[11:12]
	ds_write_b128 v21, v[9:12]
.LBB109_28:                             ;   in Loop: Header=BB109_8 Depth=1
	s_or_b64 exec, exec, s[20:21]
	s_waitcnt lgkmcnt(0)
	s_barrier
	s_and_saveexec_b64 s[20:21], s[16:17]
	s_cbranch_execz .LBB109_7
; %bb.29:                               ;   in Loop: Header=BB109_8 Depth=1
	ds_read_b128 v[9:12], v21
	s_and_saveexec_b64 s[52:53], s[48:49]
	s_cbranch_execz .LBB109_6
; %bb.30:                               ;   in Loop: Header=BB109_8 Depth=1
	s_lshl_b64 s[54:55], s[50:51], 4
	s_add_u32 s54, s22, s54
	s_addc_u32 s55, s23, s55
	global_load_dwordx4 v[13:16], v21, s[54:55]
	s_waitcnt vmcnt(0) lgkmcnt(0)
	v_fma_f64 v[9:10], v[1:2], v[13:14], v[9:10]
	v_fma_f64 v[11:12], v[3:4], v[13:14], v[11:12]
	v_fma_f64 v[9:10], -v[3:4], v[15:16], v[9:10]
	v_fma_f64 v[11:12], v[1:2], v[15:16], v[11:12]
	s_branch .LBB109_6
.LBB109_31:
	s_mov_b64 s[18:19], 0
.LBB109_32:
	s_and_b64 vcc, exec, s[18:19]
	s_cbranch_vccz .LBB109_71
; %bb.33:
	s_load_dwordx2 s[4:5], s[4:5], 0x10
	s_sub_i32 s6, s6, s33
	v_mov_b32_e32 v13, 0
	v_or_b32_e32 v14, s33, v0
	v_mov_b32_e32 v9, 0
	s_waitcnt lgkmcnt(0)
	s_add_u32 s2, s4, s46
	s_addc_u32 s3, s5, s47
	global_load_dword v19, v13, s[2:3]
	v_mov_b32_e32 v11, 0
	v_mov_b32_e32 v10, 0
	;; [unrolled: 1-line block ×3, first 2 shown]
	v_cmp_eq_u32_e32 vcc, 0, v14
	s_and_saveexec_b64 s[0:1], vcc
	s_cbranch_execz .LBB109_37
; %bb.34:
	s_lshl_b64 s[10:11], s[44:45], 4
	s_add_u32 s10, s22, s10
	s_addc_u32 s11, s23, s11
	global_load_dwordx4 v[11:14], v13, s[10:11]
	v_add_f64 v[9:10], v[1:2], -1.0
	s_mov_b64 s[8:9], exec
	v_mbcnt_lo_u32_b32 v17, s8, 0
	v_mbcnt_hi_u32_b32 v17, s9, v17
	v_cmp_eq_u32_e32 vcc, 0, v17
	s_waitcnt vmcnt(0) expcnt(0) lgkmcnt(0)
	v_mul_f64 v[15:16], v[13:14], -v[3:4]
	v_mul_f64 v[13:14], v[9:10], v[13:14]
	s_and_saveexec_b64 s[10:11], vcc
	s_cbranch_execz .LBB109_36
; %bb.35:
	s_ashr_i32 s7, s6, 31
	s_lshl_b64 s[12:13], s[6:7], 2
	s_add_u32 s12, s4, s12
	s_addc_u32 s13, s5, s13
	s_bcnt1_i32_b64 s7, s[8:9]
	s_and_b32 s7, s7, 1
	v_mov_b32_e32 v17, 0
	v_mov_b32_e32 v18, s7
	global_atomic_xor v17, v18, s[12:13]
.LBB109_36:
	s_or_b64 exec, exec, s[10:11]
	v_fma_f64 v[9:10], v[9:10], v[11:12], v[15:16]
	v_fma_f64 v[11:12], v[3:4], v[11:12], v[13:14]
.LBB109_37:
	s_or_b64 exec, exec, s[0:1]
	s_load_dword s1, s[38:39], 0x4
	s_mul_i32 s0, s33, 0xc00
	s_sub_i32 s7, s36, s40
	s_add_i32 s0, s7, s0
	v_add_u32_e32 v13, s0, v0
	s_waitcnt lgkmcnt(0)
	s_sub_i32 s1, s1, s40
	v_cmp_gt_i32_e32 vcc, s1, v13
	s_and_saveexec_b64 s[8:9], vcc
	s_cbranch_execz .LBB109_41
; %bb.38:
	v_ashrrev_i32_e32 v14, 31, v13
	v_lshlrev_b64 v[15:16], 3, v[13:14]
	v_mov_b32_e32 v17, s29
	v_add_co_u32_e32 v15, vcc, s28, v15
	v_addc_co_u32_e32 v16, vcc, v17, v16, vcc
	v_add_co_u32_e32 v15, vcc, 4, v15
	v_lshlrev_b64 v[17:18], 2, v[13:14]
	v_addc_co_u32_e32 v16, vcc, 0, v16, vcc
	s_addk_i32 s0, 0xc00
	v_mov_b32_e32 v14, s27
	v_add_co_u32_e32 v17, vcc, s26, v17
	s_min_i32 s7, s0, s1
	v_addc_co_u32_e32 v18, vcc, v14, v18, vcc
	s_mov_b64 s[10:11], 0
	v_mov_b32_e32 v14, s31
.LBB109_39:                             ; =>This Inner Loop Header: Depth=1
	global_load_dword v20, v[17:18], off
	global_load_dwordx2 v[24:25], v[15:16], off offset:-4
	v_add_u32_e32 v13, 0x100, v13
	v_cmp_le_i32_e64 s[0:1], s7, v13
	s_or_b64 s[10:11], s[0:1], s[10:11]
	s_waitcnt vmcnt(1)
	v_subrev_u32_e32 v20, s40, v20
	v_ashrrev_i32_e32 v21, 31, v20
	v_lshlrev_b64 v[20:21], 4, v[20:21]
	s_waitcnt vmcnt(0)
	v_cndmask_b32_e64 v25, v25, -v25, s[42:43]
	v_add_co_u32_e32 v20, vcc, s30, v20
	v_addc_co_u32_e32 v21, vcc, v14, v21, vcc
	global_load_dwordx4 v[20:23], v[20:21], off
	v_cvt_f64_f32_e32 v[25:26], v25
	v_cvt_f64_f32_e32 v[29:30], v24
	v_add_co_u32_e32 v15, vcc, 0x800, v15
	v_mul_f64 v[27:28], -v[7:8], v[25:26]
	v_mul_f64 v[25:26], v[5:6], v[25:26]
	v_addc_co_u32_e32 v16, vcc, 0, v16, vcc
	v_add_co_u32_e32 v17, vcc, 0x400, v17
	v_addc_co_u32_e32 v18, vcc, 0, v18, vcc
	v_fma_f64 v[27:28], v[5:6], v[29:30], v[27:28]
	v_fma_f64 v[24:25], v[7:8], v[29:30], v[25:26]
	s_waitcnt vmcnt(0)
	v_fma_f64 v[9:10], v[27:28], v[20:21], v[9:10]
	v_fma_f64 v[11:12], v[24:25], v[20:21], v[11:12]
	v_fma_f64 v[9:10], -v[24:25], v[22:23], v[9:10]
	v_fma_f64 v[11:12], v[27:28], v[22:23], v[11:12]
	s_andn2_b64 exec, exec, s[10:11]
	s_cbranch_execnz .LBB109_39
; %bb.40:
	s_or_b64 exec, exec, s[10:11]
.LBB109_41:
	s_or_b64 exec, exec, s[8:9]
	s_movk_i32 s0, 0x80
	v_lshlrev_b32_e32 v13, 4, v0
	v_cmp_gt_u32_e32 vcc, s0, v0
	ds_write_b128 v13, v[9:12]
	s_waitcnt vmcnt(0) lgkmcnt(0)
	s_barrier
	s_and_saveexec_b64 s[0:1], vcc
	s_cbranch_execz .LBB109_43
; %bb.42:
	ds_read_b128 v[9:12], v13 offset:2048
	ds_read_b128 v[14:17], v13
	s_waitcnt lgkmcnt(0)
	v_add_f64 v[9:10], v[9:10], v[14:15]
	v_add_f64 v[11:12], v[11:12], v[16:17]
	ds_write_b128 v13, v[9:12]
.LBB109_43:
	s_or_b64 exec, exec, s[0:1]
	v_cmp_gt_u32_e32 vcc, 64, v0
	s_waitcnt lgkmcnt(0)
	s_barrier
	s_and_saveexec_b64 s[0:1], vcc
	s_cbranch_execz .LBB109_45
; %bb.44:
	ds_read_b128 v[9:12], v13 offset:1024
	ds_read_b128 v[14:17], v13
	s_waitcnt lgkmcnt(0)
	v_add_f64 v[9:10], v[9:10], v[14:15]
	v_add_f64 v[11:12], v[11:12], v[16:17]
	ds_write_b128 v13, v[9:12]
.LBB109_45:
	s_or_b64 exec, exec, s[0:1]
	v_cmp_gt_u32_e32 vcc, 32, v0
	s_waitcnt lgkmcnt(0)
	;; [unrolled: 14-line block ×6, first 2 shown]
	s_barrier
	s_and_saveexec_b64 s[0:1], vcc
	s_cbranch_execz .LBB109_55
; %bb.54:
	ds_read_b128 v[9:12], v13
	ds_read_b128 v[14:17], v13 offset:32
	s_waitcnt lgkmcnt(0)
	v_add_f64 v[9:10], v[14:15], v[9:10]
	v_add_f64 v[11:12], v[16:17], v[11:12]
	ds_write_b128 v13, v[9:12]
.LBB109_55:
	s_or_b64 exec, exec, s[0:1]
	v_cmp_eq_u32_e32 vcc, 0, v0
	s_waitcnt lgkmcnt(0)
	s_barrier
	s_and_saveexec_b64 s[0:1], vcc
	s_cbranch_execz .LBB109_57
; %bb.56:
	v_mov_b32_e32 v17, 0
	ds_read_b128 v[9:12], v17
	ds_read_b128 v[13:16], v17 offset:16
	s_waitcnt lgkmcnt(0)
	v_add_f64 v[9:10], v[13:14], v[9:10]
	v_add_f64 v[11:12], v[15:16], v[11:12]
	ds_write_b128 v17, v[9:12]
.LBB109_57:
	s_or_b64 exec, exec, s[0:1]
	s_waitcnt lgkmcnt(0)
	s_barrier
	s_and_saveexec_b64 s[0:1], vcc
	s_cbranch_execz .LBB109_70
; %bb.58:
	s_cmp_eq_u32 s33, 0
	s_cbranch_scc1 .LBB109_64
; %bb.59:
	s_ashr_i32 s7, s6, 31
	s_lshl_b64 s[6:7], s[6:7], 2
	s_add_u32 s4, s4, s6
	s_addc_u32 s5, s5, s7
	v_mov_b32_e32 v9, 0
	s_branch .LBB109_61
.LBB109_60:                             ;   in Loop: Header=BB109_61 Depth=1
	s_or_b64 exec, exec, s[6:7]
	s_waitcnt vmcnt(0)
	v_readfirstlane_b32 s6, v10
	v_cmp_eq_u32_e32 vcc, s6, v19
	s_cbranch_vccz .LBB109_63
.LBB109_61:                             ; =>This Inner Loop Header: Depth=1
	v_mbcnt_lo_u32_b32 v10, exec_lo, 0
	v_mbcnt_hi_u32_b32 v10, exec_hi, v10
	v_cmp_eq_u32_e32 vcc, 0, v10
                                        ; implicit-def: $vgpr10
	s_and_saveexec_b64 s[6:7], vcc
	s_cbranch_execz .LBB109_60
; %bb.62:                               ;   in Loop: Header=BB109_61 Depth=1
	global_load_dword v10, v9, s[4:5] glc
	s_branch .LBB109_60
.LBB109_63:
	v_mov_b32_e32 v9, 0
	global_load_ushort v10, v9, s[2:3]
	s_waitcnt vmcnt(0)
	v_xor_b32_e32 v10, 1, v10
	global_store_short v9, v10, s[2:3]
.LBB109_64:
	v_mov_b32_e32 v17, 0
	ds_read_b128 v[9:12], v17
	s_mov_b64 s[6:7], exec
	s_lshl_b64 s[2:3], s[44:45], 4
	v_mbcnt_lo_u32_b32 v13, s6, 0
	s_add_u32 s2, s22, s2
	v_mbcnt_hi_u32_b32 v13, s7, v13
	s_addc_u32 s3, s23, s3
	v_cmp_eq_u32_e32 vcc, 0, v13
	s_and_saveexec_b64 s[4:5], vcc
	s_cbranch_execz .LBB109_67
; %bb.65:
	global_load_dwordx2 v[15:16], v17, s[2:3]
	s_bcnt1_i32_b64 s6, s[6:7]
	v_cvt_f64_u32_e32 v[13:14], s6
	s_mov_b64 s[6:7], 0
	s_waitcnt lgkmcnt(0)
	v_mul_f64 v[9:10], v[9:10], v[13:14]
.LBB109_66:                             ; =>This Inner Loop Header: Depth=1
	s_waitcnt vmcnt(0)
	v_add_f64 v[13:14], v[15:16], v[9:10]
	global_atomic_cmpswap_x2 v[13:14], v17, v[13:16], s[2:3] glc
	s_waitcnt vmcnt(0)
	v_cmp_eq_u64_e32 vcc, v[13:14], v[15:16]
	v_mov_b32_e32 v16, v14
	s_or_b64 s[6:7], vcc, s[6:7]
	v_mov_b32_e32 v15, v13
	s_andn2_b64 exec, exec, s[6:7]
	s_cbranch_execnz .LBB109_66
.LBB109_67:
	s_or_b64 exec, exec, s[4:5]
	s_mov_b64 s[4:5], exec
	s_waitcnt lgkmcnt(0)
	v_mbcnt_lo_u32_b32 v9, s4, 0
	v_mbcnt_hi_u32_b32 v9, s5, v9
	v_cmp_eq_u32_e32 vcc, 0, v9
	s_and_b64 s[6:7], exec, vcc
	s_mov_b64 exec, s[6:7]
	s_cbranch_execz .LBB109_70
; %bb.68:
	v_mov_b32_e32 v15, 0
	global_load_dwordx2 v[13:14], v15, s[2:3] offset:8
	s_bcnt1_i32_b64 s4, s[4:5]
	v_cvt_f64_u32_e32 v[9:10], s4
	s_mov_b64 s[4:5], 0
	v_mul_f64 v[9:10], v[11:12], v[9:10]
.LBB109_69:                             ; =>This Inner Loop Header: Depth=1
	s_waitcnt vmcnt(0)
	v_add_f64 v[11:12], v[13:14], v[9:10]
	global_atomic_cmpswap_x2 v[11:12], v15, v[11:14], s[2:3] offset:8 glc
	s_waitcnt vmcnt(0)
	v_cmp_eq_u64_e32 vcc, v[11:12], v[13:14]
	v_mov_b32_e32 v14, v12
	s_or_b64 s[4:5], vcc, s[4:5]
	v_mov_b32_e32 v13, v11
	s_andn2_b64 exec, exec, s[4:5]
	s_cbranch_execnz .LBB109_69
.LBB109_70:
	s_or_b64 exec, exec, s[0:1]
.LBB109_71:
	s_mov_b64 s[0:1], 0
.LBB109_72:
	s_andn2_b64 vcc, exec, s[0:1]
	s_cbranch_vccnz .LBB109_116
; %bb.73:
	v_subrev_u32_e32 v9, s40, v0
	s_waitcnt lgkmcnt(0)
	v_add_u32_e32 v9, s36, v9
	v_add_u32_e32 v10, 0x300, v9
	v_cmp_le_i32_e32 vcc, s37, v10
	s_and_saveexec_b64 s[0:1], vcc
	s_xor_b64 s[0:1], exec, s[0:1]
	s_cbranch_execz .LBB109_78
; %bb.74:
	s_ashr_i32 s3, s35, 31
	s_mov_b32 s2, s35
	s_lshl_b64 s[2:3], s[2:3], 2
	s_add_u32 s2, s24, s2
	s_addc_u32 s3, s25, s3
	s_load_dword s2, s[2:3], 0x0
	s_waitcnt lgkmcnt(0)
	s_sub_i32 s6, s2, s40
	v_cmp_gt_i32_e32 vcc, s6, v9
	s_and_saveexec_b64 s[2:3], vcc
	s_cbranch_execz .LBB109_77
; %bb.75:
	v_lshlrev_b32_e32 v11, 4, v0
	s_mov_b64 s[4:5], 0
	v_mov_b32_e32 v12, s29
	v_mov_b32_e32 v13, s27
	;; [unrolled: 1-line block ×3, first 2 shown]
.LBB109_76:                             ; =>This Inner Loop Header: Depth=1
	v_ashrrev_i32_e32 v10, 31, v9
	v_lshlrev_b64 v[15:16], 2, v[9:10]
	v_add_co_u32_e32 v15, vcc, s26, v15
	v_addc_co_u32_e32 v16, vcc, v13, v16, vcc
	global_load_dword v17, v[15:16], off
	v_lshlrev_b64 v[15:16], 3, v[9:10]
	v_add_u32_e32 v9, 0x100, v9
	v_add_co_u32_e32 v15, vcc, s28, v15
	v_addc_co_u32_e32 v16, vcc, v12, v16, vcc
	global_load_dwordx2 v[19:20], v[15:16], off
	s_waitcnt vmcnt(1)
	v_subrev_u32_e32 v15, s40, v17
	v_ashrrev_i32_e32 v16, 31, v15
	v_lshlrev_b64 v[15:16], 4, v[15:16]
	v_add_co_u32_e32 v15, vcc, s30, v15
	v_addc_co_u32_e32 v16, vcc, v14, v16, vcc
	global_load_dwordx4 v[15:18], v[15:16], off
	s_waitcnt vmcnt(1)
	v_cndmask_b32_e64 v10, v20, -v20, s[42:43]
	v_cvt_f64_f32_e32 v[20:21], v10
	v_cvt_f64_f32_e32 v[24:25], v19
	v_cmp_le_i32_e32 vcc, s6, v9
	s_or_b64 s[4:5], vcc, s[4:5]
	v_mul_f64 v[22:23], v[5:6], v[20:21]
	v_mul_f64 v[20:21], -v[7:8], v[20:21]
	v_fma_f64 v[22:23], v[7:8], v[24:25], v[22:23]
	v_fma_f64 v[19:20], v[5:6], v[24:25], v[20:21]
	s_waitcnt vmcnt(0)
	v_mul_f64 v[24:25], v[17:18], -v[22:23]
	v_mul_f64 v[26:27], v[17:18], v[19:20]
	v_fma_f64 v[17:18], v[19:20], v[15:16], v[24:25]
	v_fma_f64 v[19:20], v[22:23], v[15:16], v[26:27]
	ds_write_b128 v11, v[17:20]
	v_add_u32_e32 v11, 0x1000, v11
	s_andn2_b64 exec, exec, s[4:5]
	s_cbranch_execnz .LBB109_76
.LBB109_77:
	s_or_b64 exec, exec, s[2:3]
                                        ; implicit-def: $vgpr9
                                        ; implicit-def: $vgpr7_vgpr8
.LBB109_78:
	s_or_saveexec_b64 s[0:1], s[0:1]
	v_lshlrev_b32_e32 v13, 4, v0
	s_xor_b64 exec, exec, s[0:1]
	s_cbranch_execz .LBB109_80
; %bb.79:
	v_ashrrev_i32_e32 v10, 31, v9
	v_lshlrev_b64 v[11:12], 2, v[9:10]
	v_mov_b32_e32 v14, s27
	v_add_co_u32_e32 v11, vcc, s26, v11
	v_addc_co_u32_e32 v12, vcc, v14, v12, vcc
	global_load_dword v14, v[11:12], off
	global_load_dword v15, v[11:12], off offset:1024
	global_load_dword v16, v[11:12], off offset:2048
	;; [unrolled: 1-line block ×3, first 2 shown]
	v_lshlrev_b64 v[9:10], 3, v[9:10]
	v_mov_b32_e32 v11, s29
	v_add_co_u32_e32 v9, vcc, s28, v9
	s_movk_i32 s2, 0x1000
	v_addc_co_u32_e32 v10, vcc, v11, v10, vcc
	global_load_dwordx2 v[26:27], v[9:10], off
	global_load_dwordx2 v[28:29], v[9:10], off offset:2048
	v_add_co_u32_e32 v9, vcc, s2, v9
	v_addc_co_u32_e32 v10, vcc, 0, v10, vcc
	global_load_dwordx2 v[30:31], v[9:10], off
	global_load_dwordx2 v[32:33], v[9:10], off offset:2048
	v_mov_b32_e32 v18, s31
	v_mov_b32_e32 v19, s31
	;; [unrolled: 1-line block ×4, first 2 shown]
	s_waitcnt vmcnt(7)
	v_subrev_u32_e32 v9, s40, v14
	v_ashrrev_i32_e32 v10, 31, v9
	s_waitcnt vmcnt(6)
	v_subrev_u32_e32 v11, s40, v15
	v_lshlrev_b64 v[9:10], 4, v[9:10]
	v_ashrrev_i32_e32 v12, 31, v11
	s_waitcnt vmcnt(5)
	v_subrev_u32_e32 v14, s40, v16
	v_lshlrev_b64 v[11:12], 4, v[11:12]
	v_add_co_u32_e32 v24, vcc, s30, v9
	v_ashrrev_i32_e32 v15, 31, v14
	v_addc_co_u32_e32 v25, vcc, v18, v10, vcc
	s_waitcnt vmcnt(4)
	v_subrev_u32_e32 v16, s40, v17
	v_lshlrev_b64 v[14:15], 4, v[14:15]
	v_add_co_u32_e32 v34, vcc, s30, v11
	v_ashrrev_i32_e32 v17, 31, v16
	v_addc_co_u32_e32 v35, vcc, v19, v12, vcc
	v_lshlrev_b64 v[22:23], 4, v[16:17]
	v_add_co_u32_e32 v36, vcc, s30, v14
	v_addc_co_u32_e32 v37, vcc, v20, v15, vcc
	v_add_co_u32_e32 v22, vcc, s30, v22
	global_load_dwordx4 v[9:12], v[24:25], off
	global_load_dwordx4 v[14:17], v[34:35], off
	;; [unrolled: 1-line block ×3, first 2 shown]
	v_addc_co_u32_e32 v23, vcc, v38, v23, vcc
	global_load_dwordx4 v[22:25], v[22:23], off
	s_waitcnt vmcnt(7)
	v_cndmask_b32_e64 v34, v27, -v27, s[42:43]
	s_waitcnt vmcnt(6)
	v_cndmask_b32_e64 v36, v29, -v29, s[42:43]
	v_cvt_f64_f32_e32 v[34:35], v34
	v_cvt_f64_f32_e32 v[36:37], v36
	s_waitcnt vmcnt(5)
	v_cndmask_b32_e64 v38, v31, -v31, s[42:43]
	s_waitcnt vmcnt(4)
	v_cndmask_b32_e64 v40, v33, -v33, s[42:43]
	v_cvt_f64_f32_e32 v[38:39], v38
	v_cvt_f64_f32_e32 v[40:41], v40
	v_mul_f64 v[42:43], v[5:6], v[34:35]
	v_mul_f64 v[34:35], -v[7:8], v[34:35]
	v_mul_f64 v[44:45], v[5:6], v[36:37]
	v_mul_f64 v[36:37], -v[7:8], v[36:37]
	;; [unrolled: 2-line block ×4, first 2 shown]
	v_cvt_f64_f32_e32 v[26:27], v26
	v_cvt_f64_f32_e32 v[28:29], v28
	;; [unrolled: 1-line block ×4, first 2 shown]
	v_fma_f64 v[42:43], v[7:8], v[26:27], v[42:43]
	v_fma_f64 v[26:27], v[5:6], v[26:27], v[34:35]
	;; [unrolled: 1-line block ×8, first 2 shown]
	s_waitcnt vmcnt(3)
	v_mul_f64 v[5:6], v[11:12], -v[42:43]
	v_mul_f64 v[7:8], v[11:12], v[26:27]
	s_waitcnt vmcnt(2)
	v_mul_f64 v[11:12], v[16:17], -v[34:35]
	v_mul_f64 v[16:17], v[16:17], v[28:29]
	;; [unrolled: 3-line block ×4, first 2 shown]
	v_fma_f64 v[5:6], v[26:27], v[9:10], v[5:6]
	v_fma_f64 v[7:8], v[42:43], v[9:10], v[7:8]
	v_fma_f64 v[9:10], v[28:29], v[14:15], v[11:12]
	v_fma_f64 v[11:12], v[34:35], v[14:15], v[16:17]
	v_fma_f64 v[14:15], v[30:31], v[18:19], v[40:41]
	v_fma_f64 v[16:17], v[36:37], v[18:19], v[20:21]
	v_fma_f64 v[18:19], v[32:33], v[22:23], v[44:45]
	v_fma_f64 v[20:21], v[38:39], v[22:23], v[24:25]
	ds_write_b128 v13, v[5:8]
	ds_write_b128 v13, v[9:12] offset:4096
	ds_write_b128 v13, v[14:17] offset:8192
	;; [unrolled: 1-line block ×3, first 2 shown]
.LBB109_80:
	s_or_b64 exec, exec, s[0:1]
	s_cmp_lt_i32 s33, 2
	s_mov_b64 s[0:1], -1
	s_waitcnt vmcnt(0) lgkmcnt(0)
	s_barrier
	s_cbranch_scc0 .LBB109_91
; %bb.81:
	v_add_u32_e32 v9, s34, v0
	v_cmp_gt_i32_e32 vcc, s35, v9
	s_and_saveexec_b64 s[2:3], vcc
	s_cbranch_execz .LBB109_90
; %bb.82:
	v_cmp_neq_f64_e32 vcc, 0, v[1:2]
	v_cmp_neq_f64_e64 s[0:1], 0, v[3:4]
	s_lshl_b32 s6, s36, 4
	s_mov_b64 s[4:5], 0
	v_mov_b32_e32 v14, s25
	s_sub_i32 s10, 0, s6
	v_mov_b32_e32 v15, s23
	s_or_b64 s[0:1], vcc, s[0:1]
	s_branch .LBB109_84
.LBB109_83:                             ;   in Loop: Header=BB109_84 Depth=1
	s_or_b64 exec, exec, s[6:7]
	v_add_co_u32_e32 v10, vcc, s22, v10
	v_addc_co_u32_e32 v11, vcc, v15, v11, vcc
	v_add_u32_e32 v9, 0x100, v9
	v_cmp_le_i32_e32 vcc, s35, v9
	s_or_b64 s[4:5], vcc, s[4:5]
	global_store_dwordx4 v[10:11], v[5:8], off
	s_andn2_b64 exec, exec, s[4:5]
	s_cbranch_execz .LBB109_90
.LBB109_84:                             ; =>This Loop Header: Depth=1
                                        ;     Child Loop BB109_86 Depth 2
	v_ashrrev_i32_e32 v10, 31, v9
	v_lshlrev_b64 v[5:6], 2, v[9:10]
	v_mov_b32_e32 v7, 0
	v_add_co_u32_e32 v5, vcc, s24, v5
	v_addc_co_u32_e32 v6, vcc, v14, v6, vcc
	global_load_dwordx2 v[11:12], v[5:6], off
	v_mov_b32_e32 v5, 0
	v_mov_b32_e32 v8, 0
	;; [unrolled: 1-line block ×3, first 2 shown]
	s_waitcnt vmcnt(0)
	v_cmp_lt_i32_e32 vcc, v11, v12
	s_and_saveexec_b64 s[6:7], vcc
	s_cbranch_execz .LBB109_88
; %bb.85:                               ;   in Loop: Header=BB109_84 Depth=1
	v_mov_b32_e32 v7, 0
	v_mov_b32_e32 v8, 0
	;; [unrolled: 1-line block ×3, first 2 shown]
	v_subrev_u32_e32 v12, s36, v12
	v_subrev_u32_e32 v16, s36, v11
	v_lshl_add_u32 v11, v11, 4, s10
	s_mov_b64 s[8:9], 0
	v_mov_b32_e32 v6, v8
.LBB109_86:                             ;   Parent Loop BB109_84 Depth=1
                                        ; =>  This Inner Loop Header: Depth=2
	ds_read_b128 v[17:20], v11
	v_add_u32_e32 v16, 1, v16
	v_cmp_ge_i32_e32 vcc, v16, v12
	s_or_b64 s[8:9], vcc, s[8:9]
	v_add_u32_e32 v11, 16, v11
	s_waitcnt lgkmcnt(0)
	v_add_f64 v[5:6], v[5:6], v[17:18]
	v_add_f64 v[7:8], v[7:8], v[19:20]
	s_andn2_b64 exec, exec, s[8:9]
	s_cbranch_execnz .LBB109_86
; %bb.87:                               ;   in Loop: Header=BB109_84 Depth=1
	s_or_b64 exec, exec, s[8:9]
.LBB109_88:                             ;   in Loop: Header=BB109_84 Depth=1
	s_or_b64 exec, exec, s[6:7]
	v_lshlrev_b64 v[10:11], 4, v[9:10]
	s_and_saveexec_b64 s[6:7], s[0:1]
	s_cbranch_execz .LBB109_83
; %bb.89:                               ;   in Loop: Header=BB109_84 Depth=1
	v_mov_b32_e32 v12, s23
	v_add_co_u32_e32 v16, vcc, s22, v10
	v_addc_co_u32_e32 v17, vcc, v12, v11, vcc
	global_load_dwordx4 v[16:19], v[16:17], off
	s_waitcnt vmcnt(0)
	v_fma_f64 v[5:6], v[1:2], v[16:17], v[5:6]
	v_fma_f64 v[7:8], v[3:4], v[16:17], v[7:8]
	v_fma_f64 v[5:6], -v[3:4], v[18:19], v[5:6]
	v_fma_f64 v[7:8], v[1:2], v[18:19], v[7:8]
	s_branch .LBB109_83
.LBB109_90:
	s_or_b64 exec, exec, s[2:3]
	s_mov_b64 s[0:1], 0
.LBB109_91:
	s_andn2_b64 vcc, exec, s[0:1]
	s_cbranch_vccnz .LBB109_116
; %bb.92:
	s_flbit_i32_b32 s0, s33
	s_xor_b32 s0, s0, 31
	v_mov_b32_e32 v5, 0
	v_lshrrev_b32_e32 v10, s0, v0
	v_mov_b32_e32 v6, 0
	v_add_u32_e32 v9, s34, v10
	s_add_i32 s0, s33, -1
	v_mov_b32_e32 v8, v6
	v_and_b32_e32 v0, s0, v0
	v_cmp_le_i32_e32 vcc, s35, v9
	v_cmp_gt_i32_e64 s[0:1], s35, v9
	v_mov_b32_e32 v7, v5
	s_and_saveexec_b64 s[2:3], s[0:1]
	s_cbranch_execz .LBB109_98
; %bb.93:
	v_lshlrev_b32_e32 v5, 2, v10
	global_load_dwordx2 v[5:6], v5, s[38:39]
	v_subrev_u32_e32 v11, s36, v0
	v_mov_b32_e32 v7, 0
	v_mov_b32_e32 v8, 0
	s_waitcnt vmcnt(0)
	v_subrev_u32_e32 v10, s36, v6
	v_add_u32_e32 v11, v5, v11
	v_mov_b32_e32 v5, 0
	v_mov_b32_e32 v6, 0
	v_cmp_lt_i32_e64 s[0:1], v11, v10
	s_and_saveexec_b64 s[4:5], s[0:1]
	s_cbranch_execz .LBB109_97
; %bb.94:
	v_mov_b32_e32 v7, 0
	v_mov_b32_e32 v8, 0
	;; [unrolled: 1-line block ×3, first 2 shown]
	v_lshlrev_b32_e32 v12, 4, v11
	s_lshl_b32 s8, s33, 4
	s_mov_b64 s[6:7], 0
	v_mov_b32_e32 v6, v8
.LBB109_95:                             ; =>This Inner Loop Header: Depth=1
	ds_read_b128 v[14:17], v12
	v_add_u32_e32 v11, s33, v11
	v_cmp_ge_i32_e64 s[0:1], v11, v10
	s_or_b64 s[6:7], s[0:1], s[6:7]
	v_add_u32_e32 v12, s8, v12
	s_waitcnt lgkmcnt(0)
	v_add_f64 v[5:6], v[5:6], v[14:15]
	v_add_f64 v[7:8], v[7:8], v[16:17]
	s_andn2_b64 exec, exec, s[6:7]
	s_cbranch_execnz .LBB109_95
; %bb.96:
	s_or_b64 exec, exec, s[6:7]
.LBB109_97:
	s_or_b64 exec, exec, s[4:5]
.LBB109_98:
	s_or_b64 exec, exec, s[2:3]
	s_cmpk_lt_u32 s33, 0x81
	s_waitcnt vmcnt(0)
	s_barrier
	ds_write_b128 v13, v[5:8]
	s_waitcnt lgkmcnt(0)
	s_barrier
	s_cbranch_scc1 .LBB109_100
; %bb.99:
	ds_read_b128 v[14:17], v13 offset:2048
	s_waitcnt lgkmcnt(0)
	s_barrier
	v_add_f64 v[5:6], v[5:6], v[14:15]
	v_add_f64 v[7:8], v[7:8], v[16:17]
	ds_write_b128 v13, v[5:8]
.LBB109_100:
	s_cmpk_lt_u32 s33, 0x41
	s_waitcnt lgkmcnt(0)
	s_barrier
	s_cbranch_scc1 .LBB109_102
; %bb.101:
	ds_read_b128 v[14:17], v13 offset:1024
	s_waitcnt lgkmcnt(0)
	s_barrier
	v_add_f64 v[5:6], v[5:6], v[14:15]
	v_add_f64 v[7:8], v[7:8], v[16:17]
	ds_write_b128 v13, v[5:8]
.LBB109_102:
	s_cmp_lt_u32 s33, 33
	s_waitcnt lgkmcnt(0)
	s_barrier
	s_cbranch_scc1 .LBB109_104
; %bb.103:
	ds_read_b128 v[14:17], v13 offset:512
	s_waitcnt lgkmcnt(0)
	s_barrier
	v_add_f64 v[5:6], v[5:6], v[14:15]
	v_add_f64 v[7:8], v[7:8], v[16:17]
	ds_write_b128 v13, v[5:8]
.LBB109_104:
	s_cmp_lt_u32 s33, 17
	;; [unrolled: 12-line block ×4, first 2 shown]
	s_waitcnt lgkmcnt(0)
	s_barrier
	s_cbranch_scc1 .LBB109_110
; %bb.109:
	ds_read_b128 v[14:17], v13 offset:64
	s_waitcnt lgkmcnt(0)
	s_barrier
	v_add_f64 v[5:6], v[5:6], v[14:15]
	v_add_f64 v[7:8], v[7:8], v[16:17]
	ds_write_b128 v13, v[5:8]
.LBB109_110:
	s_cmp_eq_u32 s33, 2
	s_waitcnt lgkmcnt(0)
	s_barrier
	s_cbranch_scc1 .LBB109_112
; %bb.111:
	ds_read_b128 v[14:17], v13 offset:32
	s_waitcnt lgkmcnt(0)
	s_barrier
	v_add_f64 v[5:6], v[5:6], v[14:15]
	v_add_f64 v[7:8], v[7:8], v[16:17]
	ds_write_b128 v13, v[5:8]
.LBB109_112:
	s_waitcnt lgkmcnt(0)
	s_barrier
	ds_read_b128 v[14:17], v13 offset:16
	v_cmp_eq_u32_e64 s[0:1], 0, v0
	s_xor_b64 s[2:3], vcc, -1
	s_and_b64 s[0:1], s[0:1], s[2:3]
	s_waitcnt lgkmcnt(0)
	v_add_f64 v[5:6], v[5:6], v[14:15]
	v_add_f64 v[7:8], v[7:8], v[16:17]
	s_barrier
	ds_write_b128 v13, v[5:8]
	s_and_b64 exec, exec, s[0:1]
	s_cbranch_execz .LBB109_116
; %bb.113:
	v_cmp_neq_f64_e32 vcc, 0, v[1:2]
	v_cmp_neq_f64_e64 s[0:1], 0, v[3:4]
	v_ashrrev_i32_e32 v10, 31, v9
	v_lshlrev_b64 v[9:10], 4, v[9:10]
	s_or_b64 s[2:3], vcc, s[0:1]
	s_and_saveexec_b64 s[0:1], s[2:3]
	s_cbranch_execz .LBB109_115
; %bb.114:
	v_mov_b32_e32 v0, s23
	v_add_co_u32_e32 v11, vcc, s22, v9
	v_addc_co_u32_e32 v12, vcc, v0, v10, vcc
	global_load_dwordx4 v[11:14], v[11:12], off
	s_waitcnt vmcnt(0)
	v_fma_f64 v[5:6], v[1:2], v[11:12], v[5:6]
	v_fma_f64 v[7:8], v[3:4], v[11:12], v[7:8]
	v_fma_f64 v[5:6], -v[3:4], v[13:14], v[5:6]
	v_fma_f64 v[7:8], v[1:2], v[13:14], v[7:8]
.LBB109_115:
	s_or_b64 exec, exec, s[0:1]
	v_mov_b32_e32 v1, s23
	v_add_co_u32_e32 v0, vcc, s22, v9
	v_addc_co_u32_e32 v1, vcc, v1, v10, vcc
	global_store_dwordx4 v[0:1], v[5:8], off
.LBB109_116:
	s_endpgm
	.section	.rodata,"a",@progbits
	.p2align	6, 0x0
	.amdhsa_kernel _ZN9rocsparseL22csrmvn_adaptive_kernelIii21rocsparse_complex_numIfES1_IdES3_S3_EEvbT_PKS4_PjPKT0_NS_24const_host_device_scalarIT4_EES6_SA_PKT1_PKT2_SD_PT3_21rocsparse_index_base_b
		.amdhsa_group_segment_fixed_size 16384
		.amdhsa_private_segment_fixed_size 0
		.amdhsa_kernarg_size 112
		.amdhsa_user_sgpr_count 6
		.amdhsa_user_sgpr_private_segment_buffer 1
		.amdhsa_user_sgpr_dispatch_ptr 0
		.amdhsa_user_sgpr_queue_ptr 0
		.amdhsa_user_sgpr_kernarg_segment_ptr 1
		.amdhsa_user_sgpr_dispatch_id 0
		.amdhsa_user_sgpr_flat_scratch_init 0
		.amdhsa_user_sgpr_private_segment_size 0
		.amdhsa_uses_dynamic_stack 0
		.amdhsa_system_sgpr_private_segment_wavefront_offset 0
		.amdhsa_system_sgpr_workgroup_id_x 1
		.amdhsa_system_sgpr_workgroup_id_y 0
		.amdhsa_system_sgpr_workgroup_id_z 0
		.amdhsa_system_sgpr_workgroup_info 0
		.amdhsa_system_vgpr_workitem_id 0
		.amdhsa_next_free_vgpr 50
		.amdhsa_next_free_sgpr 98
		.amdhsa_reserve_vcc 1
		.amdhsa_reserve_flat_scratch 0
		.amdhsa_float_round_mode_32 0
		.amdhsa_float_round_mode_16_64 0
		.amdhsa_float_denorm_mode_32 3
		.amdhsa_float_denorm_mode_16_64 3
		.amdhsa_dx10_clamp 1
		.amdhsa_ieee_mode 1
		.amdhsa_fp16_overflow 0
		.amdhsa_exception_fp_ieee_invalid_op 0
		.amdhsa_exception_fp_denorm_src 0
		.amdhsa_exception_fp_ieee_div_zero 0
		.amdhsa_exception_fp_ieee_overflow 0
		.amdhsa_exception_fp_ieee_underflow 0
		.amdhsa_exception_fp_ieee_inexact 0
		.amdhsa_exception_int_div_zero 0
	.end_amdhsa_kernel
	.section	.text._ZN9rocsparseL22csrmvn_adaptive_kernelIii21rocsparse_complex_numIfES1_IdES3_S3_EEvbT_PKS4_PjPKT0_NS_24const_host_device_scalarIT4_EES6_SA_PKT1_PKT2_SD_PT3_21rocsparse_index_base_b,"axG",@progbits,_ZN9rocsparseL22csrmvn_adaptive_kernelIii21rocsparse_complex_numIfES1_IdES3_S3_EEvbT_PKS4_PjPKT0_NS_24const_host_device_scalarIT4_EES6_SA_PKT1_PKT2_SD_PT3_21rocsparse_index_base_b,comdat
.Lfunc_end109:
	.size	_ZN9rocsparseL22csrmvn_adaptive_kernelIii21rocsparse_complex_numIfES1_IdES3_S3_EEvbT_PKS4_PjPKT0_NS_24const_host_device_scalarIT4_EES6_SA_PKT1_PKT2_SD_PT3_21rocsparse_index_base_b, .Lfunc_end109-_ZN9rocsparseL22csrmvn_adaptive_kernelIii21rocsparse_complex_numIfES1_IdES3_S3_EEvbT_PKS4_PjPKT0_NS_24const_host_device_scalarIT4_EES6_SA_PKT1_PKT2_SD_PT3_21rocsparse_index_base_b
                                        ; -- End function
	.set _ZN9rocsparseL22csrmvn_adaptive_kernelIii21rocsparse_complex_numIfES1_IdES3_S3_EEvbT_PKS4_PjPKT0_NS_24const_host_device_scalarIT4_EES6_SA_PKT1_PKT2_SD_PT3_21rocsparse_index_base_b.num_vgpr, 50
	.set _ZN9rocsparseL22csrmvn_adaptive_kernelIii21rocsparse_complex_numIfES1_IdES3_S3_EEvbT_PKS4_PjPKT0_NS_24const_host_device_scalarIT4_EES6_SA_PKT1_PKT2_SD_PT3_21rocsparse_index_base_b.num_agpr, 0
	.set _ZN9rocsparseL22csrmvn_adaptive_kernelIii21rocsparse_complex_numIfES1_IdES3_S3_EEvbT_PKS4_PjPKT0_NS_24const_host_device_scalarIT4_EES6_SA_PKT1_PKT2_SD_PT3_21rocsparse_index_base_b.numbered_sgpr, 57
	.set _ZN9rocsparseL22csrmvn_adaptive_kernelIii21rocsparse_complex_numIfES1_IdES3_S3_EEvbT_PKS4_PjPKT0_NS_24const_host_device_scalarIT4_EES6_SA_PKT1_PKT2_SD_PT3_21rocsparse_index_base_b.num_named_barrier, 0
	.set _ZN9rocsparseL22csrmvn_adaptive_kernelIii21rocsparse_complex_numIfES1_IdES3_S3_EEvbT_PKS4_PjPKT0_NS_24const_host_device_scalarIT4_EES6_SA_PKT1_PKT2_SD_PT3_21rocsparse_index_base_b.private_seg_size, 0
	.set _ZN9rocsparseL22csrmvn_adaptive_kernelIii21rocsparse_complex_numIfES1_IdES3_S3_EEvbT_PKS4_PjPKT0_NS_24const_host_device_scalarIT4_EES6_SA_PKT1_PKT2_SD_PT3_21rocsparse_index_base_b.uses_vcc, 1
	.set _ZN9rocsparseL22csrmvn_adaptive_kernelIii21rocsparse_complex_numIfES1_IdES3_S3_EEvbT_PKS4_PjPKT0_NS_24const_host_device_scalarIT4_EES6_SA_PKT1_PKT2_SD_PT3_21rocsparse_index_base_b.uses_flat_scratch, 0
	.set _ZN9rocsparseL22csrmvn_adaptive_kernelIii21rocsparse_complex_numIfES1_IdES3_S3_EEvbT_PKS4_PjPKT0_NS_24const_host_device_scalarIT4_EES6_SA_PKT1_PKT2_SD_PT3_21rocsparse_index_base_b.has_dyn_sized_stack, 0
	.set _ZN9rocsparseL22csrmvn_adaptive_kernelIii21rocsparse_complex_numIfES1_IdES3_S3_EEvbT_PKS4_PjPKT0_NS_24const_host_device_scalarIT4_EES6_SA_PKT1_PKT2_SD_PT3_21rocsparse_index_base_b.has_recursion, 0
	.set _ZN9rocsparseL22csrmvn_adaptive_kernelIii21rocsparse_complex_numIfES1_IdES3_S3_EEvbT_PKS4_PjPKT0_NS_24const_host_device_scalarIT4_EES6_SA_PKT1_PKT2_SD_PT3_21rocsparse_index_base_b.has_indirect_call, 0
	.section	.AMDGPU.csdata,"",@progbits
; Kernel info:
; codeLenInByte = 5148
; TotalNumSgprs: 61
; NumVgprs: 50
; ScratchSize: 0
; MemoryBound: 0
; FloatMode: 240
; IeeeMode: 1
; LDSByteSize: 16384 bytes/workgroup (compile time only)
; SGPRBlocks: 12
; VGPRBlocks: 12
; NumSGPRsForWavesPerEU: 102
; NumVGPRsForWavesPerEU: 50
; Occupancy: 4
; WaveLimiterHint : 1
; COMPUTE_PGM_RSRC2:SCRATCH_EN: 0
; COMPUTE_PGM_RSRC2:USER_SGPR: 6
; COMPUTE_PGM_RSRC2:TRAP_HANDLER: 0
; COMPUTE_PGM_RSRC2:TGID_X_EN: 1
; COMPUTE_PGM_RSRC2:TGID_Y_EN: 0
; COMPUTE_PGM_RSRC2:TGID_Z_EN: 0
; COMPUTE_PGM_RSRC2:TIDIG_COMP_CNT: 0
	.section	.text._ZN9rocsparseL27csrmvn_symm_adaptive_kernelIii21rocsparse_complex_numIfES1_IdES3_S3_EEvbT_S4_PKS4_NS_24const_host_device_scalarIT4_EES6_PKT0_PKT1_PKT2_S9_PT3_21rocsparse_index_base_b,"axG",@progbits,_ZN9rocsparseL27csrmvn_symm_adaptive_kernelIii21rocsparse_complex_numIfES1_IdES3_S3_EEvbT_S4_PKS4_NS_24const_host_device_scalarIT4_EES6_PKT0_PKT1_PKT2_S9_PT3_21rocsparse_index_base_b,comdat
	.globl	_ZN9rocsparseL27csrmvn_symm_adaptive_kernelIii21rocsparse_complex_numIfES1_IdES3_S3_EEvbT_S4_PKS4_NS_24const_host_device_scalarIT4_EES6_PKT0_PKT1_PKT2_S9_PT3_21rocsparse_index_base_b ; -- Begin function _ZN9rocsparseL27csrmvn_symm_adaptive_kernelIii21rocsparse_complex_numIfES1_IdES3_S3_EEvbT_S4_PKS4_NS_24const_host_device_scalarIT4_EES6_PKT0_PKT1_PKT2_S9_PT3_21rocsparse_index_base_b
	.p2align	8
	.type	_ZN9rocsparseL27csrmvn_symm_adaptive_kernelIii21rocsparse_complex_numIfES1_IdES3_S3_EEvbT_S4_PKS4_NS_24const_host_device_scalarIT4_EES6_PKT0_PKT1_PKT2_S9_PT3_21rocsparse_index_base_b,@function
_ZN9rocsparseL27csrmvn_symm_adaptive_kernelIii21rocsparse_complex_numIfES1_IdES3_S3_EEvbT_S4_PKS4_NS_24const_host_device_scalarIT4_EES6_PKT0_PKT1_PKT2_S9_PT3_21rocsparse_index_base_b: ; @_ZN9rocsparseL27csrmvn_symm_adaptive_kernelIii21rocsparse_complex_numIfES1_IdES3_S3_EEvbT_S4_PKS4_NS_24const_host_device_scalarIT4_EES6_PKT0_PKT1_PKT2_S9_PT3_21rocsparse_index_base_b
; %bb.0:
	s_load_dwordx2 s[28:29], s[4:5], 0x60
	s_load_dwordx2 s[0:1], s[4:5], 0x18
	s_add_u32 s7, s4, 24
	s_addc_u32 s10, s5, 0
	s_waitcnt lgkmcnt(0)
	s_bitcmp1_b32 s29, 0
	s_cselect_b64 s[8:9], -1, 0
	s_and_b64 s[2:3], s[8:9], exec
	s_cselect_b32 s1, s10, s1
	s_cselect_b32 s0, s7, s0
	v_mov_b32_e32 v1, s0
	v_mov_b32_e32 v2, s1
	flat_load_dwordx4 v[1:4], v[1:2]
	s_waitcnt vmcnt(0) lgkmcnt(0)
	v_cmp_eq_f64_e32 vcc, 0, v[1:2]
	v_cmp_eq_f64_e64 s[0:1], 0, v[3:4]
	s_and_b64 s[10:11], vcc, s[0:1]
	s_mov_b64 s[0:1], -1
	s_and_saveexec_b64 s[2:3], s[10:11]
	s_cbranch_execz .LBB110_2
; %bb.1:
	s_load_dwordx2 s[0:1], s[4:5], 0x48
	s_add_u32 s7, s4, 0x48
	s_addc_u32 s10, s5, 0
	s_and_b64 s[8:9], s[8:9], exec
	s_waitcnt lgkmcnt(0)
	s_cselect_b32 s1, s10, s1
	s_cselect_b32 s0, s7, s0
	v_mov_b32_e32 v5, s0
	v_mov_b32_e32 v6, s1
	flat_load_dwordx4 v[5:8], v[5:6]
	s_waitcnt vmcnt(0) lgkmcnt(0)
	v_cmp_neq_f64_e32 vcc, 1.0, v[5:6]
	v_cmp_neq_f64_e64 s[0:1], 0, v[7:8]
	s_or_b64 s[0:1], vcc, s[0:1]
	s_orn2_b64 s[0:1], s[0:1], exec
.LBB110_2:
	s_or_b64 exec, exec, s[2:3]
	s_and_saveexec_b64 s[2:3], s[0:1]
	s_cbranch_execz .LBB110_203
; %bb.3:
	s_load_dwordx4 s[20:23], s[4:5], 0x0
	s_load_dwordx2 s[8:9], s[4:5], 0x10
	s_mov_b32 s0, 0
	s_mov_b32 s3, s0
	;; [unrolled: 1-line block ×3, first 2 shown]
	s_waitcnt lgkmcnt(0)
	s_bitcmp1_b32 s20, 0
	s_cselect_b64 s[30:31], -1, 0
	s_mov_b32 s2, s0
	v_mov_b32_e32 v8, s3
	s_ashr_i32 s7, s6, 31
	v_mov_b32_e32 v7, s2
	v_mov_b32_e32 v6, s1
	;; [unrolled: 1-line block ×3, first 2 shown]
	s_lshl_b64 s[0:1], s[6:7], 2
	s_add_u32 s0, s8, s0
	v_lshlrev_b32_e32 v22, 4, v0
	s_addc_u32 s1, s9, s1
	ds_write_b128 v22, v[5:8]
	ds_write_b128 v22, v[5:8] offset:4096
	ds_write_b128 v22, v[5:8] offset:8192
	;; [unrolled: 1-line block ×3, first 2 shown]
	s_waitcnt lgkmcnt(0)
	s_barrier
	s_load_dwordx2 s[26:27], s[0:1], 0x0
	s_load_dwordx2 s[24:25], s[4:5], 0x58
	s_load_dwordx8 s[12:19], s[4:5], 0x28
	s_mov_b64 s[0:1], -1
	v_subrev_u32_e32 v23, s28, v0
	s_waitcnt lgkmcnt(0)
	s_sub_i32 s23, s27, s26
	s_cmp_gt_i32 s23, 2
	s_cbranch_scc1 .LBB110_45
; %bb.4:
	s_cmp_le_i32 s27, s26
	s_cbranch_scc1 .LBB110_32
; %bb.5:
	s_add_u32 s20, s16, 4
	v_cmp_gt_u32_e64 s[0:1], 64, v0
	v_cmp_gt_u32_e64 s[2:3], 16, v0
	;; [unrolled: 1-line block ×3, first 2 shown]
	v_cmp_eq_u32_e64 s[8:9], 0, v0
	s_addc_u32 s29, s17, 0
	v_mov_b32_e32 v15, 0
	s_mov_b32 s34, s26
	s_branch .LBB110_7
.LBB110_6:                              ;   in Loop: Header=BB110_7 Depth=1
	s_or_b64 exec, exec, s[10:11]
	s_add_i32 s34, s34, 1
	s_cmp_ge_i32 s34, s27
	s_cbranch_scc1 .LBB110_32
.LBB110_7:                              ; =>This Loop Header: Depth=1
                                        ;     Child Loop BB110_9 Depth 2
                                        ;     Child Loop BB110_21 Depth 2
	;; [unrolled: 1-line block ×5, first 2 shown]
	s_ashr_i32 s35, s34, 31
	s_lshl_b64 s[10:11], s[34:35], 2
	s_add_u32 s10, s12, s10
	s_addc_u32 s11, s13, s11
	s_load_dwordx2 s[36:37], s[10:11], 0x0
	v_mov_b32_e32 v7, 0
	v_mov_b32_e32 v5, 0
	;; [unrolled: 1-line block ×4, first 2 shown]
	s_waitcnt lgkmcnt(0)
	s_sub_i32 s33, s37, s28
	v_add_u32_e32 v9, s36, v23
	v_cmp_gt_i32_e32 vcc, s33, v9
	s_and_saveexec_b64 s[36:37], vcc
	s_cbranch_execz .LBB110_11
; %bb.8:                                ;   in Loop: Header=BB110_7 Depth=1
	v_ashrrev_i32_e32 v10, 31, v9
	v_lshlrev_b64 v[5:6], 2, v[9:10]
	v_mov_b32_e32 v7, s15
	v_add_co_u32_e32 v11, vcc, s14, v5
	v_addc_co_u32_e32 v12, vcc, v7, v6, vcc
	v_lshlrev_b64 v[5:6], 3, v[9:10]
	v_mov_b32_e32 v7, s29
	v_add_co_u32_e32 v13, vcc, s20, v5
	v_addc_co_u32_e32 v14, vcc, v7, v6, vcc
	v_mov_b32_e32 v7, 0
	v_mov_b32_e32 v8, 0
	;; [unrolled: 1-line block ×3, first 2 shown]
	s_mov_b64 s[38:39], 0
	v_mov_b32_e32 v6, v8
.LBB110_9:                              ;   Parent Loop BB110_7 Depth=1
                                        ; =>  This Inner Loop Header: Depth=2
	global_load_dword v10, v[11:12], off
	global_load_dwordx2 v[20:21], v[13:14], off offset:-4
	v_mov_b32_e32 v18, s19
	v_add_u32_e32 v9, 0x100, v9
	v_cmp_le_i32_e64 s[10:11], s33, v9
	s_or_b64 s[38:39], s[10:11], s[38:39]
	s_waitcnt vmcnt(1)
	v_subrev_u32_e32 v16, s28, v10
	v_ashrrev_i32_e32 v17, 31, v16
	v_lshlrev_b64 v[16:17], 4, v[16:17]
	s_waitcnt vmcnt(0)
	v_cndmask_b32_e64 v10, v21, -v21, s[30:31]
	v_add_co_u32_e32 v16, vcc, s18, v16
	v_addc_co_u32_e32 v17, vcc, v18, v17, vcc
	global_load_dwordx4 v[16:19], v[16:17], off
	v_cvt_f64_f32_e32 v[20:21], v20
	v_cvt_f64_f32_e32 v[24:25], v10
	v_add_co_u32_e32 v11, vcc, 0x400, v11
	v_addc_co_u32_e32 v12, vcc, 0, v12, vcc
	v_add_co_u32_e32 v13, vcc, 0x800, v13
	v_addc_co_u32_e32 v14, vcc, 0, v14, vcc
	s_waitcnt vmcnt(0)
	v_fma_f64 v[5:6], v[20:21], v[16:17], v[5:6]
	v_fma_f64 v[7:8], v[24:25], v[16:17], v[7:8]
	v_fma_f64 v[5:6], -v[24:25], v[18:19], v[5:6]
	v_fma_f64 v[7:8], v[20:21], v[18:19], v[7:8]
	s_andn2_b64 exec, exec, s[38:39]
	s_cbranch_execnz .LBB110_9
; %bb.10:                               ;   in Loop: Header=BB110_7 Depth=1
	s_or_b64 exec, exec, s[38:39]
.LBB110_11:                             ;   in Loop: Header=BB110_7 Depth=1
	s_or_b64 exec, exec, s[36:37]
	ds_write_b128 v22, v[5:8]
	s_waitcnt lgkmcnt(0)
	s_barrier
	ds_read_b128 v[5:8], v22 offset:4096
	ds_read_b128 v[9:12], v22 offset:8192
	;; [unrolled: 1-line block ×3, first 2 shown]
	ds_read_b128 v[24:27], v22
	s_waitcnt lgkmcnt(2)
	v_add_f64 v[5:6], v[9:10], v[5:6]
	v_add_f64 v[7:8], v[11:12], v[7:8]
	s_waitcnt lgkmcnt(1)
	v_add_f64 v[5:6], v[5:6], v[16:17]
	v_add_f64 v[7:8], v[7:8], v[18:19]
	;; [unrolled: 3-line block ×3, first 2 shown]
	ds_write_b128 v22, v[5:8]
	s_waitcnt lgkmcnt(0)
	s_barrier
	s_and_saveexec_b64 s[10:11], s[0:1]
	s_cbranch_execz .LBB110_13
; %bb.12:                               ;   in Loop: Header=BB110_7 Depth=1
	ds_read_b128 v[5:8], v22 offset:1024
	ds_read_b128 v[9:12], v22 offset:2048
	ds_read_b128 v[16:19], v22 offset:3072
	ds_read_b128 v[24:27], v22
	s_waitcnt lgkmcnt(2)
	v_add_f64 v[5:6], v[9:10], v[5:6]
	v_add_f64 v[7:8], v[11:12], v[7:8]
	s_waitcnt lgkmcnt(1)
	v_add_f64 v[5:6], v[5:6], v[16:17]
	v_add_f64 v[7:8], v[7:8], v[18:19]
	s_waitcnt lgkmcnt(0)
	v_add_f64 v[5:6], v[5:6], v[24:25]
	v_add_f64 v[7:8], v[7:8], v[26:27]
	ds_write_b128 v22, v[5:8]
.LBB110_13:                             ;   in Loop: Header=BB110_7 Depth=1
	s_or_b64 exec, exec, s[10:11]
	s_waitcnt lgkmcnt(0)
	s_barrier
	s_and_saveexec_b64 s[10:11], s[2:3]
	s_cbranch_execz .LBB110_15
; %bb.14:                               ;   in Loop: Header=BB110_7 Depth=1
	ds_read_b128 v[5:8], v22 offset:256
	ds_read_b128 v[9:12], v22 offset:512
	ds_read_b128 v[16:19], v22 offset:768
	ds_read_b128 v[24:27], v22
	s_waitcnt lgkmcnt(2)
	v_add_f64 v[5:6], v[9:10], v[5:6]
	v_add_f64 v[7:8], v[11:12], v[7:8]
	s_waitcnt lgkmcnt(1)
	v_add_f64 v[5:6], v[5:6], v[16:17]
	v_add_f64 v[7:8], v[7:8], v[18:19]
	s_waitcnt lgkmcnt(0)
	v_add_f64 v[5:6], v[5:6], v[24:25]
	v_add_f64 v[7:8], v[7:8], v[26:27]
	ds_write_b128 v22, v[5:8]
.LBB110_15:                             ;   in Loop: Header=BB110_7 Depth=1
	s_or_b64 exec, exec, s[10:11]
	;; [unrolled: 21-line block ×4, first 2 shown]
	s_waitcnt lgkmcnt(0)
	s_barrier
	s_and_saveexec_b64 s[10:11], s[8:9]
	s_cbranch_execz .LBB110_6
; %bb.20:                               ;   in Loop: Header=BB110_7 Depth=1
	ds_read_b128 v[5:8], v15
	v_mov_b32_e32 v13, 0
	s_mov_b64 s[36:37], exec
	v_bfrev_b32_e32 v14, 1
	s_waitcnt lgkmcnt(0)
	v_mul_f64 v[9:10], v[7:8], -v[3:4]
	v_fma_f64 v[9:10], v[1:2], v[5:6], v[9:10]
.LBB110_21:                             ;   Parent Loop BB110_7 Depth=1
                                        ; =>  This Inner Loop Header: Depth=2
	s_ff1_i32_b64 s33, s[36:37]
	v_readlane_b32 s39, v10, s33
	v_readlane_b32 s38, v9, s33
	v_add_f64 v[13:14], v[13:14], s[38:39]
	s_lshl_b64 s[38:39], 1, s33
	s_andn2_b64 s[36:37], s[36:37], s[38:39]
	s_cmp_lg_u64 s[36:37], 0
	s_cbranch_scc1 .LBB110_21
; %bb.22:                               ;   in Loop: Header=BB110_7 Depth=1
	s_lshl_b64 s[36:37], s[34:35], 4
	v_mbcnt_lo_u32_b32 v9, exec_lo, 0
	s_add_u32 s36, s24, s36
	v_mbcnt_hi_u32_b32 v9, exec_hi, v9
	s_addc_u32 s37, s25, s37
	v_cmp_eq_u32_e32 vcc, 0, v9
	s_and_saveexec_b64 s[38:39], vcc
	s_xor_b64 s[38:39], exec, s[38:39]
	s_cbranch_execz .LBB110_26
; %bb.23:                               ;   in Loop: Header=BB110_7 Depth=1
	global_load_dwordx2 v[11:12], v15, s[36:37]
	s_mov_b64 s[40:41], 0
.LBB110_24:                             ;   Parent Loop BB110_7 Depth=1
                                        ; =>  This Inner Loop Header: Depth=2
	s_waitcnt vmcnt(0)
	v_add_f64 v[9:10], v[11:12], v[13:14]
	global_atomic_cmpswap_x2 v[9:10], v15, v[9:12], s[36:37] glc
	s_waitcnt vmcnt(0)
	v_cmp_eq_u64_e32 vcc, v[9:10], v[11:12]
	v_mov_b32_e32 v12, v10
	s_or_b64 s[40:41], vcc, s[40:41]
	v_mov_b32_e32 v11, v9
	s_andn2_b64 exec, exec, s[40:41]
	s_cbranch_execnz .LBB110_24
; %bb.25:                               ;   in Loop: Header=BB110_7 Depth=1
	s_or_b64 exec, exec, s[40:41]
.LBB110_26:                             ;   in Loop: Header=BB110_7 Depth=1
	s_or_b64 exec, exec, s[38:39]
	v_mul_f64 v[7:8], v[1:2], v[7:8]
	v_mov_b32_e32 v9, 0
	s_mov_b64 s[38:39], exec
	v_bfrev_b32_e32 v10, 1
	v_fma_f64 v[5:6], v[3:4], v[5:6], v[7:8]
.LBB110_27:                             ;   Parent Loop BB110_7 Depth=1
                                        ; =>  This Inner Loop Header: Depth=2
	s_ff1_i32_b64 s33, s[38:39]
	v_readlane_b32 s41, v6, s33
	v_readlane_b32 s40, v5, s33
	v_add_f64 v[9:10], v[9:10], s[40:41]
	s_lshl_b64 s[40:41], 1, s33
	s_andn2_b64 s[38:39], s[38:39], s[40:41]
	s_cmp_lg_u64 s[38:39], 0
	s_cbranch_scc1 .LBB110_27
; %bb.28:                               ;   in Loop: Header=BB110_7 Depth=1
	v_mbcnt_lo_u32_b32 v5, exec_lo, 0
	v_mbcnt_hi_u32_b32 v5, exec_hi, v5
	v_cmp_eq_u32_e32 vcc, 0, v5
	s_and_saveexec_b64 s[38:39], vcc
	s_xor_b64 s[38:39], exec, s[38:39]
	s_cbranch_execz .LBB110_6
; %bb.29:                               ;   in Loop: Header=BB110_7 Depth=1
	global_load_dwordx2 v[7:8], v15, s[36:37] offset:8
	s_mov_b64 s[38:39], 0
.LBB110_30:                             ;   Parent Loop BB110_7 Depth=1
                                        ; =>  This Inner Loop Header: Depth=2
	s_waitcnt vmcnt(0)
	v_add_f64 v[5:6], v[7:8], v[9:10]
	global_atomic_cmpswap_x2 v[5:6], v15, v[5:8], s[36:37] offset:8 glc
	s_waitcnt vmcnt(0)
	v_cmp_eq_u64_e32 vcc, v[5:6], v[7:8]
	v_mov_b32_e32 v8, v6
	s_or_b64 s[38:39], vcc, s[38:39]
	v_mov_b32_e32 v7, v5
	s_andn2_b64 exec, exec, s[38:39]
	s_cbranch_execnz .LBB110_30
; %bb.31:                               ;   in Loop: Header=BB110_7 Depth=1
	s_or_b64 exec, exec, s[38:39]
	s_branch .LBB110_6
.LBB110_32:
	s_ashr_i32 s1, s26, 31
	s_mov_b32 s0, s26
	s_lshl_b64 s[0:1], s[0:1], 2
	s_add_u32 s0, s12, s0
	s_addc_u32 s1, s13, s1
	s_ashr_i32 s3, s27, 31
	s_mov_b32 s2, s27
	s_lshl_b64 s[2:3], s[2:3], 2
	s_add_u32 s2, s12, s2
	s_addc_u32 s3, s13, s3
	s_load_dword s6, s[2:3], 0x0
	s_load_dword s7, s[0:1], 0x0
	s_waitcnt lgkmcnt(0)
	s_sub_i32 s20, s6, s28
	v_add_u32_e32 v13, s7, v23
	v_cmp_gt_i32_e32 vcc, s20, v13
	s_and_saveexec_b64 s[6:7], vcc
	s_cbranch_execz .LBB110_44
; %bb.33:
	s_add_i32 s29, s27, -1
	s_cmp_lt_i32 s26, s29
	s_cselect_b64 s[0:1], -1, 0
	s_add_i32 s2, s27, -2
	s_cmp_lg_u32 s26, s2
	s_cselect_b64 s[2:3], -1, 0
	s_and_b64 s[0:1], s[0:1], s[2:3]
	v_cndmask_b32_e64 v5, 0, 1, s[0:1]
	s_mov_b64 s[8:9], 0
	v_cmp_ne_u32_e64 s[0:1], 1, v5
	v_mov_b32_e32 v24, s13
	v_mov_b32_e32 v25, s15
	s_branch .LBB110_35
.LBB110_34:                             ;   in Loop: Header=BB110_35 Depth=1
	s_or_b64 exec, exec, s[2:3]
	v_add_u32_e32 v13, 0x100, v13
	v_cmp_le_i32_e32 vcc, s20, v13
	s_or_b64 s[8:9], vcc, s[8:9]
	s_andn2_b64 exec, exec, s[8:9]
	s_cbranch_execz .LBB110_44
.LBB110_35:                             ; =>This Loop Header: Depth=1
                                        ;     Child Loop BB110_37 Depth 2
                                        ;     Child Loop BB110_41 Depth 2
	;; [unrolled: 1-line block ×3, first 2 shown]
	s_and_b64 vcc, exec, s[0:1]
	v_mov_b32_e32 v7, s26
	v_mov_b32_e32 v5, s29
	s_cbranch_vccnz .LBB110_39
; %bb.36:                               ;   in Loop: Header=BB110_35 Depth=1
	s_mov_b64 s[10:11], 0
	v_mov_b32_e32 v7, s26
	v_mov_b32_e32 v5, s29
.LBB110_37:                             ;   Parent Loop BB110_35 Depth=1
                                        ; =>  This Inner Loop Header: Depth=2
	v_add_u32_e32 v6, v5, v7
	v_lshrrev_b32_e32 v8, 31, v6
	v_add_u32_e32 v6, v6, v8
	v_ashrrev_i32_e32 v8, 1, v6
	v_ashrrev_i32_e32 v9, 31, v8
	v_lshlrev_b64 v[9:10], 2, v[8:9]
	v_mov_b32_e32 v11, s13
	v_add_co_u32_e32 v9, vcc, s12, v9
	v_addc_co_u32_e32 v10, vcc, v11, v10, vcc
	global_load_dword v6, v[9:10], off
	s_waitcnt vmcnt(0)
	v_subrev_u32_e32 v6, s28, v6
	v_cmp_lt_i32_e32 vcc, v13, v6
	v_cndmask_b32_e32 v5, v5, v8, vcc
	v_cndmask_b32_e32 v7, v8, v7, vcc
	v_add_u32_e32 v6, -1, v5
	v_cmp_ge_i32_e32 vcc, v7, v5
	v_cmp_eq_u32_e64 s[2:3], v7, v6
	s_or_b64 s[2:3], vcc, s[2:3]
	s_and_b64 s[2:3], exec, s[2:3]
	s_or_b64 s[10:11], s[2:3], s[10:11]
	s_andn2_b64 exec, exec, s[10:11]
	s_cbranch_execnz .LBB110_37
; %bb.38:                               ;   in Loop: Header=BB110_35 Depth=1
	s_or_b64 exec, exec, s[10:11]
.LBB110_39:                             ;   in Loop: Header=BB110_35 Depth=1
	v_ashrrev_i32_e32 v6, 31, v5
	v_lshlrev_b64 v[8:9], 2, v[5:6]
	v_ashrrev_i32_e32 v14, 31, v13
	v_add_co_u32_e32 v8, vcc, s12, v8
	v_addc_co_u32_e32 v9, vcc, v24, v9, vcc
	global_load_dword v6, v[8:9], off
	v_lshlrev_b64 v[8:9], 2, v[13:14]
	v_add_co_u32_e32 v8, vcc, s14, v8
	v_addc_co_u32_e32 v9, vcc, v25, v9, vcc
	global_load_dword v8, v[8:9], off
	s_waitcnt vmcnt(1)
	v_subrev_u32_e32 v6, s28, v6
	v_cmp_lt_i32_e32 vcc, v13, v6
	v_cndmask_b32_e32 v5, v5, v7, vcc
	s_waitcnt vmcnt(0)
	v_subrev_u32_e32 v9, s28, v8
	v_cmp_ne_u32_e32 vcc, v9, v5
	s_and_saveexec_b64 s[2:3], vcc
	s_cbranch_execz .LBB110_34
; %bb.40:                               ;   in Loop: Header=BB110_35 Depth=1
	v_lshlrev_b64 v[6:7], 3, v[13:14]
	v_mov_b32_e32 v8, s17
	v_add_co_u32_e32 v6, vcc, s16, v6
	v_addc_co_u32_e32 v7, vcc, v8, v7, vcc
	global_load_dwordx2 v[16:17], v[6:7], off
	v_ashrrev_i32_e32 v6, 31, v5
	v_lshlrev_b64 v[5:6], 4, v[5:6]
	v_mov_b32_e32 v7, s19
	v_add_co_u32_e32 v5, vcc, s18, v5
	v_addc_co_u32_e32 v6, vcc, v7, v6, vcc
	global_load_dwordx4 v[5:8], v[5:6], off
	v_ashrrev_i32_e32 v10, 31, v9
	v_lshlrev_b64 v[9:10], 4, v[9:10]
	v_mov_b32_e32 v11, s25
	v_add_co_u32_e32 v14, vcc, s24, v9
	v_addc_co_u32_e32 v15, vcc, v11, v10, vcc
	global_load_dwordx2 v[11:12], v[14:15], off
	s_mov_b64 s[10:11], 0
	s_waitcnt vmcnt(2)
	v_cndmask_b32_e64 v9, v17, -v17, s[30:31]
	v_cvt_f64_f32_e32 v[9:10], v9
	v_cvt_f64_f32_e32 v[19:20], v16
	v_mul_f64 v[17:18], v[1:2], v[9:10]
	v_mul_f64 v[9:10], -v[3:4], v[9:10]
	v_fma_f64 v[16:17], v[3:4], v[19:20], v[17:18]
	v_fma_f64 v[18:19], v[1:2], v[19:20], v[9:10]
	s_waitcnt vmcnt(1)
	v_mul_f64 v[9:10], v[7:8], -v[16:17]
	v_fma_f64 v[20:21], v[18:19], v[5:6], v[9:10]
.LBB110_41:                             ;   Parent Loop BB110_35 Depth=1
                                        ; =>  This Inner Loop Header: Depth=2
	s_waitcnt vmcnt(0)
	v_add_f64 v[9:10], v[11:12], v[20:21]
	global_atomic_cmpswap_x2 v[9:10], v[14:15], v[9:12], off glc
	s_waitcnt vmcnt(0)
	v_cmp_eq_u64_e32 vcc, v[9:10], v[11:12]
	v_mov_b32_e32 v12, v10
	s_or_b64 s[10:11], vcc, s[10:11]
	v_mov_b32_e32 v11, v9
	s_andn2_b64 exec, exec, s[10:11]
	s_cbranch_execnz .LBB110_41
; %bb.42:                               ;   in Loop: Header=BB110_35 Depth=1
	s_or_b64 exec, exec, s[10:11]
	global_load_dwordx2 v[9:10], v[14:15], off offset:8
	v_mul_f64 v[7:8], v[7:8], v[18:19]
	s_mov_b64 s[10:11], 0
	v_fma_f64 v[5:6], v[16:17], v[5:6], v[7:8]
.LBB110_43:                             ;   Parent Loop BB110_35 Depth=1
                                        ; =>  This Inner Loop Header: Depth=2
	s_waitcnt vmcnt(0)
	v_add_f64 v[7:8], v[9:10], v[5:6]
	global_atomic_cmpswap_x2 v[7:8], v[14:15], v[7:10], off offset:8 glc
	s_waitcnt vmcnt(0)
	v_cmp_eq_u64_e32 vcc, v[7:8], v[9:10]
	v_mov_b32_e32 v10, v8
	s_or_b64 s[10:11], vcc, s[10:11]
	v_mov_b32_e32 v9, v7
	s_andn2_b64 exec, exec, s[10:11]
	s_cbranch_execnz .LBB110_43
	s_branch .LBB110_34
.LBB110_44:
	s_or_b64 exec, exec, s[6:7]
	s_mov_b64 s[0:1], 0
.LBB110_45:
	s_and_b64 vcc, exec, s[0:1]
	s_cbranch_vccz .LBB110_203
; %bb.46:
	v_cvt_f32_u32_e32 v5, s23
	s_ashr_i32 s1, s26, 31
	s_mov_b32 s0, s26
	s_sub_i32 s2, 0, s23
	v_rcp_iflag_f32_e32 v5, v5
	s_lshl_b64 s[0:1], s[0:1], 2
	s_add_u32 s6, s12, s0
	s_addc_u32 s7, s13, s1
	s_load_dword s29, s[6:7], 0x0
	v_mul_f32_e32 v5, 0x4f7ffffe, v5
	v_cvt_u32_f32_e32 v5, v5
	s_load_dword s10, s[4:5], 0x74
	s_waitcnt lgkmcnt(0)
	v_add_u32_e32 v9, s29, v23
	v_readfirstlane_b32 s11, v5
	s_mul_i32 s2, s2, s11
	v_add_u32_e32 v20, 0x300, v9
	s_mul_hi_u32 s20, s11, s2
	v_cmp_le_i32_e32 vcc, s21, v20
	s_and_saveexec_b64 s[0:1], vcc
	s_xor_b64 s[2:3], exec, s[0:1]
	s_cbranch_execz .LBB110_51
; %bb.47:
	s_ashr_i32 s1, s27, 31
	s_mov_b32 s0, s27
	s_lshl_b64 s[0:1], s[0:1], 2
	s_add_u32 s0, s12, s0
	s_addc_u32 s1, s13, s1
	s_load_dword s0, s[0:1], 0x0
	s_waitcnt lgkmcnt(0)
	s_sub_i32 s21, s0, s29
	v_cmp_gt_i32_e64 s[0:1], s21, v0
	s_and_saveexec_b64 s[4:5], s[0:1]
	s_cbranch_execz .LBB110_50
; %bb.48:
	s_sub_i32 s33, s29, s28
	s_mov_b64 s[8:9], 0
	v_mov_b32_e32 v5, s17
	v_mov_b32_e32 v6, v22
	;; [unrolled: 1-line block ×3, first 2 shown]
.LBB110_49:                             ; =>This Inner Loop Header: Depth=1
	v_add_u32_e32 v10, s33, v7
	v_ashrrev_i32_e32 v11, 31, v10
	v_lshlrev_b64 v[10:11], 3, v[10:11]
	v_add_u32_e32 v7, 0x100, v7
	v_add_co_u32_e64 v10, s[0:1], s16, v10
	v_addc_co_u32_e64 v11, s[0:1], v5, v11, s[0:1]
	global_load_dwordx2 v[10:11], v[10:11], off
	v_cmp_le_i32_e64 s[0:1], s21, v7
	s_or_b64 s[8:9], s[0:1], s[8:9]
	s_waitcnt vmcnt(0)
	v_cndmask_b32_e64 v8, v11, -v11, s[30:31]
	v_cvt_f64_f32_e32 v[11:12], v8
	v_cvt_f64_f32_e32 v[17:18], v10
	v_mul_f64 v[13:14], -v[3:4], v[11:12]
	v_mul_f64 v[15:16], v[1:2], v[11:12]
	v_fma_f64 v[10:11], v[1:2], v[17:18], v[13:14]
	v_fma_f64 v[12:13], v[3:4], v[17:18], v[15:16]
	ds_write_b128 v6, v[10:13]
	v_add_u32_e32 v6, 0x1000, v6
	s_andn2_b64 exec, exec, s[8:9]
	s_cbranch_execnz .LBB110_49
.LBB110_50:
	s_or_b64 exec, exec, s[4:5]
                                        ; implicit-def: $vgpr3_vgpr4
.LBB110_51:
	s_or_saveexec_b64 s[2:3], s[2:3]
	s_and_b32 s33, s10, 0xffff
	s_add_i32 s4, s11, s20
	v_ashrrev_i32_e32 v10, 31, v9
	s_xor_b64 exec, exec, s[2:3]
	s_cbranch_execz .LBB110_53
; %bb.52:
	v_lshlrev_b64 v[5:6], 3, v[9:10]
	v_mov_b32_e32 v7, s17
	v_add_co_u32_e64 v5, s[0:1], s16, v5
	v_addc_co_u32_e64 v6, s[0:1], v7, v6, s[0:1]
	s_movk_i32 s0, 0x1000
	global_load_dwordx2 v[7:8], v[5:6], off
	global_load_dwordx2 v[11:12], v[5:6], off offset:2048
	v_add_co_u32_e64 v5, s[0:1], s0, v5
	v_addc_co_u32_e64 v6, s[0:1], 0, v6, s[0:1]
	global_load_dwordx2 v[13:14], v[5:6], off
	global_load_dwordx2 v[15:16], v[5:6], off offset:2048
	s_waitcnt vmcnt(3)
	v_cndmask_b32_e64 v5, v8, -v8, s[30:31]
	s_waitcnt vmcnt(2)
	v_cndmask_b32_e64 v12, v12, -v12, s[30:31]
	v_cvt_f64_f32_e32 v[5:6], v5
	v_cvt_f64_f32_e32 v[17:18], v11
	;; [unrolled: 1-line block ×3, first 2 shown]
	s_waitcnt vmcnt(1)
	v_cndmask_b32_e64 v14, v14, -v14, s[30:31]
	v_cvt_f64_f32_e32 v[23:24], v13
	s_waitcnt vmcnt(0)
	v_cndmask_b32_e64 v16, v16, -v16, s[30:31]
	v_cvt_f64_f32_e32 v[13:14], v14
	v_cvt_f64_f32_e32 v[25:26], v15
	;; [unrolled: 1-line block ×3, first 2 shown]
	v_mul_f64 v[27:28], -v[3:4], v[5:6]
	v_mul_f64 v[29:30], v[1:2], v[5:6]
	v_mul_f64 v[31:32], -v[3:4], v[11:12]
	v_mul_f64 v[33:34], v[1:2], v[11:12]
	;; [unrolled: 2-line block ×4, first 2 shown]
	v_cvt_f64_f32_e32 v[7:8], v7
	v_fma_f64 v[11:12], v[1:2], v[17:18], v[31:32]
	v_fma_f64 v[13:14], v[3:4], v[17:18], v[33:34]
	;; [unrolled: 1-line block ×8, first 2 shown]
	ds_write_b128 v22, v[5:8]
	ds_write_b128 v22, v[11:14] offset:4096
	ds_write_b128 v22, v[15:18] offset:8192
	;; [unrolled: 1-line block ×3, first 2 shown]
.LBB110_53:
	s_or_b64 exec, exec, s[2:3]
	s_mul_hi_u32 s30, s33, s4
	v_cmp_gt_i32_e64 s[0:1], s22, v0
	s_and_saveexec_b64 s[2:3], s[0:1]
	s_cbranch_execz .LBB110_56
; %bb.54:
	s_mov_b32 s0, 0
	v_mov_b32_e32 v1, 0x4000
	s_mov_b32 s1, s0
	s_mov_b32 s8, s0
	v_lshl_add_u32 v5, v0, 4, v1
	s_mov_b32 s9, s0
	v_mov_b32_e32 v2, s1
	v_mov_b32_e32 v3, s8
	s_mov_b64 s[4:5], 0
	v_mov_b32_e32 v1, s0
	v_mov_b32_e32 v4, s9
	;; [unrolled: 1-line block ×3, first 2 shown]
.LBB110_55:                             ; =>This Inner Loop Header: Depth=1
	v_add_u32_e32 v6, 0x100, v6
	v_cmp_le_i32_e64 s[0:1], s22, v6
	ds_write2_b64 v5, v[1:2], v[3:4] offset1:1
	s_or_b64 s[4:5], s[0:1], s[4:5]
	v_add_u32_e32 v5, 0x1000, v5
	s_andn2_b64 exec, exec, s[4:5]
	s_cbranch_execnz .LBB110_55
.LBB110_56:
	s_or_b64 exec, exec, s[2:3]
	s_sub_i32 s0, s27, s22
	s_cmp_ge_i32 s27, s22
	s_cselect_b32 s31, s0, 0
	s_waitcnt lgkmcnt(0)
	s_barrier
	s_and_saveexec_b64 s[0:1], vcc
	s_xor_b64 s[4:5], exec, s[0:1]
	s_cbranch_execz .LBB110_81
; %bb.57:
	s_ashr_i32 s1, s27, 31
	s_mov_b32 s0, s27
	s_lshl_b64 s[0:1], s[0:1], 2
	s_add_u32 s0, s12, s0
	s_addc_u32 s1, s13, s1
	s_load_dword s0, s[0:1], 0x0
	s_waitcnt lgkmcnt(0)
	s_sub_i32 s34, s0, s29
	v_cmp_gt_i32_e32 vcc, s34, v0
	s_and_saveexec_b64 s[8:9], vcc
	s_cbranch_execz .LBB110_80
; %bb.58:
	s_add_i32 s35, s27, -1
	s_add_i32 s1, s27, -2
	s_cmp_lg_u32 s26, s1
	s_cselect_b64 s[2:3], -1, 0
	v_cndmask_b32_e64 v1, 0, 1, s[2:3]
	s_sub_i32 s36, s0, s28
	s_mov_b32 s37, 0
	s_mov_b64 s[10:11], 0
	v_cmp_ne_u32_e64 s[0:1], 1, v1
	v_mov_b32_e32 v18, s13
	v_mov_b32_e32 v19, s15
	;; [unrolled: 1-line block ×4, first 2 shown]
	s_branch .LBB110_61
.LBB110_59:                             ;   in Loop: Header=BB110_61 Depth=1
	s_or_b64 exec, exec, s[2:3]
	v_xor_b32_e32 v6, 0x80000000, v4
	v_mov_b32_e32 v5, v3
.LBB110_60:                             ;   in Loop: Header=BB110_61 Depth=1
	s_or_b64 exec, exec, s[16:17]
	v_ashrrev_i32_e32 v11, 31, v10
	v_lshlrev_b64 v[7:8], 4, v[10:11]
	s_addk_i32 s37, 0x100
	v_add_co_u32_e32 v7, vcc, s18, v7
	v_addc_co_u32_e32 v8, vcc, v20, v8, vcc
	global_load_dwordx4 v[10:13], v[7:8], off
	s_waitcnt vmcnt(0)
	v_mul_f64 v[5:6], v[12:13], v[5:6]
	v_mul_f64 v[7:8], v[12:13], v[1:2]
	v_fma_f64 v[1:2], v[1:2], v[10:11], v[5:6]
	v_fma_f64 v[3:4], v[3:4], v[10:11], v[7:8]
	v_add_u32_e32 v5, s37, v0
	v_cmp_le_i32_e32 vcc, s34, v5
	s_or_b64 s[10:11], vcc, s[10:11]
	ds_write_b128 v23, v[1:4]
	s_andn2_b64 exec, exec, s[10:11]
	s_cbranch_execz .LBB110_80
.LBB110_61:                             ; =>This Loop Header: Depth=1
                                        ;     Child Loop BB110_63 Depth 2
                                        ;     Child Loop BB110_70 Depth 2
	;; [unrolled: 1-line block ×5, first 2 shown]
	v_add_u32_e32 v1, s37, v9
	s_and_b64 vcc, exec, s[0:1]
	v_mov_b32_e32 v5, s26
	v_mov_b32_e32 v3, s35
	s_cbranch_vccnz .LBB110_65
; %bb.62:                               ;   in Loop: Header=BB110_61 Depth=1
	s_mov_b64 s[16:17], 0
	v_mov_b32_e32 v5, s26
	v_mov_b32_e32 v3, s35
.LBB110_63:                             ;   Parent Loop BB110_61 Depth=1
                                        ; =>  This Inner Loop Header: Depth=2
	v_add_u32_e32 v2, v3, v5
	v_lshrrev_b32_e32 v6, 31, v2
	v_add_u32_e32 v2, v2, v6
	v_ashrrev_i32_e32 v6, 1, v2
	v_ashrrev_i32_e32 v7, 31, v6
	v_lshlrev_b64 v[7:8], 2, v[6:7]
	v_mov_b32_e32 v4, s13
	v_add_co_u32_e32 v7, vcc, s12, v7
	v_addc_co_u32_e32 v8, vcc, v4, v8, vcc
	global_load_dword v2, v[7:8], off
	s_waitcnt vmcnt(0)
	v_subrev_u32_e32 v2, s28, v2
	v_cmp_lt_i32_e32 vcc, v1, v2
	v_cndmask_b32_e32 v3, v3, v6, vcc
	v_cndmask_b32_e32 v5, v6, v5, vcc
	v_add_u32_e32 v2, -1, v3
	v_cmp_ge_i32_e32 vcc, v5, v3
	v_cmp_eq_u32_e64 s[2:3], v5, v2
	s_or_b64 s[2:3], vcc, s[2:3]
	s_and_b64 s[2:3], exec, s[2:3]
	s_or_b64 s[16:17], s[2:3], s[16:17]
	s_andn2_b64 exec, exec, s[16:17]
	s_cbranch_execnz .LBB110_63
; %bb.64:                               ;   in Loop: Header=BB110_61 Depth=1
	s_or_b64 exec, exec, s[16:17]
.LBB110_65:                             ;   in Loop: Header=BB110_61 Depth=1
	v_ashrrev_i32_e32 v4, 31, v3
	v_lshlrev_b64 v[6:7], 2, v[3:4]
	v_ashrrev_i32_e32 v2, 31, v1
	v_add_co_u32_e32 v6, vcc, s12, v6
	v_addc_co_u32_e32 v7, vcc, v18, v7, vcc
	global_load_dword v4, v[6:7], off
	v_lshlrev_b64 v[6:7], 2, v[1:2]
	v_lshl_add_u32 v23, s37, 4, v22
	v_add_co_u32_e32 v6, vcc, s14, v6
	v_addc_co_u32_e32 v7, vcc, v19, v7, vcc
	global_load_dword v2, v[6:7], off
	v_cmp_le_i32_e32 vcc, s36, v1
	s_waitcnt vmcnt(1)
	v_subrev_u32_e32 v4, s28, v4
	v_cmp_lt_i32_e64 s[2:3], v1, v4
	v_cndmask_b32_e64 v7, v3, v5, s[2:3]
                                        ; implicit-def: $vgpr5_vgpr6
	s_waitcnt vmcnt(0)
	v_subrev_u32_e32 v10, s28, v2
	v_cmp_eq_u32_e64 s[2:3], v10, v7
	s_or_b64 s[2:3], s[2:3], vcc
                                        ; implicit-def: $vgpr1_vgpr2
	s_and_saveexec_b64 s[16:17], s[2:3]
	s_xor_b64 s[2:3], exec, s[16:17]
	s_cbranch_execz .LBB110_67
; %bb.66:                               ;   in Loop: Header=BB110_61 Depth=1
	ds_read_b128 v[1:4], v23
                                        ; implicit-def: $vgpr7
	s_waitcnt lgkmcnt(0)
	v_xor_b32_e32 v6, 0x80000000, v4
	v_mov_b32_e32 v5, v3
.LBB110_67:                             ;   in Loop: Header=BB110_61 Depth=1
	s_andn2_saveexec_b64 s[16:17], s[2:3]
	s_cbranch_execz .LBB110_60
; %bb.68:                               ;   in Loop: Header=BB110_61 Depth=1
	v_ashrrev_i32_e32 v8, 31, v7
	v_lshlrev_b64 v[1:2], 4, v[7:8]
	v_mov_b32_e32 v3, s19
	v_add_co_u32_e32 v1, vcc, s18, v1
	v_addc_co_u32_e32 v2, vcc, v3, v2, vcc
	global_load_dwordx4 v[5:8], v[1:2], off
	ds_read_b128 v[1:4], v23
	v_cmp_gt_i32_e32 vcc, s31, v10
	v_cmp_le_i32_e64 s[2:3], s27, v10
	s_or_b64 s[2:3], vcc, s[2:3]
	s_waitcnt vmcnt(0) lgkmcnt(0)
	v_mul_f64 v[11:12], v[7:8], -v[3:4]
	v_mul_f64 v[7:8], v[7:8], v[1:2]
	v_fma_f64 v[14:15], v[1:2], v[5:6], v[11:12]
	v_fma_f64 v[12:13], v[3:4], v[5:6], v[7:8]
	s_and_saveexec_b64 s[20:21], s[2:3]
	s_xor_b64 s[2:3], exec, s[20:21]
	s_cbranch_execz .LBB110_74
; %bb.69:                               ;   in Loop: Header=BB110_61 Depth=1
	v_ashrrev_i32_e32 v11, 31, v10
	v_lshlrev_b64 v[5:6], 4, v[10:11]
	v_mov_b32_e32 v7, s25
	v_add_co_u32_e32 v16, vcc, s24, v5
	v_addc_co_u32_e32 v17, vcc, v7, v6, vcc
	global_load_dwordx2 v[7:8], v[16:17], off
	s_mov_b64 s[20:21], 0
.LBB110_70:                             ;   Parent Loop BB110_61 Depth=1
                                        ; =>  This Inner Loop Header: Depth=2
	s_waitcnt vmcnt(0)
	v_add_f64 v[5:6], v[7:8], v[14:15]
	global_atomic_cmpswap_x2 v[5:6], v[16:17], v[5:8], off glc
	s_waitcnt vmcnt(0)
	v_cmp_eq_u64_e32 vcc, v[5:6], v[7:8]
	v_mov_b32_e32 v8, v6
	s_or_b64 s[20:21], vcc, s[20:21]
	v_mov_b32_e32 v7, v5
	s_andn2_b64 exec, exec, s[20:21]
	s_cbranch_execnz .LBB110_70
; %bb.71:                               ;   in Loop: Header=BB110_61 Depth=1
	s_or_b64 exec, exec, s[20:21]
	global_load_dwordx2 v[7:8], v[16:17], off offset:8
	s_mov_b64 s[20:21], 0
.LBB110_72:                             ;   Parent Loop BB110_61 Depth=1
                                        ; =>  This Inner Loop Header: Depth=2
	s_waitcnt vmcnt(0)
	v_add_f64 v[5:6], v[7:8], v[12:13]
	global_atomic_cmpswap_x2 v[5:6], v[16:17], v[5:8], off offset:8 glc
	s_waitcnt vmcnt(0)
	v_cmp_eq_u64_e32 vcc, v[5:6], v[7:8]
	v_mov_b32_e32 v8, v6
	s_or_b64 s[20:21], vcc, s[20:21]
	v_mov_b32_e32 v7, v5
	s_andn2_b64 exec, exec, s[20:21]
	s_cbranch_execnz .LBB110_72
; %bb.73:                               ;   in Loop: Header=BB110_61 Depth=1
	s_or_b64 exec, exec, s[20:21]
                                        ; implicit-def: $vgpr12_vgpr13
                                        ; implicit-def: $vgpr14_vgpr15
.LBB110_74:                             ;   in Loop: Header=BB110_61 Depth=1
	s_andn2_saveexec_b64 s[2:3], s[2:3]
	s_cbranch_execz .LBB110_59
; %bb.75:                               ;   in Loop: Header=BB110_61 Depth=1
	v_subrev_u32_e32 v5, s31, v10
	v_lshl_add_u32 v7, v5, 4, v21
	ds_read_b64 v[5:6], v7
	s_mov_b64 s[20:21], 0
.LBB110_76:                             ;   Parent Loop BB110_61 Depth=1
                                        ; =>  This Inner Loop Header: Depth=2
	s_waitcnt lgkmcnt(0)
	v_add_f64 v[16:17], v[5:6], v[14:15]
	ds_cmpst_rtn_b64 v[16:17], v7, v[5:6], v[16:17]
	s_waitcnt lgkmcnt(0)
	v_cmp_eq_u64_e32 vcc, v[16:17], v[5:6]
	v_mov_b32_e32 v5, v16
	s_or_b64 s[20:21], vcc, s[20:21]
	v_mov_b32_e32 v6, v17
	s_andn2_b64 exec, exec, s[20:21]
	s_cbranch_execnz .LBB110_76
; %bb.77:                               ;   in Loop: Header=BB110_61 Depth=1
	s_or_b64 exec, exec, s[20:21]
	ds_read_b64 v[5:6], v7 offset:8
	s_mov_b64 s[20:21], 0
.LBB110_78:                             ;   Parent Loop BB110_61 Depth=1
                                        ; =>  This Inner Loop Header: Depth=2
	s_waitcnt lgkmcnt(0)
	v_add_f64 v[14:15], v[5:6], v[12:13]
	ds_cmpst_rtn_b64 v[14:15], v7, v[5:6], v[14:15] offset:8
	s_waitcnt lgkmcnt(0)
	v_cmp_eq_u64_e32 vcc, v[14:15], v[5:6]
	v_mov_b32_e32 v5, v14
	s_or_b64 s[20:21], vcc, s[20:21]
	v_mov_b32_e32 v6, v15
	s_andn2_b64 exec, exec, s[20:21]
	s_cbranch_execnz .LBB110_78
; %bb.79:                               ;   in Loop: Header=BB110_61 Depth=1
	s_or_b64 exec, exec, s[20:21]
	s_branch .LBB110_59
.LBB110_80:
	s_or_b64 exec, exec, s[8:9]
                                        ; implicit-def: $vgpr20
                                        ; implicit-def: $vgpr9
.LBB110_81:
	s_andn2_saveexec_b64 s[4:5], s[4:5]
	s_cbranch_execz .LBB110_167
; %bb.82:
	s_add_i32 s20, s27, -1
	s_add_i32 s0, s27, -2
	s_cmp_lg_u32 s26, s0
	s_cselect_b64 s[2:3], -1, 0
	s_cmp_eq_u32 s26, s0
	v_mov_b32_e32 v3, s26
	v_mov_b32_e32 v1, s20
	s_cbranch_scc1 .LBB110_86
; %bb.83:
	s_mov_b64 s[8:9], 0
	v_mov_b32_e32 v3, s26
	v_mov_b32_e32 v1, s20
	;; [unrolled: 1-line block ×3, first 2 shown]
.LBB110_84:                             ; =>This Inner Loop Header: Depth=1
	v_add_u32_e32 v4, v1, v3
	v_lshrrev_b32_e32 v5, 31, v4
	v_add_u32_e32 v4, v4, v5
	v_ashrrev_i32_e32 v4, 1, v4
	v_ashrrev_i32_e32 v5, 31, v4
	v_lshlrev_b64 v[5:6], 2, v[4:5]
	v_add_co_u32_e32 v5, vcc, s12, v5
	v_addc_co_u32_e32 v6, vcc, v2, v6, vcc
	global_load_dword v5, v[5:6], off
	s_waitcnt vmcnt(0)
	v_subrev_u32_e32 v5, s28, v5
	v_cmp_lt_i32_e32 vcc, v9, v5
	v_cndmask_b32_e32 v1, v1, v4, vcc
	v_cndmask_b32_e32 v3, v4, v3, vcc
	v_add_u32_e32 v4, -1, v1
	v_cmp_ge_i32_e32 vcc, v3, v1
	v_cmp_eq_u32_e64 s[0:1], v3, v4
	s_or_b64 s[0:1], vcc, s[0:1]
	s_and_b64 s[0:1], exec, s[0:1]
	s_or_b64 s[8:9], s[0:1], s[8:9]
	s_andn2_b64 exec, exec, s[8:9]
	s_cbranch_execnz .LBB110_84
; %bb.85:
	s_or_b64 exec, exec, s[8:9]
.LBB110_86:
	v_ashrrev_i32_e32 v2, 31, v1
	v_lshlrev_b64 v[4:5], 2, v[1:2]
	v_mov_b32_e32 v2, s13
	v_add_co_u32_e32 v4, vcc, s12, v4
	v_addc_co_u32_e32 v5, vcc, v2, v5, vcc
	global_load_dword v2, v[4:5], off
	v_lshlrev_b64 v[4:5], 2, v[9:10]
	v_mov_b32_e32 v6, s15
	v_add_co_u32_e32 v10, vcc, s14, v4
	v_addc_co_u32_e32 v11, vcc, v6, v5, vcc
	global_load_dword v4, v[10:11], off
	s_ashr_i32 s1, s27, 31
	s_mov_b32 s0, s27
	s_lshl_b64 s[0:1], s[0:1], 2
	s_add_u32 s8, s12, s0
	s_addc_u32 s9, s13, s1
	s_waitcnt vmcnt(1)
	v_subrev_u32_e32 v2, s28, v2
	v_cmp_lt_i32_e32 vcc, v9, v2
	v_cndmask_b32_e32 v5, v1, v3, vcc
	s_waitcnt vmcnt(0)
	v_subrev_u32_e32 v12, s28, v4
	v_cmp_ne_u32_e32 vcc, v12, v5
                                        ; implicit-def: $vgpr1_vgpr2
	s_and_saveexec_b64 s[0:1], vcc
	s_xor_b64 s[10:11], exec, s[0:1]
	s_cbranch_execz .LBB110_101
; %bb.87:
	s_load_dword s0, s[8:9], 0x0
	ds_read_b128 v[1:4], v22
	s_waitcnt lgkmcnt(0)
	s_sub_i32 s0, s0, s28
	v_cmp_gt_i32_e32 vcc, s0, v9
	s_and_saveexec_b64 s[14:15], vcc
	s_cbranch_execz .LBB110_100
; %bb.88:
	v_ashrrev_i32_e32 v6, 31, v5
	v_lshlrev_b64 v[5:6], 4, v[5:6]
	v_mov_b32_e32 v7, s19
	v_add_co_u32_e32 v5, vcc, s18, v5
	v_addc_co_u32_e32 v6, vcc, v7, v6, vcc
	global_load_dwordx4 v[5:8], v[5:6], off
	v_cmp_gt_i32_e32 vcc, s31, v12
	v_cmp_le_i32_e64 s[0:1], s27, v12
	s_or_b64 s[0:1], vcc, s[0:1]
	s_waitcnt vmcnt(0)
	v_mul_f64 v[13:14], v[7:8], -v[3:4]
	v_mul_f64 v[7:8], v[7:8], v[1:2]
	v_fma_f64 v[16:17], v[1:2], v[5:6], v[13:14]
	v_fma_f64 v[14:15], v[3:4], v[5:6], v[7:8]
	s_and_saveexec_b64 s[16:17], s[0:1]
	s_xor_b64 s[0:1], exec, s[16:17]
	s_cbranch_execz .LBB110_94
; %bb.89:
	v_ashrrev_i32_e32 v13, 31, v12
	v_lshlrev_b64 v[5:6], 4, v[12:13]
	v_mov_b32_e32 v7, s25
	v_add_co_u32_e32 v18, vcc, s24, v5
	v_addc_co_u32_e32 v19, vcc, v7, v6, vcc
	global_load_dwordx2 v[7:8], v[18:19], off
	s_mov_b64 s[16:17], 0
.LBB110_90:                             ; =>This Inner Loop Header: Depth=1
	s_waitcnt vmcnt(0)
	v_add_f64 v[5:6], v[7:8], v[16:17]
	global_atomic_cmpswap_x2 v[5:6], v[18:19], v[5:8], off glc
	s_waitcnt vmcnt(0)
	v_cmp_eq_u64_e32 vcc, v[5:6], v[7:8]
	v_mov_b32_e32 v8, v6
	s_or_b64 s[16:17], vcc, s[16:17]
	v_mov_b32_e32 v7, v5
	s_andn2_b64 exec, exec, s[16:17]
	s_cbranch_execnz .LBB110_90
; %bb.91:
	s_or_b64 exec, exec, s[16:17]
	global_load_dwordx2 v[7:8], v[18:19], off offset:8
	s_mov_b64 s[16:17], 0
.LBB110_92:                             ; =>This Inner Loop Header: Depth=1
	s_waitcnt vmcnt(0)
	v_add_f64 v[5:6], v[7:8], v[14:15]
	global_atomic_cmpswap_x2 v[5:6], v[18:19], v[5:8], off offset:8 glc
	s_waitcnt vmcnt(0)
	v_cmp_eq_u64_e32 vcc, v[5:6], v[7:8]
	v_mov_b32_e32 v8, v6
	s_or_b64 s[16:17], vcc, s[16:17]
	v_mov_b32_e32 v7, v5
	s_andn2_b64 exec, exec, s[16:17]
	s_cbranch_execnz .LBB110_92
; %bb.93:
	s_or_b64 exec, exec, s[16:17]
                                        ; implicit-def: $vgpr14_vgpr15
                                        ; implicit-def: $vgpr16_vgpr17
.LBB110_94:
	s_andn2_saveexec_b64 s[0:1], s[0:1]
	s_cbranch_execz .LBB110_100
; %bb.95:
	v_subrev_u32_e32 v5, s31, v12
	v_mov_b32_e32 v6, 0x4000
	v_lshl_add_u32 v7, v5, 4, v6
	ds_read_b64 v[5:6], v7
	s_mov_b64 s[0:1], 0
.LBB110_96:                             ; =>This Inner Loop Header: Depth=1
	s_waitcnt lgkmcnt(0)
	v_add_f64 v[18:19], v[5:6], v[16:17]
	ds_cmpst_rtn_b64 v[18:19], v7, v[5:6], v[18:19]
	s_waitcnt lgkmcnt(0)
	v_cmp_eq_u64_e32 vcc, v[18:19], v[5:6]
	v_mov_b32_e32 v5, v18
	s_or_b64 s[0:1], vcc, s[0:1]
	v_mov_b32_e32 v6, v19
	s_andn2_b64 exec, exec, s[0:1]
	s_cbranch_execnz .LBB110_96
; %bb.97:
	s_or_b64 exec, exec, s[0:1]
	ds_read_b64 v[5:6], v7 offset:8
	s_mov_b64 s[0:1], 0
.LBB110_98:                             ; =>This Inner Loop Header: Depth=1
	s_waitcnt lgkmcnt(0)
	v_add_f64 v[16:17], v[5:6], v[14:15]
	ds_cmpst_rtn_b64 v[16:17], v7, v[5:6], v[16:17] offset:8
	s_waitcnt lgkmcnt(0)
	v_cmp_eq_u64_e32 vcc, v[16:17], v[5:6]
	v_mov_b32_e32 v5, v16
	s_or_b64 s[0:1], vcc, s[0:1]
	v_mov_b32_e32 v6, v17
	s_andn2_b64 exec, exec, s[0:1]
	s_cbranch_execnz .LBB110_98
; %bb.99:
	s_or_b64 exec, exec, s[0:1]
.LBB110_100:
	s_or_b64 exec, exec, s[14:15]
.LBB110_101:
	s_andn2_saveexec_b64 s[0:1], s[10:11]
; %bb.102:
	ds_read_b128 v[1:4], v22
; %bb.103:
	s_or_b64 exec, exec, s[0:1]
	v_ashrrev_i32_e32 v13, 31, v12
	v_lshlrev_b64 v[5:6], 4, v[12:13]
	v_mov_b32_e32 v7, s19
	v_add_co_u32_e32 v5, vcc, s18, v5
	v_addc_co_u32_e32 v6, vcc, v7, v6, vcc
	global_load_dwordx4 v[5:8], v[5:6], off
	s_andn2_b64 vcc, exec, s[2:3]
	s_waitcnt vmcnt(0) lgkmcnt(0)
	v_mul_f64 v[12:13], v[7:8], -v[3:4]
	v_mul_f64 v[7:8], v[7:8], v[1:2]
	v_fma_f64 v[12:13], v[1:2], v[5:6], v[12:13]
	v_fma_f64 v[14:15], v[3:4], v[5:6], v[7:8]
	v_cndmask_b32_e64 v1, 0, 1, s[2:3]
	v_add_u32_e32 v6, 0x100, v9
	v_mov_b32_e32 v3, s26
	v_cmp_ne_u32_e64 s[0:1], 1, v1
	v_mov_b32_e32 v1, s20
	ds_write_b128 v22, v[12:15]
	s_cbranch_vccnz .LBB110_107
; %bb.104:
	s_mov_b64 s[10:11], 0
	v_mov_b32_e32 v3, s26
	v_mov_b32_e32 v1, s20
	v_mov_b32_e32 v2, s13
.LBB110_105:                            ; =>This Inner Loop Header: Depth=1
	v_add_u32_e32 v4, v1, v3
	v_lshrrev_b32_e32 v5, 31, v4
	v_add_u32_e32 v4, v4, v5
	v_ashrrev_i32_e32 v4, 1, v4
	v_ashrrev_i32_e32 v5, 31, v4
	v_lshlrev_b64 v[7:8], 2, v[4:5]
	v_add_co_u32_e32 v7, vcc, s12, v7
	v_addc_co_u32_e32 v8, vcc, v2, v8, vcc
	global_load_dword v5, v[7:8], off
	s_waitcnt vmcnt(0)
	v_subrev_u32_e32 v5, s28, v5
	v_cmp_lt_i32_e32 vcc, v6, v5
	v_cndmask_b32_e32 v1, v1, v4, vcc
	v_cndmask_b32_e32 v3, v4, v3, vcc
	v_add_u32_e32 v4, -1, v1
	v_cmp_ge_i32_e32 vcc, v3, v1
	v_cmp_eq_u32_e64 s[2:3], v3, v4
	s_or_b64 s[2:3], vcc, s[2:3]
	s_and_b64 s[2:3], exec, s[2:3]
	s_or_b64 s[10:11], s[2:3], s[10:11]
	s_andn2_b64 exec, exec, s[10:11]
	s_cbranch_execnz .LBB110_105
; %bb.106:
	s_or_b64 exec, exec, s[10:11]
.LBB110_107:
	v_ashrrev_i32_e32 v2, 31, v1
	v_lshlrev_b64 v[4:5], 2, v[1:2]
	v_mov_b32_e32 v2, s13
	v_add_co_u32_e32 v4, vcc, s12, v4
	v_addc_co_u32_e32 v5, vcc, v2, v5, vcc
	global_load_dword v2, v[4:5], off
	global_load_dword v7, v[10:11], off offset:1024
	s_waitcnt vmcnt(1)
	v_subrev_u32_e32 v2, s28, v2
	v_cmp_lt_i32_e32 vcc, v6, v2
	v_cndmask_b32_e32 v5, v1, v3, vcc
	s_waitcnt vmcnt(0)
	v_subrev_u32_e32 v12, s28, v7
	v_cmp_ne_u32_e32 vcc, v12, v5
                                        ; implicit-def: $vgpr1_vgpr2
	s_and_saveexec_b64 s[2:3], vcc
	s_xor_b64 s[10:11], exec, s[2:3]
	s_cbranch_execz .LBB110_122
; %bb.108:
	s_load_dword s2, s[8:9], 0x0
	ds_read_b128 v[1:4], v22 offset:4096
	s_waitcnt lgkmcnt(0)
	s_sub_i32 s2, s2, s28
	v_cmp_gt_i32_e32 vcc, s2, v6
	s_and_saveexec_b64 s[14:15], vcc
	s_cbranch_execz .LBB110_121
; %bb.109:
	v_ashrrev_i32_e32 v6, 31, v5
	v_lshlrev_b64 v[5:6], 4, v[5:6]
	v_mov_b32_e32 v7, s19
	v_add_co_u32_e32 v5, vcc, s18, v5
	v_addc_co_u32_e32 v6, vcc, v7, v6, vcc
	global_load_dwordx4 v[5:8], v[5:6], off
	v_cmp_gt_i32_e32 vcc, s31, v12
	v_cmp_le_i32_e64 s[2:3], s27, v12
	s_or_b64 s[2:3], vcc, s[2:3]
	s_waitcnt vmcnt(0)
	v_mul_f64 v[13:14], v[7:8], -v[3:4]
	v_mul_f64 v[7:8], v[7:8], v[1:2]
	v_fma_f64 v[16:17], v[1:2], v[5:6], v[13:14]
	v_fma_f64 v[14:15], v[3:4], v[5:6], v[7:8]
	s_and_saveexec_b64 s[16:17], s[2:3]
	s_xor_b64 s[2:3], exec, s[16:17]
	s_cbranch_execz .LBB110_115
; %bb.110:
	v_ashrrev_i32_e32 v13, 31, v12
	v_lshlrev_b64 v[5:6], 4, v[12:13]
	v_mov_b32_e32 v7, s25
	v_add_co_u32_e32 v18, vcc, s24, v5
	v_addc_co_u32_e32 v19, vcc, v7, v6, vcc
	global_load_dwordx2 v[7:8], v[18:19], off
	s_mov_b64 s[16:17], 0
.LBB110_111:                            ; =>This Inner Loop Header: Depth=1
	s_waitcnt vmcnt(0)
	v_add_f64 v[5:6], v[7:8], v[16:17]
	global_atomic_cmpswap_x2 v[5:6], v[18:19], v[5:8], off glc
	s_waitcnt vmcnt(0)
	v_cmp_eq_u64_e32 vcc, v[5:6], v[7:8]
	v_mov_b32_e32 v8, v6
	s_or_b64 s[16:17], vcc, s[16:17]
	v_mov_b32_e32 v7, v5
	s_andn2_b64 exec, exec, s[16:17]
	s_cbranch_execnz .LBB110_111
; %bb.112:
	s_or_b64 exec, exec, s[16:17]
	global_load_dwordx2 v[7:8], v[18:19], off offset:8
	s_mov_b64 s[16:17], 0
.LBB110_113:                            ; =>This Inner Loop Header: Depth=1
	s_waitcnt vmcnt(0)
	v_add_f64 v[5:6], v[7:8], v[14:15]
	global_atomic_cmpswap_x2 v[5:6], v[18:19], v[5:8], off offset:8 glc
	s_waitcnt vmcnt(0)
	v_cmp_eq_u64_e32 vcc, v[5:6], v[7:8]
	v_mov_b32_e32 v8, v6
	s_or_b64 s[16:17], vcc, s[16:17]
	v_mov_b32_e32 v7, v5
	s_andn2_b64 exec, exec, s[16:17]
	s_cbranch_execnz .LBB110_113
; %bb.114:
	s_or_b64 exec, exec, s[16:17]
                                        ; implicit-def: $vgpr14_vgpr15
                                        ; implicit-def: $vgpr16_vgpr17
.LBB110_115:
	s_andn2_saveexec_b64 s[2:3], s[2:3]
	s_cbranch_execz .LBB110_121
; %bb.116:
	v_subrev_u32_e32 v5, s31, v12
	v_mov_b32_e32 v6, 0x4000
	v_lshl_add_u32 v7, v5, 4, v6
	ds_read_b64 v[5:6], v7
	s_mov_b64 s[2:3], 0
.LBB110_117:                            ; =>This Inner Loop Header: Depth=1
	s_waitcnt lgkmcnt(0)
	v_add_f64 v[18:19], v[5:6], v[16:17]
	ds_cmpst_rtn_b64 v[18:19], v7, v[5:6], v[18:19]
	s_waitcnt lgkmcnt(0)
	v_cmp_eq_u64_e32 vcc, v[18:19], v[5:6]
	v_mov_b32_e32 v5, v18
	s_or_b64 s[2:3], vcc, s[2:3]
	v_mov_b32_e32 v6, v19
	s_andn2_b64 exec, exec, s[2:3]
	s_cbranch_execnz .LBB110_117
; %bb.118:
	s_or_b64 exec, exec, s[2:3]
	ds_read_b64 v[5:6], v7 offset:8
	s_mov_b64 s[2:3], 0
.LBB110_119:                            ; =>This Inner Loop Header: Depth=1
	s_waitcnt lgkmcnt(0)
	v_add_f64 v[16:17], v[5:6], v[14:15]
	ds_cmpst_rtn_b64 v[16:17], v7, v[5:6], v[16:17] offset:8
	s_waitcnt lgkmcnt(0)
	v_cmp_eq_u64_e32 vcc, v[16:17], v[5:6]
	v_mov_b32_e32 v5, v16
	s_or_b64 s[2:3], vcc, s[2:3]
	v_mov_b32_e32 v6, v17
	s_andn2_b64 exec, exec, s[2:3]
	s_cbranch_execnz .LBB110_119
; %bb.120:
	s_or_b64 exec, exec, s[2:3]
.LBB110_121:
	s_or_b64 exec, exec, s[14:15]
.LBB110_122:
	s_andn2_saveexec_b64 s[2:3], s[10:11]
; %bb.123:
	ds_read_b128 v[1:4], v22 offset:4096
; %bb.124:
	s_or_b64 exec, exec, s[2:3]
	v_ashrrev_i32_e32 v13, 31, v12
	v_lshlrev_b64 v[5:6], 4, v[12:13]
	v_mov_b32_e32 v7, s19
	v_add_co_u32_e32 v5, vcc, s18, v5
	v_addc_co_u32_e32 v6, vcc, v7, v6, vcc
	global_load_dwordx4 v[5:8], v[5:6], off
	s_and_b64 vcc, exec, s[0:1]
	s_waitcnt vmcnt(0) lgkmcnt(0)
	v_mul_f64 v[12:13], v[7:8], -v[3:4]
	v_mul_f64 v[7:8], v[7:8], v[1:2]
	v_fma_f64 v[12:13], v[1:2], v[5:6], v[12:13]
	v_fma_f64 v[14:15], v[3:4], v[5:6], v[7:8]
	v_add_u32_e32 v6, 0x200, v9
	v_mov_b32_e32 v3, s26
	v_mov_b32_e32 v1, s20
	ds_write_b128 v22, v[12:15] offset:4096
	s_cbranch_vccnz .LBB110_128
; %bb.125:
	s_mov_b64 s[10:11], 0
	v_mov_b32_e32 v3, s26
	v_mov_b32_e32 v1, s20
	;; [unrolled: 1-line block ×3, first 2 shown]
.LBB110_126:                            ; =>This Inner Loop Header: Depth=1
	v_add_u32_e32 v4, v1, v3
	v_lshrrev_b32_e32 v5, 31, v4
	v_add_u32_e32 v4, v4, v5
	v_ashrrev_i32_e32 v4, 1, v4
	v_ashrrev_i32_e32 v5, 31, v4
	v_lshlrev_b64 v[7:8], 2, v[4:5]
	v_add_co_u32_e32 v7, vcc, s12, v7
	v_addc_co_u32_e32 v8, vcc, v2, v8, vcc
	global_load_dword v5, v[7:8], off
	s_waitcnt vmcnt(0)
	v_subrev_u32_e32 v5, s28, v5
	v_cmp_lt_i32_e32 vcc, v6, v5
	v_cndmask_b32_e32 v1, v1, v4, vcc
	v_cndmask_b32_e32 v3, v4, v3, vcc
	v_add_u32_e32 v4, -1, v1
	v_cmp_ge_i32_e32 vcc, v3, v1
	v_cmp_eq_u32_e64 s[2:3], v3, v4
	s_or_b64 s[2:3], vcc, s[2:3]
	s_and_b64 s[2:3], exec, s[2:3]
	s_or_b64 s[10:11], s[2:3], s[10:11]
	s_andn2_b64 exec, exec, s[10:11]
	s_cbranch_execnz .LBB110_126
; %bb.127:
	s_or_b64 exec, exec, s[10:11]
.LBB110_128:
	v_ashrrev_i32_e32 v2, 31, v1
	v_lshlrev_b64 v[4:5], 2, v[1:2]
	v_mov_b32_e32 v2, s13
	v_add_co_u32_e32 v4, vcc, s12, v4
	v_addc_co_u32_e32 v5, vcc, v2, v5, vcc
	global_load_dword v2, v[4:5], off
	global_load_dword v7, v[10:11], off offset:2048
	s_waitcnt vmcnt(1)
	v_subrev_u32_e32 v2, s28, v2
	v_cmp_lt_i32_e32 vcc, v6, v2
	v_cndmask_b32_e32 v5, v1, v3, vcc
	s_waitcnt vmcnt(0)
	v_subrev_u32_e32 v12, s28, v7
	v_cmp_ne_u32_e32 vcc, v12, v5
                                        ; implicit-def: $vgpr1_vgpr2
	s_and_saveexec_b64 s[2:3], vcc
	s_xor_b64 s[10:11], exec, s[2:3]
	s_cbranch_execz .LBB110_143
; %bb.129:
	s_load_dword s2, s[8:9], 0x0
	ds_read_b128 v[1:4], v22 offset:8192
	s_waitcnt lgkmcnt(0)
	s_sub_i32 s2, s2, s28
	v_cmp_gt_i32_e32 vcc, s2, v6
	s_and_saveexec_b64 s[14:15], vcc
	s_cbranch_execz .LBB110_142
; %bb.130:
	v_ashrrev_i32_e32 v6, 31, v5
	v_lshlrev_b64 v[5:6], 4, v[5:6]
	v_mov_b32_e32 v7, s19
	v_add_co_u32_e32 v5, vcc, s18, v5
	v_addc_co_u32_e32 v6, vcc, v7, v6, vcc
	global_load_dwordx4 v[5:8], v[5:6], off
	v_cmp_gt_i32_e32 vcc, s31, v12
	v_cmp_le_i32_e64 s[2:3], s27, v12
	s_or_b64 s[2:3], vcc, s[2:3]
	s_waitcnt vmcnt(0)
	v_mul_f64 v[13:14], v[7:8], -v[3:4]
	v_mul_f64 v[7:8], v[7:8], v[1:2]
	v_fma_f64 v[16:17], v[1:2], v[5:6], v[13:14]
	v_fma_f64 v[14:15], v[3:4], v[5:6], v[7:8]
	s_and_saveexec_b64 s[16:17], s[2:3]
	s_xor_b64 s[2:3], exec, s[16:17]
	s_cbranch_execz .LBB110_136
; %bb.131:
	v_ashrrev_i32_e32 v13, 31, v12
	v_lshlrev_b64 v[5:6], 4, v[12:13]
	v_mov_b32_e32 v7, s25
	v_add_co_u32_e32 v18, vcc, s24, v5
	v_addc_co_u32_e32 v19, vcc, v7, v6, vcc
	global_load_dwordx2 v[7:8], v[18:19], off
	s_mov_b64 s[16:17], 0
.LBB110_132:                            ; =>This Inner Loop Header: Depth=1
	s_waitcnt vmcnt(0)
	v_add_f64 v[5:6], v[7:8], v[16:17]
	global_atomic_cmpswap_x2 v[5:6], v[18:19], v[5:8], off glc
	s_waitcnt vmcnt(0)
	v_cmp_eq_u64_e32 vcc, v[5:6], v[7:8]
	v_mov_b32_e32 v8, v6
	s_or_b64 s[16:17], vcc, s[16:17]
	v_mov_b32_e32 v7, v5
	s_andn2_b64 exec, exec, s[16:17]
	s_cbranch_execnz .LBB110_132
; %bb.133:
	s_or_b64 exec, exec, s[16:17]
	global_load_dwordx2 v[7:8], v[18:19], off offset:8
	s_mov_b64 s[16:17], 0
.LBB110_134:                            ; =>This Inner Loop Header: Depth=1
	s_waitcnt vmcnt(0)
	v_add_f64 v[5:6], v[7:8], v[14:15]
	global_atomic_cmpswap_x2 v[5:6], v[18:19], v[5:8], off offset:8 glc
	s_waitcnt vmcnt(0)
	v_cmp_eq_u64_e32 vcc, v[5:6], v[7:8]
	v_mov_b32_e32 v8, v6
	s_or_b64 s[16:17], vcc, s[16:17]
	v_mov_b32_e32 v7, v5
	s_andn2_b64 exec, exec, s[16:17]
	s_cbranch_execnz .LBB110_134
; %bb.135:
	s_or_b64 exec, exec, s[16:17]
                                        ; implicit-def: $vgpr14_vgpr15
                                        ; implicit-def: $vgpr16_vgpr17
.LBB110_136:
	s_andn2_saveexec_b64 s[2:3], s[2:3]
	s_cbranch_execz .LBB110_142
; %bb.137:
	v_subrev_u32_e32 v5, s31, v12
	v_mov_b32_e32 v6, 0x4000
	v_lshl_add_u32 v7, v5, 4, v6
	ds_read_b64 v[5:6], v7
	s_mov_b64 s[2:3], 0
.LBB110_138:                            ; =>This Inner Loop Header: Depth=1
	s_waitcnt lgkmcnt(0)
	v_add_f64 v[8:9], v[5:6], v[16:17]
	ds_cmpst_rtn_b64 v[8:9], v7, v[5:6], v[8:9]
	s_waitcnt lgkmcnt(0)
	v_cmp_eq_u64_e32 vcc, v[8:9], v[5:6]
	v_mov_b32_e32 v5, v8
	s_or_b64 s[2:3], vcc, s[2:3]
	v_mov_b32_e32 v6, v9
	s_andn2_b64 exec, exec, s[2:3]
	s_cbranch_execnz .LBB110_138
; %bb.139:
	s_or_b64 exec, exec, s[2:3]
	ds_read_b64 v[5:6], v7 offset:8
	s_mov_b64 s[2:3], 0
.LBB110_140:                            ; =>This Inner Loop Header: Depth=1
	s_waitcnt lgkmcnt(0)
	v_add_f64 v[8:9], v[5:6], v[14:15]
	ds_cmpst_rtn_b64 v[8:9], v7, v[5:6], v[8:9] offset:8
	s_waitcnt lgkmcnt(0)
	v_cmp_eq_u64_e32 vcc, v[8:9], v[5:6]
	v_mov_b32_e32 v5, v8
	s_or_b64 s[2:3], vcc, s[2:3]
	v_mov_b32_e32 v6, v9
	s_andn2_b64 exec, exec, s[2:3]
	s_cbranch_execnz .LBB110_140
; %bb.141:
	s_or_b64 exec, exec, s[2:3]
.LBB110_142:
	s_or_b64 exec, exec, s[14:15]
.LBB110_143:
	s_andn2_saveexec_b64 s[2:3], s[10:11]
; %bb.144:
	ds_read_b128 v[1:4], v22 offset:8192
; %bb.145:
	s_or_b64 exec, exec, s[2:3]
	v_ashrrev_i32_e32 v13, 31, v12
	v_lshlrev_b64 v[5:6], 4, v[12:13]
	v_mov_b32_e32 v7, s19
	v_add_co_u32_e32 v5, vcc, s18, v5
	v_addc_co_u32_e32 v6, vcc, v7, v6, vcc
	global_load_dwordx4 v[5:8], v[5:6], off
	s_and_b64 vcc, exec, s[0:1]
	s_waitcnt vmcnt(0) lgkmcnt(0)
	v_mul_f64 v[12:13], v[7:8], -v[3:4]
	v_mul_f64 v[7:8], v[7:8], v[1:2]
	v_fma_f64 v[12:13], v[1:2], v[5:6], v[12:13]
	v_fma_f64 v[14:15], v[3:4], v[5:6], v[7:8]
	v_mov_b32_e32 v3, s26
	v_mov_b32_e32 v1, s20
	ds_write_b128 v22, v[12:15] offset:8192
	s_cbranch_vccnz .LBB110_149
; %bb.146:
	s_mov_b64 s[2:3], 0
	v_mov_b32_e32 v3, s26
	v_mov_b32_e32 v1, s20
	;; [unrolled: 1-line block ×3, first 2 shown]
.LBB110_147:                            ; =>This Inner Loop Header: Depth=1
	v_add_u32_e32 v4, v1, v3
	v_lshrrev_b32_e32 v5, 31, v4
	v_add_u32_e32 v4, v4, v5
	v_ashrrev_i32_e32 v4, 1, v4
	v_ashrrev_i32_e32 v5, 31, v4
	v_lshlrev_b64 v[5:6], 2, v[4:5]
	v_add_co_u32_e32 v5, vcc, s12, v5
	v_addc_co_u32_e32 v6, vcc, v2, v6, vcc
	global_load_dword v5, v[5:6], off
	s_waitcnt vmcnt(0)
	v_subrev_u32_e32 v5, s28, v5
	v_cmp_lt_i32_e32 vcc, v20, v5
	v_cndmask_b32_e32 v1, v1, v4, vcc
	v_cndmask_b32_e32 v3, v4, v3, vcc
	v_add_u32_e32 v4, -1, v1
	v_cmp_ge_i32_e32 vcc, v3, v1
	v_cmp_eq_u32_e64 s[0:1], v3, v4
	s_or_b64 s[0:1], vcc, s[0:1]
	s_and_b64 s[0:1], exec, s[0:1]
	s_or_b64 s[2:3], s[0:1], s[2:3]
	s_andn2_b64 exec, exec, s[2:3]
	s_cbranch_execnz .LBB110_147
; %bb.148:
	s_or_b64 exec, exec, s[2:3]
.LBB110_149:
	v_ashrrev_i32_e32 v2, 31, v1
	v_lshlrev_b64 v[4:5], 2, v[1:2]
	v_mov_b32_e32 v2, s13
	v_add_co_u32_e32 v4, vcc, s12, v4
	v_addc_co_u32_e32 v5, vcc, v2, v5, vcc
	global_load_dword v2, v[4:5], off
	global_load_dword v6, v[10:11], off offset:3072
	s_waitcnt vmcnt(1)
	v_subrev_u32_e32 v2, s28, v2
	v_cmp_lt_i32_e32 vcc, v20, v2
	v_cndmask_b32_e32 v5, v1, v3, vcc
	s_waitcnt vmcnt(0)
	v_subrev_u32_e32 v9, s28, v6
	v_cmp_ne_u32_e32 vcc, v9, v5
                                        ; implicit-def: $vgpr1_vgpr2
	s_and_saveexec_b64 s[0:1], vcc
	s_xor_b64 s[2:3], exec, s[0:1]
	s_cbranch_execz .LBB110_164
; %bb.150:
	s_load_dword s0, s[8:9], 0x0
	ds_read_b128 v[1:4], v22 offset:12288
	s_waitcnt lgkmcnt(0)
	s_sub_i32 s0, s0, s28
	v_cmp_gt_i32_e32 vcc, s0, v20
	s_and_saveexec_b64 s[8:9], vcc
	s_cbranch_execz .LBB110_163
; %bb.151:
	v_ashrrev_i32_e32 v6, 31, v5
	v_lshlrev_b64 v[5:6], 4, v[5:6]
	v_mov_b32_e32 v7, s19
	v_add_co_u32_e32 v5, vcc, s18, v5
	v_addc_co_u32_e32 v6, vcc, v7, v6, vcc
	global_load_dwordx4 v[5:8], v[5:6], off
	v_cmp_gt_i32_e32 vcc, s31, v9
	v_cmp_le_i32_e64 s[0:1], s27, v9
	s_or_b64 s[0:1], vcc, s[0:1]
	s_waitcnt vmcnt(0)
	v_mul_f64 v[10:11], v[7:8], -v[3:4]
	v_mul_f64 v[7:8], v[7:8], v[1:2]
	v_fma_f64 v[13:14], v[1:2], v[5:6], v[10:11]
	v_fma_f64 v[11:12], v[3:4], v[5:6], v[7:8]
	s_and_saveexec_b64 s[10:11], s[0:1]
	s_xor_b64 s[0:1], exec, s[10:11]
	s_cbranch_execz .LBB110_157
; %bb.152:
	v_ashrrev_i32_e32 v10, 31, v9
	v_lshlrev_b64 v[5:6], 4, v[9:10]
	v_mov_b32_e32 v7, s25
	v_add_co_u32_e32 v15, vcc, s24, v5
	v_addc_co_u32_e32 v16, vcc, v7, v6, vcc
	global_load_dwordx2 v[7:8], v[15:16], off
	s_mov_b64 s[10:11], 0
.LBB110_153:                            ; =>This Inner Loop Header: Depth=1
	s_waitcnt vmcnt(0)
	v_add_f64 v[5:6], v[7:8], v[13:14]
	global_atomic_cmpswap_x2 v[5:6], v[15:16], v[5:8], off glc
	s_waitcnt vmcnt(0)
	v_cmp_eq_u64_e32 vcc, v[5:6], v[7:8]
	v_mov_b32_e32 v8, v6
	s_or_b64 s[10:11], vcc, s[10:11]
	v_mov_b32_e32 v7, v5
	s_andn2_b64 exec, exec, s[10:11]
	s_cbranch_execnz .LBB110_153
; %bb.154:
	s_or_b64 exec, exec, s[10:11]
	global_load_dwordx2 v[7:8], v[15:16], off offset:8
	s_mov_b64 s[10:11], 0
.LBB110_155:                            ; =>This Inner Loop Header: Depth=1
	s_waitcnt vmcnt(0)
	v_add_f64 v[5:6], v[7:8], v[11:12]
	global_atomic_cmpswap_x2 v[5:6], v[15:16], v[5:8], off offset:8 glc
	s_waitcnt vmcnt(0)
	v_cmp_eq_u64_e32 vcc, v[5:6], v[7:8]
	v_mov_b32_e32 v8, v6
	s_or_b64 s[10:11], vcc, s[10:11]
	v_mov_b32_e32 v7, v5
	s_andn2_b64 exec, exec, s[10:11]
	s_cbranch_execnz .LBB110_155
; %bb.156:
	s_or_b64 exec, exec, s[10:11]
                                        ; implicit-def: $vgpr11_vgpr12
                                        ; implicit-def: $vgpr13_vgpr14
.LBB110_157:
	s_andn2_saveexec_b64 s[0:1], s[0:1]
	s_cbranch_execz .LBB110_163
; %bb.158:
	v_subrev_u32_e32 v5, s31, v9
	v_mov_b32_e32 v6, 0x4000
	v_lshl_add_u32 v7, v5, 4, v6
	ds_read_b64 v[5:6], v7
	s_mov_b64 s[0:1], 0
.LBB110_159:                            ; =>This Inner Loop Header: Depth=1
	s_waitcnt lgkmcnt(0)
	v_add_f64 v[15:16], v[5:6], v[13:14]
	ds_cmpst_rtn_b64 v[15:16], v7, v[5:6], v[15:16]
	s_waitcnt lgkmcnt(0)
	v_cmp_eq_u64_e32 vcc, v[15:16], v[5:6]
	v_mov_b32_e32 v5, v15
	s_or_b64 s[0:1], vcc, s[0:1]
	v_mov_b32_e32 v6, v16
	s_andn2_b64 exec, exec, s[0:1]
	s_cbranch_execnz .LBB110_159
; %bb.160:
	s_or_b64 exec, exec, s[0:1]
	ds_read_b64 v[5:6], v7 offset:8
	s_mov_b64 s[0:1], 0
.LBB110_161:                            ; =>This Inner Loop Header: Depth=1
	s_waitcnt lgkmcnt(0)
	v_add_f64 v[13:14], v[5:6], v[11:12]
	ds_cmpst_rtn_b64 v[13:14], v7, v[5:6], v[13:14] offset:8
	s_waitcnt lgkmcnt(0)
	v_cmp_eq_u64_e32 vcc, v[13:14], v[5:6]
	v_mov_b32_e32 v5, v13
	s_or_b64 s[0:1], vcc, s[0:1]
	v_mov_b32_e32 v6, v14
	s_andn2_b64 exec, exec, s[0:1]
	s_cbranch_execnz .LBB110_161
; %bb.162:
	s_or_b64 exec, exec, s[0:1]
.LBB110_163:
	s_or_b64 exec, exec, s[8:9]
.LBB110_164:
	s_andn2_saveexec_b64 s[0:1], s[2:3]
; %bb.165:
	ds_read_b128 v[1:4], v22 offset:12288
; %bb.166:
	s_or_b64 exec, exec, s[0:1]
	v_ashrrev_i32_e32 v10, 31, v9
	v_lshlrev_b64 v[5:6], 4, v[9:10]
	v_mov_b32_e32 v7, s19
	v_add_co_u32_e32 v5, vcc, s18, v5
	v_addc_co_u32_e32 v6, vcc, v7, v6, vcc
	global_load_dwordx4 v[5:8], v[5:6], off
	s_waitcnt vmcnt(0) lgkmcnt(0)
	v_mul_f64 v[9:10], v[7:8], -v[3:4]
	v_mul_f64 v[7:8], v[7:8], v[1:2]
	v_fma_f64 v[1:2], v[1:2], v[5:6], v[9:10]
	v_fma_f64 v[3:4], v[3:4], v[5:6], v[7:8]
	ds_write_b128 v22, v[1:4] offset:12288
.LBB110_167:
	s_or_b64 exec, exec, s[4:5]
	s_min_i32 s8, s27, s22
	s_sub_i32 s10, s8, s23
	v_cmp_gt_i32_e32 vcc, s10, v0
	s_waitcnt lgkmcnt(0)
	s_barrier
	s_and_saveexec_b64 s[0:1], vcc
	s_cbranch_execz .LBB110_174
; %bb.168:
	s_mov_b64 s[2:3], 0
	v_mov_b32_e32 v11, s25
	v_mov_b32_e32 v12, 0x4000
	;; [unrolled: 1-line block ×3, first 2 shown]
.LBB110_169:                            ; =>This Loop Header: Depth=1
                                        ;     Child Loop BB110_170 Depth 2
                                        ;     Child Loop BB110_172 Depth 2
	v_add_u32_e32 v1, s31, v13
	v_ashrrev_i32_e32 v2, 31, v1
	v_lshlrev_b64 v[1:2], 4, v[1:2]
	s_mov_b64 s[4:5], 0
	v_add_co_u32_e32 v9, vcc, s24, v1
	v_addc_co_u32_e32 v10, vcc, v11, v2, vcc
	global_load_dwordx2 v[7:8], v[9:10], off
	v_lshl_add_u32 v1, v13, 4, v12
	ds_read2_b64 v[1:4], v1 offset1:1
.LBB110_170:                            ;   Parent Loop BB110_169 Depth=1
                                        ; =>  This Inner Loop Header: Depth=2
	s_waitcnt vmcnt(0) lgkmcnt(0)
	v_add_f64 v[5:6], v[7:8], v[1:2]
	global_atomic_cmpswap_x2 v[5:6], v[9:10], v[5:8], off glc
	s_waitcnt vmcnt(0)
	v_cmp_eq_u64_e32 vcc, v[5:6], v[7:8]
	v_mov_b32_e32 v8, v6
	s_or_b64 s[4:5], vcc, s[4:5]
	v_mov_b32_e32 v7, v5
	s_andn2_b64 exec, exec, s[4:5]
	s_cbranch_execnz .LBB110_170
; %bb.171:                              ;   in Loop: Header=BB110_169 Depth=1
	s_or_b64 exec, exec, s[4:5]
	global_load_dwordx2 v[7:8], v[9:10], off offset:8
	s_mov_b64 s[4:5], 0
.LBB110_172:                            ;   Parent Loop BB110_169 Depth=1
                                        ; =>  This Inner Loop Header: Depth=2
	s_waitcnt vmcnt(0)
	v_add_f64 v[5:6], v[7:8], v[3:4]
	global_atomic_cmpswap_x2 v[1:2], v[9:10], v[5:8], off offset:8 glc
	s_waitcnt vmcnt(0)
	v_cmp_eq_u64_e32 vcc, v[1:2], v[7:8]
	v_mov_b32_e32 v8, v2
	s_or_b64 s[4:5], vcc, s[4:5]
	v_mov_b32_e32 v7, v1
	s_andn2_b64 exec, exec, s[4:5]
	s_cbranch_execnz .LBB110_172
; %bb.173:                              ;   in Loop: Header=BB110_169 Depth=1
	s_or_b64 exec, exec, s[4:5]
	v_add_u32_e32 v13, 0x100, v13
	v_cmp_le_i32_e32 vcc, s10, v13
	s_or_b64 s[2:3], vcc, s[2:3]
	s_andn2_b64 exec, exec, s[2:3]
	s_cbranch_execnz .LBB110_169
.LBB110_174:
	s_or_b64 exec, exec, s[0:1]
	s_mul_i32 s0, s30, s23
	s_sub_i32 s0, s33, s0
	s_add_i32 s1, s30, 1
	s_sub_i32 s2, s0, s23
	s_cmp_ge_u32 s0, s23
	s_cselect_b32 s1, s1, s30
	s_cselect_b32 s0, s2, s0
	s_add_i32 s2, s1, 1
	s_cmp_ge_u32 s0, s23
	s_cselect_b32 s0, s2, s1
	s_add_i32 s0, s0, -1
	s_ashr_i32 s1, s0, 1
	s_or_b32 s0, s1, s0
	s_ashr_i32 s1, s0, 2
	s_or_b32 s0, s1, s0
	;; [unrolled: 2-line block ×5, first 2 shown]
	s_add_i32 s0, s0, 1
	s_ashr_i32 s11, s0, 1
	v_add_u32_e32 v9, s26, v0
	s_cmp_gt_i32 s11, 1
	s_mov_b64 s[0:1], -1
	s_barrier
	s_cbranch_scc1 .LBB110_187
; %bb.175:
	v_cmp_gt_i32_e32 vcc, s27, v9
	s_and_saveexec_b64 s[0:1], vcc
	s_cbranch_execz .LBB110_186
; %bb.176:
	s_sub_i32 s2, s8, s27
	s_lshl_b32 s2, s2, 4
	s_add_i32 s14, s2, 0x4000
	s_lshl_b32 s2, s29, 4
	s_sub_i32 s15, 0, s2
	s_mov_b64 s[2:3], 0
	v_mov_b32_e32 v16, s13
	v_mov_b32_e32 v17, s25
	;; [unrolled: 1-line block ×3, first 2 shown]
.LBB110_177:                            ; =>This Loop Header: Depth=1
                                        ;     Child Loop BB110_179 Depth 2
                                        ;     Child Loop BB110_182 Depth 2
	;; [unrolled: 1-line block ×3, first 2 shown]
	v_ashrrev_i32_e32 v11, 31, v10
	v_lshlrev_b64 v[1:2], 2, v[10:11]
	v_mov_b32_e32 v12, 0
	v_add_co_u32_e32 v1, vcc, s12, v1
	v_addc_co_u32_e32 v2, vcc, v16, v2, vcc
	global_load_dwordx2 v[1:2], v[1:2], off
	v_mov_b32_e32 v5, 0
	v_mov_b32_e32 v13, 0
	;; [unrolled: 1-line block ×3, first 2 shown]
	s_waitcnt vmcnt(0)
	v_cmp_lt_i32_e32 vcc, v1, v2
	s_and_saveexec_b64 s[4:5], vcc
	s_cbranch_execz .LBB110_181
; %bb.178:                              ;   in Loop: Header=BB110_177 Depth=1
	v_mov_b32_e32 v12, 0
	v_mov_b32_e32 v5, 0
	v_subrev_u32_e32 v2, s29, v2
	v_subrev_u32_e32 v3, s29, v1
	v_lshl_add_u32 v1, v1, 4, s15
	v_mov_b32_e32 v13, 0
	v_mov_b32_e32 v6, 0
	s_mov_b64 s[8:9], 0
.LBB110_179:                            ;   Parent Loop BB110_177 Depth=1
                                        ; =>  This Inner Loop Header: Depth=2
	ds_read_b128 v[18:21], v1
	v_add_u32_e32 v3, 1, v3
	v_cmp_ge_i32_e32 vcc, v3, v2
	s_or_b64 s[8:9], vcc, s[8:9]
	v_add_u32_e32 v1, 16, v1
	s_waitcnt lgkmcnt(0)
	v_add_f64 v[5:6], v[5:6], v[18:19]
	v_add_f64 v[12:13], v[12:13], v[20:21]
	s_andn2_b64 exec, exec, s[8:9]
	s_cbranch_execnz .LBB110_179
; %bb.180:                              ;   in Loop: Header=BB110_177 Depth=1
	s_or_b64 exec, exec, s[8:9]
.LBB110_181:                            ;   in Loop: Header=BB110_177 Depth=1
	s_or_b64 exec, exec, s[4:5]
	v_lshlrev_b64 v[1:2], 4, v[10:11]
	s_mov_b64 s[4:5], 0
	v_add_co_u32_e32 v14, vcc, s24, v1
	v_addc_co_u32_e32 v15, vcc, v17, v2, vcc
	global_load_dwordx2 v[7:8], v[14:15], off
	v_lshl_add_u32 v1, v10, 4, s14
	ds_read2_b64 v[1:4], v1 offset1:1
	s_waitcnt lgkmcnt(0)
	v_add_f64 v[1:2], v[5:6], v[1:2]
.LBB110_182:                            ;   Parent Loop BB110_177 Depth=1
                                        ; =>  This Inner Loop Header: Depth=2
	s_waitcnt vmcnt(0)
	v_add_f64 v[5:6], v[7:8], v[1:2]
	global_atomic_cmpswap_x2 v[5:6], v[14:15], v[5:8], off glc
	s_waitcnt vmcnt(0)
	v_cmp_eq_u64_e32 vcc, v[5:6], v[7:8]
	v_mov_b32_e32 v8, v6
	s_or_b64 s[4:5], vcc, s[4:5]
	v_mov_b32_e32 v7, v5
	s_andn2_b64 exec, exec, s[4:5]
	s_cbranch_execnz .LBB110_182
; %bb.183:                              ;   in Loop: Header=BB110_177 Depth=1
	s_or_b64 exec, exec, s[4:5]
	global_load_dwordx2 v[5:6], v[14:15], off offset:8
	v_add_f64 v[1:2], v[12:13], v[3:4]
	s_mov_b64 s[4:5], 0
.LBB110_184:                            ;   Parent Loop BB110_177 Depth=1
                                        ; =>  This Inner Loop Header: Depth=2
	s_waitcnt vmcnt(0)
	v_add_f64 v[3:4], v[5:6], v[1:2]
	global_atomic_cmpswap_x2 v[3:4], v[14:15], v[3:6], off offset:8 glc
	s_waitcnt vmcnt(0)
	v_cmp_eq_u64_e32 vcc, v[3:4], v[5:6]
	v_mov_b32_e32 v6, v4
	s_or_b64 s[4:5], vcc, s[4:5]
	v_mov_b32_e32 v5, v3
	s_andn2_b64 exec, exec, s[4:5]
	s_cbranch_execnz .LBB110_184
; %bb.185:                              ;   in Loop: Header=BB110_177 Depth=1
	s_or_b64 exec, exec, s[4:5]
	v_add_u32_e32 v10, s33, v10
	v_cmp_le_i32_e32 vcc, s27, v10
	s_or_b64 s[2:3], vcc, s[2:3]
	s_andn2_b64 exec, exec, s[2:3]
	s_cbranch_execnz .LBB110_177
.LBB110_186:
	s_or_b64 exec, exec, s[0:1]
	s_mov_b64 s[0:1], 0
.LBB110_187:
	s_andn2_b64 vcc, exec, s[0:1]
	s_cbranch_vccnz .LBB110_203
; %bb.188:
	v_cvt_f32_u32_e32 v1, s11
	s_sub_i32 s0, 0, s11
	v_rcp_iflag_f32_e32 v1, v1
	v_mul_f32_e32 v1, 0x4f7ffffe, v1
	v_cvt_u32_f32_e32 v1, v1
	v_mul_lo_u32 v2, s0, v1
	v_mul_hi_u32 v2, v1, v2
	v_add_u32_e32 v1, v1, v2
	v_mul_hi_u32 v1, v0, v1
	v_mul_lo_u32 v2, v1, s11
	v_add_u32_e32 v3, 1, v1
	v_sub_u32_e32 v2, v0, v2
	v_cmp_le_u32_e32 vcc, s11, v2
	v_cndmask_b32_e32 v1, v1, v3, vcc
	v_subrev_u32_e32 v3, s11, v2
	v_cndmask_b32_e32 v2, v2, v3, vcc
	v_add_u32_e32 v3, 1, v1
	v_cmp_le_u32_e32 vcc, s11, v2
	v_cndmask_b32_e32 v7, v1, v3, vcc
	v_lshlrev_b32_e32 v1, 2, v7
	global_load_dwordx2 v[5:6], v1, s[6:7]
	v_mov_b32_e32 v3, 0
	v_mov_b32_e32 v1, 0
	;; [unrolled: 1-line block ×4, first 2 shown]
	v_cmp_gt_i32_e32 vcc, s23, v7
	s_and_saveexec_b64 s[0:1], vcc
	s_cbranch_execz .LBB110_196
; %bb.189:
	s_abs_i32 s4, s11
	v_cvt_f32_u32_e32 v1, s4
	s_sub_i32 s2, 0, s4
	s_waitcnt vmcnt(0)
	v_subrev_u32_e32 v5, s29, v5
	v_subrev_u32_e32 v7, s29, v6
	v_rcp_iflag_f32_e32 v1, v1
	v_sub_u32_e32 v6, v7, v5
	v_sub_u32_e32 v3, 0, v6
	v_max_i32_e32 v12, v6, v3
	v_mul_f32_e32 v1, 0x4f7ffffe, v1
	v_cvt_u32_f32_e32 v1, v1
	s_ashr_i32 s5, s11, 31
	v_ashrrev_i32_e32 v6, 31, v6
	v_xor_b32_e32 v6, s5, v6
	v_mul_lo_u32 v2, s2, v1
	s_add_i32 s6, s11, -1
	v_mov_b32_e32 v3, 0
	v_and_b32_e32 v8, s6, v0
	v_mul_hi_u32 v2, v1, v2
	v_mov_b32_e32 v4, 0
	v_add_u32_e32 v1, v1, v2
	v_mad_u64_u32 v[10:11], s[2:3], v12, v1, 0
	v_mov_b32_e32 v1, 0
	v_mov_b32_e32 v2, 0
	v_mul_lo_u32 v10, v11, s4
	v_add_u32_e32 v13, 1, v11
	v_sub_u32_e32 v10, v12, v10
	v_cmp_le_u32_e32 vcc, s4, v10
	v_subrev_u32_e32 v12, s4, v10
	v_cndmask_b32_e32 v11, v11, v13, vcc
	v_cndmask_b32_e32 v10, v10, v12, vcc
	v_add_u32_e32 v12, 1, v11
	v_cmp_le_u32_e32 vcc, s4, v10
	v_cndmask_b32_e32 v10, v11, v12, vcc
	v_xor_b32_e32 v10, v10, v6
	v_sub_u32_e32 v6, v10, v6
	v_cmp_lt_i32_e32 vcc, 0, v6
	v_lshlrev_b32_e32 v10, 4, v8
	s_and_saveexec_b64 s[2:3], vcc
	s_cbranch_execz .LBB110_193
; %bb.190:
	v_mov_b32_e32 v3, 0
	v_mov_b32_e32 v4, 0
	;; [unrolled: 1-line block ×3, first 2 shown]
	v_lshl_add_u32 v11, v5, 4, v10
	s_lshl_b32 s6, s11, 4
	s_mov_b64 s[4:5], 0
	v_mov_b32_e32 v12, v6
	v_mov_b32_e32 v2, v4
.LBB110_191:                            ; =>This Inner Loop Header: Depth=1
	ds_read_b128 v[13:16], v11
	v_add_u32_e32 v12, -1, v12
	v_cmp_eq_u32_e32 vcc, 0, v12
	s_or_b64 s[4:5], vcc, s[4:5]
	v_add_u32_e32 v11, s6, v11
	s_waitcnt lgkmcnt(0)
	v_add_f64 v[1:2], v[1:2], v[13:14]
	v_add_f64 v[3:4], v[3:4], v[15:16]
	s_andn2_b64 exec, exec, s[4:5]
	s_cbranch_execnz .LBB110_191
; %bb.192:
	s_or_b64 exec, exec, s[4:5]
.LBB110_193:
	s_or_b64 exec, exec, s[2:3]
	v_mad_u64_u32 v[5:6], s[2:3], v6, s11, v[5:6]
	v_sub_u32_e32 v6, v7, v5
	v_cmp_lt_i32_e32 vcc, v8, v6
	s_and_saveexec_b64 s[2:3], vcc
	s_cbranch_execz .LBB110_195
; %bb.194:
	v_lshl_add_u32 v5, v5, 4, v10
	ds_read_b128 v[5:8], v5
	s_waitcnt lgkmcnt(0)
	v_add_f64 v[1:2], v[1:2], v[5:6]
	v_add_f64 v[3:4], v[3:4], v[7:8]
.LBB110_195:
	s_or_b64 exec, exec, s[2:3]
.LBB110_196:
	s_or_b64 exec, exec, s[0:1]
	v_cmp_gt_i32_e32 vcc, s23, v0
	s_waitcnt vmcnt(0)
	s_barrier
	ds_write_b128 v22, v[1:4]
	s_waitcnt lgkmcnt(0)
	s_barrier
	s_and_b64 exec, exec, vcc
	s_cbranch_execz .LBB110_203
; %bb.197:
	v_mul_lo_u32 v1, s11, v0
	v_mov_b32_e32 v11, 0
	v_mov_b32_e32 v4, 0
	;; [unrolled: 1-line block ×4, first 2 shown]
	v_lshlrev_b32_e32 v1, 4, v1
.LBB110_198:                            ; =>This Inner Loop Header: Depth=1
	ds_read_b128 v[13:16], v1
	s_add_i32 s11, s11, -1
	s_cmp_eq_u32 s11, 0
	v_add_u32_e32 v1, 16, v1
	s_waitcnt lgkmcnt(0)
	v_add_f64 v[4:5], v[4:5], v[13:14]
	v_add_f64 v[11:12], v[11:12], v[15:16]
	s_cbranch_scc0 .LBB110_198
; %bb.199:
	v_ashrrev_i32_e32 v10, 31, v9
	v_lshlrev_b64 v[1:2], 4, v[9:10]
	v_mov_b32_e32 v3, s25
	v_add_co_u32_e32 v8, vcc, s24, v1
	v_addc_co_u32_e32 v9, vcc, v3, v2, vcc
	global_load_dwordx2 v[6:7], v[8:9], off
	s_lshl_b32 s0, s10, 4
	s_addk_i32 s0, 0x4000
	v_lshl_add_u32 v0, v0, 4, s0
	ds_read2_b64 v[0:3], v0 offset1:1
	s_mov_b64 s[0:1], 0
	s_waitcnt lgkmcnt(0)
	v_add_f64 v[0:1], v[4:5], v[0:1]
.LBB110_200:                            ; =>This Inner Loop Header: Depth=1
	s_waitcnt vmcnt(0)
	v_add_f64 v[4:5], v[6:7], v[0:1]
	global_atomic_cmpswap_x2 v[4:5], v[8:9], v[4:7], off glc
	s_waitcnt vmcnt(0)
	v_cmp_eq_u64_e32 vcc, v[4:5], v[6:7]
	v_mov_b32_e32 v7, v5
	s_or_b64 s[0:1], vcc, s[0:1]
	v_mov_b32_e32 v6, v4
	s_andn2_b64 exec, exec, s[0:1]
	s_cbranch_execnz .LBB110_200
; %bb.201:
	s_or_b64 exec, exec, s[0:1]
	global_load_dwordx2 v[4:5], v[8:9], off offset:8
	v_add_f64 v[0:1], v[11:12], v[2:3]
	s_mov_b64 s[0:1], 0
.LBB110_202:                            ; =>This Inner Loop Header: Depth=1
	s_waitcnt vmcnt(0)
	v_add_f64 v[2:3], v[4:5], v[0:1]
	global_atomic_cmpswap_x2 v[2:3], v[8:9], v[2:5], off offset:8 glc
	s_waitcnt vmcnt(0)
	v_cmp_eq_u64_e32 vcc, v[2:3], v[4:5]
	v_mov_b32_e32 v5, v3
	s_or_b64 s[0:1], vcc, s[0:1]
	v_mov_b32_e32 v4, v2
	s_andn2_b64 exec, exec, s[0:1]
	s_cbranch_execnz .LBB110_202
.LBB110_203:
	s_endpgm
	.section	.rodata,"a",@progbits
	.p2align	6, 0x0
	.amdhsa_kernel _ZN9rocsparseL27csrmvn_symm_adaptive_kernelIii21rocsparse_complex_numIfES1_IdES3_S3_EEvbT_S4_PKS4_NS_24const_host_device_scalarIT4_EES6_PKT0_PKT1_PKT2_S9_PT3_21rocsparse_index_base_b
		.amdhsa_group_segment_fixed_size 16384
		.amdhsa_private_segment_fixed_size 0
		.amdhsa_kernarg_size 360
		.amdhsa_user_sgpr_count 6
		.amdhsa_user_sgpr_private_segment_buffer 1
		.amdhsa_user_sgpr_dispatch_ptr 0
		.amdhsa_user_sgpr_queue_ptr 0
		.amdhsa_user_sgpr_kernarg_segment_ptr 1
		.amdhsa_user_sgpr_dispatch_id 0
		.amdhsa_user_sgpr_flat_scratch_init 0
		.amdhsa_user_sgpr_private_segment_size 0
		.amdhsa_uses_dynamic_stack 0
		.amdhsa_system_sgpr_private_segment_wavefront_offset 0
		.amdhsa_system_sgpr_workgroup_id_x 1
		.amdhsa_system_sgpr_workgroup_id_y 0
		.amdhsa_system_sgpr_workgroup_id_z 0
		.amdhsa_system_sgpr_workgroup_info 0
		.amdhsa_system_vgpr_workitem_id 0
		.amdhsa_next_free_vgpr 49
		.amdhsa_next_free_sgpr 98
		.amdhsa_reserve_vcc 1
		.amdhsa_reserve_flat_scratch 0
		.amdhsa_float_round_mode_32 0
		.amdhsa_float_round_mode_16_64 0
		.amdhsa_float_denorm_mode_32 3
		.amdhsa_float_denorm_mode_16_64 3
		.amdhsa_dx10_clamp 1
		.amdhsa_ieee_mode 1
		.amdhsa_fp16_overflow 0
		.amdhsa_exception_fp_ieee_invalid_op 0
		.amdhsa_exception_fp_denorm_src 0
		.amdhsa_exception_fp_ieee_div_zero 0
		.amdhsa_exception_fp_ieee_overflow 0
		.amdhsa_exception_fp_ieee_underflow 0
		.amdhsa_exception_fp_ieee_inexact 0
		.amdhsa_exception_int_div_zero 0
	.end_amdhsa_kernel
	.section	.text._ZN9rocsparseL27csrmvn_symm_adaptive_kernelIii21rocsparse_complex_numIfES1_IdES3_S3_EEvbT_S4_PKS4_NS_24const_host_device_scalarIT4_EES6_PKT0_PKT1_PKT2_S9_PT3_21rocsparse_index_base_b,"axG",@progbits,_ZN9rocsparseL27csrmvn_symm_adaptive_kernelIii21rocsparse_complex_numIfES1_IdES3_S3_EEvbT_S4_PKS4_NS_24const_host_device_scalarIT4_EES6_PKT0_PKT1_PKT2_S9_PT3_21rocsparse_index_base_b,comdat
.Lfunc_end110:
	.size	_ZN9rocsparseL27csrmvn_symm_adaptive_kernelIii21rocsparse_complex_numIfES1_IdES3_S3_EEvbT_S4_PKS4_NS_24const_host_device_scalarIT4_EES6_PKT0_PKT1_PKT2_S9_PT3_21rocsparse_index_base_b, .Lfunc_end110-_ZN9rocsparseL27csrmvn_symm_adaptive_kernelIii21rocsparse_complex_numIfES1_IdES3_S3_EEvbT_S4_PKS4_NS_24const_host_device_scalarIT4_EES6_PKT0_PKT1_PKT2_S9_PT3_21rocsparse_index_base_b
                                        ; -- End function
	.set _ZN9rocsparseL27csrmvn_symm_adaptive_kernelIii21rocsparse_complex_numIfES1_IdES3_S3_EEvbT_S4_PKS4_NS_24const_host_device_scalarIT4_EES6_PKT0_PKT1_PKT2_S9_PT3_21rocsparse_index_base_b.num_vgpr, 43
	.set _ZN9rocsparseL27csrmvn_symm_adaptive_kernelIii21rocsparse_complex_numIfES1_IdES3_S3_EEvbT_S4_PKS4_NS_24const_host_device_scalarIT4_EES6_PKT0_PKT1_PKT2_S9_PT3_21rocsparse_index_base_b.num_agpr, 0
	.set _ZN9rocsparseL27csrmvn_symm_adaptive_kernelIii21rocsparse_complex_numIfES1_IdES3_S3_EEvbT_S4_PKS4_NS_24const_host_device_scalarIT4_EES6_PKT0_PKT1_PKT2_S9_PT3_21rocsparse_index_base_b.numbered_sgpr, 42
	.set _ZN9rocsparseL27csrmvn_symm_adaptive_kernelIii21rocsparse_complex_numIfES1_IdES3_S3_EEvbT_S4_PKS4_NS_24const_host_device_scalarIT4_EES6_PKT0_PKT1_PKT2_S9_PT3_21rocsparse_index_base_b.num_named_barrier, 0
	.set _ZN9rocsparseL27csrmvn_symm_adaptive_kernelIii21rocsparse_complex_numIfES1_IdES3_S3_EEvbT_S4_PKS4_NS_24const_host_device_scalarIT4_EES6_PKT0_PKT1_PKT2_S9_PT3_21rocsparse_index_base_b.private_seg_size, 0
	.set _ZN9rocsparseL27csrmvn_symm_adaptive_kernelIii21rocsparse_complex_numIfES1_IdES3_S3_EEvbT_S4_PKS4_NS_24const_host_device_scalarIT4_EES6_PKT0_PKT1_PKT2_S9_PT3_21rocsparse_index_base_b.uses_vcc, 1
	.set _ZN9rocsparseL27csrmvn_symm_adaptive_kernelIii21rocsparse_complex_numIfES1_IdES3_S3_EEvbT_S4_PKS4_NS_24const_host_device_scalarIT4_EES6_PKT0_PKT1_PKT2_S9_PT3_21rocsparse_index_base_b.uses_flat_scratch, 0
	.set _ZN9rocsparseL27csrmvn_symm_adaptive_kernelIii21rocsparse_complex_numIfES1_IdES3_S3_EEvbT_S4_PKS4_NS_24const_host_device_scalarIT4_EES6_PKT0_PKT1_PKT2_S9_PT3_21rocsparse_index_base_b.has_dyn_sized_stack, 0
	.set _ZN9rocsparseL27csrmvn_symm_adaptive_kernelIii21rocsparse_complex_numIfES1_IdES3_S3_EEvbT_S4_PKS4_NS_24const_host_device_scalarIT4_EES6_PKT0_PKT1_PKT2_S9_PT3_21rocsparse_index_base_b.has_recursion, 0
	.set _ZN9rocsparseL27csrmvn_symm_adaptive_kernelIii21rocsparse_complex_numIfES1_IdES3_S3_EEvbT_S4_PKS4_NS_24const_host_device_scalarIT4_EES6_PKT0_PKT1_PKT2_S9_PT3_21rocsparse_index_base_b.has_indirect_call, 0
	.section	.AMDGPU.csdata,"",@progbits
; Kernel info:
; codeLenInByte = 8860
; TotalNumSgprs: 46
; NumVgprs: 43
; ScratchSize: 0
; MemoryBound: 0
; FloatMode: 240
; IeeeMode: 1
; LDSByteSize: 16384 bytes/workgroup (compile time only)
; SGPRBlocks: 12
; VGPRBlocks: 12
; NumSGPRsForWavesPerEU: 102
; NumVGPRsForWavesPerEU: 49
; Occupancy: 4
; WaveLimiterHint : 1
; COMPUTE_PGM_RSRC2:SCRATCH_EN: 0
; COMPUTE_PGM_RSRC2:USER_SGPR: 6
; COMPUTE_PGM_RSRC2:TRAP_HANDLER: 0
; COMPUTE_PGM_RSRC2:TGID_X_EN: 1
; COMPUTE_PGM_RSRC2:TGID_Y_EN: 0
; COMPUTE_PGM_RSRC2:TGID_Z_EN: 0
; COMPUTE_PGM_RSRC2:TIDIG_COMP_CNT: 0
	.section	.text._ZL33csrmvn_symm_large_adaptive_kernelIii21rocsparse_complex_numIfES0_IdES2_S2_EvbT_PKS3_N9rocsparse24const_host_device_scalarIT4_EES5_PKT0_PKT1_PKT2_S9_PT3_21rocsparse_index_base_b,"axG",@progbits,_ZL33csrmvn_symm_large_adaptive_kernelIii21rocsparse_complex_numIfES0_IdES2_S2_EvbT_PKS3_N9rocsparse24const_host_device_scalarIT4_EES5_PKT0_PKT1_PKT2_S9_PT3_21rocsparse_index_base_b,comdat
	.globl	_ZL33csrmvn_symm_large_adaptive_kernelIii21rocsparse_complex_numIfES0_IdES2_S2_EvbT_PKS3_N9rocsparse24const_host_device_scalarIT4_EES5_PKT0_PKT1_PKT2_S9_PT3_21rocsparse_index_base_b ; -- Begin function _ZL33csrmvn_symm_large_adaptive_kernelIii21rocsparse_complex_numIfES0_IdES2_S2_EvbT_PKS3_N9rocsparse24const_host_device_scalarIT4_EES5_PKT0_PKT1_PKT2_S9_PT3_21rocsparse_index_base_b
	.p2align	8
	.type	_ZL33csrmvn_symm_large_adaptive_kernelIii21rocsparse_complex_numIfES0_IdES2_S2_EvbT_PKS3_N9rocsparse24const_host_device_scalarIT4_EES5_PKT0_PKT1_PKT2_S9_PT3_21rocsparse_index_base_b,@function
_ZL33csrmvn_symm_large_adaptive_kernelIii21rocsparse_complex_numIfES0_IdES2_S2_EvbT_PKS3_N9rocsparse24const_host_device_scalarIT4_EES5_PKT0_PKT1_PKT2_S9_PT3_21rocsparse_index_base_b: ; @_ZL33csrmvn_symm_large_adaptive_kernelIii21rocsparse_complex_numIfES0_IdES2_S2_EvbT_PKS3_N9rocsparse24const_host_device_scalarIT4_EES5_PKT0_PKT1_PKT2_S9_PT3_21rocsparse_index_base_b
; %bb.0:
	s_load_dwordx2 s[10:11], s[4:5], 0x58
	s_load_dwordx2 s[0:1], s[4:5], 0x10
	s_add_u32 s7, s4, 16
	s_addc_u32 s12, s5, 0
	s_waitcnt lgkmcnt(0)
	s_bitcmp1_b32 s11, 0
	s_cselect_b64 s[8:9], -1, 0
	s_and_b64 s[2:3], s[8:9], exec
	s_cselect_b32 s1, s12, s1
	s_cselect_b32 s0, s7, s0
	v_mov_b32_e32 v1, s0
	v_mov_b32_e32 v2, s1
	flat_load_dwordx4 v[1:4], v[1:2]
	s_waitcnt vmcnt(0) lgkmcnt(0)
	v_cmp_eq_f64_e32 vcc, 0, v[1:2]
	v_cmp_eq_f64_e64 s[0:1], 0, v[3:4]
	s_and_b64 s[12:13], vcc, s[0:1]
	s_mov_b64 s[0:1], -1
	s_and_saveexec_b64 s[2:3], s[12:13]
	s_cbranch_execz .LBB111_2
; %bb.1:
	s_load_dwordx2 s[0:1], s[4:5], 0x40
	s_add_u32 s7, s4, 64
	s_addc_u32 s11, s5, 0
	s_and_b64 s[8:9], s[8:9], exec
	s_waitcnt lgkmcnt(0)
	s_cselect_b32 s1, s11, s1
	s_cselect_b32 s0, s7, s0
	v_mov_b32_e32 v5, s0
	v_mov_b32_e32 v6, s1
	flat_load_dwordx4 v[5:8], v[5:6]
	s_waitcnt vmcnt(0) lgkmcnt(0)
	v_cmp_neq_f64_e32 vcc, 1.0, v[5:6]
	v_cmp_neq_f64_e64 s[0:1], 0, v[7:8]
	s_or_b64 s[0:1], vcc, s[0:1]
	s_orn2_b64 s[0:1], s[0:1], exec
.LBB111_2:
	s_or_b64 exec, exec, s[2:3]
	s_and_saveexec_b64 s[2:3], s[0:1]
	s_cbranch_execz .LBB111_43
; %bb.3:
	s_load_dword s2, s[4:5], 0x0
	s_load_dwordx2 s[8:9], s[4:5], 0x8
	s_mov_b32 s0, 0
	s_mov_b32 s3, s0
	;; [unrolled: 1-line block ×3, first 2 shown]
	s_waitcnt lgkmcnt(0)
	s_bitcmp1_b32 s2, 0
	s_cselect_b64 s[20:21], -1, 0
	s_mov_b32 s2, s0
	v_mov_b32_e32 v8, s3
	s_ashr_i32 s7, s6, 31
	v_mov_b32_e32 v7, s2
	v_mov_b32_e32 v6, s1
	;; [unrolled: 1-line block ×3, first 2 shown]
	s_lshl_b64 s[0:1], s[6:7], 2
	s_add_u32 s0, s8, s0
	v_lshlrev_b32_e32 v15, 4, v0
	s_addc_u32 s1, s9, s1
	ds_write_b128 v15, v[5:8]
	ds_write_b128 v15, v[5:8] offset:4096
	ds_write_b128 v15, v[5:8] offset:8192
	;; [unrolled: 1-line block ×3, first 2 shown]
	s_waitcnt lgkmcnt(0)
	s_barrier
	s_load_dwordx2 s[22:23], s[0:1], 0x0
	s_load_dwordx2 s[24:25], s[4:5], 0x50
	s_load_dwordx8 s[12:19], s[4:5], 0x20
	v_subrev_u32_e32 v16, s10, v0
	s_waitcnt lgkmcnt(0)
	s_cmp_ge_i32 s22, s23
	s_cbranch_scc1 .LBB111_31
; %bb.4:
	s_add_u32 s11, s16, 4
	v_cmp_gt_u32_e64 s[0:1], 64, v0
	v_cmp_gt_u32_e64 s[2:3], 16, v0
	;; [unrolled: 1-line block ×3, first 2 shown]
	v_cmp_eq_u32_e64 s[6:7], 0, v0
	s_addc_u32 s33, s17, 0
	v_mov_b32_e32 v0, 0
	s_mov_b32 s26, s22
	s_branch .LBB111_6
.LBB111_5:                              ;   in Loop: Header=BB111_6 Depth=1
	s_or_b64 exec, exec, s[8:9]
	s_add_i32 s26, s26, 1
	s_cmp_ge_i32 s26, s23
	s_cbranch_scc1 .LBB111_31
.LBB111_6:                              ; =>This Loop Header: Depth=1
                                        ;     Child Loop BB111_8 Depth 2
                                        ;     Child Loop BB111_20 Depth 2
	;; [unrolled: 1-line block ×5, first 2 shown]
	s_ashr_i32 s27, s26, 31
	s_lshl_b64 s[8:9], s[26:27], 2
	s_add_u32 s8, s12, s8
	s_addc_u32 s9, s13, s9
	s_load_dwordx2 s[28:29], s[8:9], 0x0
	v_mov_b32_e32 v7, 0
	v_mov_b32_e32 v5, 0
	;; [unrolled: 1-line block ×4, first 2 shown]
	s_waitcnt lgkmcnt(0)
	s_sub_i32 s34, s29, s10
	v_add_u32_e32 v9, s28, v16
	v_cmp_gt_i32_e32 vcc, s34, v9
	s_and_saveexec_b64 s[28:29], vcc
	s_cbranch_execz .LBB111_10
; %bb.7:                                ;   in Loop: Header=BB111_6 Depth=1
	v_ashrrev_i32_e32 v10, 31, v9
	v_lshlrev_b64 v[5:6], 2, v[9:10]
	v_mov_b32_e32 v7, s15
	v_add_co_u32_e32 v11, vcc, s14, v5
	v_addc_co_u32_e32 v12, vcc, v7, v6, vcc
	v_lshlrev_b64 v[5:6], 3, v[9:10]
	v_mov_b32_e32 v7, s33
	v_add_co_u32_e32 v13, vcc, s11, v5
	v_addc_co_u32_e32 v14, vcc, v7, v6, vcc
	v_mov_b32_e32 v7, 0
	v_mov_b32_e32 v8, 0
	;; [unrolled: 1-line block ×3, first 2 shown]
	s_mov_b64 s[30:31], 0
	v_mov_b32_e32 v6, v8
.LBB111_8:                              ;   Parent Loop BB111_6 Depth=1
                                        ; =>  This Inner Loop Header: Depth=2
	global_load_dword v10, v[11:12], off
	global_load_dwordx2 v[21:22], v[13:14], off offset:-4
	v_mov_b32_e32 v19, s19
	v_add_u32_e32 v9, 0x100, v9
	v_cmp_le_i32_e64 s[8:9], s34, v9
	s_or_b64 s[30:31], s[8:9], s[30:31]
	s_waitcnt vmcnt(1)
	v_subrev_u32_e32 v17, s10, v10
	v_ashrrev_i32_e32 v18, 31, v17
	v_lshlrev_b64 v[17:18], 4, v[17:18]
	s_waitcnt vmcnt(0)
	v_cndmask_b32_e64 v10, v22, -v22, s[20:21]
	v_add_co_u32_e32 v17, vcc, s18, v17
	v_addc_co_u32_e32 v18, vcc, v19, v18, vcc
	global_load_dwordx4 v[17:20], v[17:18], off
	v_cvt_f64_f32_e32 v[21:22], v21
	v_cvt_f64_f32_e32 v[23:24], v10
	v_add_co_u32_e32 v11, vcc, 0x400, v11
	v_addc_co_u32_e32 v12, vcc, 0, v12, vcc
	v_add_co_u32_e32 v13, vcc, 0x800, v13
	v_addc_co_u32_e32 v14, vcc, 0, v14, vcc
	s_waitcnt vmcnt(0)
	v_fma_f64 v[5:6], v[21:22], v[17:18], v[5:6]
	v_fma_f64 v[7:8], v[23:24], v[17:18], v[7:8]
	v_fma_f64 v[5:6], -v[23:24], v[19:20], v[5:6]
	v_fma_f64 v[7:8], v[21:22], v[19:20], v[7:8]
	s_andn2_b64 exec, exec, s[30:31]
	s_cbranch_execnz .LBB111_8
; %bb.9:                                ;   in Loop: Header=BB111_6 Depth=1
	s_or_b64 exec, exec, s[30:31]
.LBB111_10:                             ;   in Loop: Header=BB111_6 Depth=1
	s_or_b64 exec, exec, s[28:29]
	ds_write_b128 v15, v[5:8]
	s_waitcnt lgkmcnt(0)
	s_barrier
	ds_read_b128 v[5:8], v15 offset:4096
	ds_read_b128 v[9:12], v15 offset:8192
	;; [unrolled: 1-line block ×3, first 2 shown]
	ds_read_b128 v[21:24], v15
	s_waitcnt lgkmcnt(2)
	v_add_f64 v[5:6], v[9:10], v[5:6]
	v_add_f64 v[7:8], v[11:12], v[7:8]
	s_waitcnt lgkmcnt(1)
	v_add_f64 v[5:6], v[5:6], v[17:18]
	v_add_f64 v[7:8], v[7:8], v[19:20]
	;; [unrolled: 3-line block ×3, first 2 shown]
	ds_write_b128 v15, v[5:8]
	s_waitcnt lgkmcnt(0)
	s_barrier
	s_and_saveexec_b64 s[8:9], s[0:1]
	s_cbranch_execz .LBB111_12
; %bb.11:                               ;   in Loop: Header=BB111_6 Depth=1
	ds_read_b128 v[5:8], v15 offset:1024
	ds_read_b128 v[9:12], v15 offset:2048
	ds_read_b128 v[17:20], v15 offset:3072
	ds_read_b128 v[21:24], v15
	s_waitcnt lgkmcnt(2)
	v_add_f64 v[5:6], v[9:10], v[5:6]
	v_add_f64 v[7:8], v[11:12], v[7:8]
	s_waitcnt lgkmcnt(1)
	v_add_f64 v[5:6], v[5:6], v[17:18]
	v_add_f64 v[7:8], v[7:8], v[19:20]
	s_waitcnt lgkmcnt(0)
	v_add_f64 v[5:6], v[5:6], v[21:22]
	v_add_f64 v[7:8], v[7:8], v[23:24]
	ds_write_b128 v15, v[5:8]
.LBB111_12:                             ;   in Loop: Header=BB111_6 Depth=1
	s_or_b64 exec, exec, s[8:9]
	s_waitcnt lgkmcnt(0)
	s_barrier
	s_and_saveexec_b64 s[8:9], s[2:3]
	s_cbranch_execz .LBB111_14
; %bb.13:                               ;   in Loop: Header=BB111_6 Depth=1
	ds_read_b128 v[5:8], v15 offset:256
	ds_read_b128 v[9:12], v15 offset:512
	ds_read_b128 v[17:20], v15 offset:768
	ds_read_b128 v[21:24], v15
	s_waitcnt lgkmcnt(2)
	v_add_f64 v[5:6], v[9:10], v[5:6]
	v_add_f64 v[7:8], v[11:12], v[7:8]
	s_waitcnt lgkmcnt(1)
	v_add_f64 v[5:6], v[5:6], v[17:18]
	v_add_f64 v[7:8], v[7:8], v[19:20]
	s_waitcnt lgkmcnt(0)
	v_add_f64 v[5:6], v[5:6], v[21:22]
	v_add_f64 v[7:8], v[7:8], v[23:24]
	ds_write_b128 v15, v[5:8]
.LBB111_14:                             ;   in Loop: Header=BB111_6 Depth=1
	s_or_b64 exec, exec, s[8:9]
	;; [unrolled: 21-line block ×4, first 2 shown]
	s_waitcnt lgkmcnt(0)
	s_barrier
	s_and_saveexec_b64 s[8:9], s[6:7]
	s_cbranch_execz .LBB111_5
; %bb.19:                               ;   in Loop: Header=BB111_6 Depth=1
	ds_read_b128 v[5:8], v0
	v_mov_b32_e32 v13, 0
	s_mov_b64 s[28:29], exec
	v_bfrev_b32_e32 v14, 1
	s_waitcnt lgkmcnt(0)
	v_mul_f64 v[9:10], v[7:8], -v[3:4]
	v_fma_f64 v[9:10], v[1:2], v[5:6], v[9:10]
.LBB111_20:                             ;   Parent Loop BB111_6 Depth=1
                                        ; =>  This Inner Loop Header: Depth=2
	s_ff1_i32_b64 s34, s[28:29]
	v_readlane_b32 s31, v10, s34
	v_readlane_b32 s30, v9, s34
	v_add_f64 v[13:14], v[13:14], s[30:31]
	s_lshl_b64 s[30:31], 1, s34
	s_andn2_b64 s[28:29], s[28:29], s[30:31]
	s_cmp_lg_u64 s[28:29], 0
	s_cbranch_scc1 .LBB111_20
; %bb.21:                               ;   in Loop: Header=BB111_6 Depth=1
	s_lshl_b64 s[28:29], s[26:27], 4
	v_mbcnt_lo_u32_b32 v9, exec_lo, 0
	s_add_u32 s28, s24, s28
	v_mbcnt_hi_u32_b32 v9, exec_hi, v9
	s_addc_u32 s29, s25, s29
	v_cmp_eq_u32_e32 vcc, 0, v9
	s_and_saveexec_b64 s[30:31], vcc
	s_xor_b64 s[30:31], exec, s[30:31]
	s_cbranch_execz .LBB111_25
; %bb.22:                               ;   in Loop: Header=BB111_6 Depth=1
	global_load_dwordx2 v[11:12], v0, s[28:29]
	s_mov_b64 s[34:35], 0
.LBB111_23:                             ;   Parent Loop BB111_6 Depth=1
                                        ; =>  This Inner Loop Header: Depth=2
	s_waitcnt vmcnt(0)
	v_add_f64 v[9:10], v[11:12], v[13:14]
	global_atomic_cmpswap_x2 v[9:10], v0, v[9:12], s[28:29] glc
	s_waitcnt vmcnt(0)
	v_cmp_eq_u64_e32 vcc, v[9:10], v[11:12]
	v_mov_b32_e32 v12, v10
	s_or_b64 s[34:35], vcc, s[34:35]
	v_mov_b32_e32 v11, v9
	s_andn2_b64 exec, exec, s[34:35]
	s_cbranch_execnz .LBB111_23
; %bb.24:                               ;   in Loop: Header=BB111_6 Depth=1
	s_or_b64 exec, exec, s[34:35]
.LBB111_25:                             ;   in Loop: Header=BB111_6 Depth=1
	s_or_b64 exec, exec, s[30:31]
	v_mul_f64 v[7:8], v[1:2], v[7:8]
	v_mov_b32_e32 v9, 0
	s_mov_b64 s[30:31], exec
	v_bfrev_b32_e32 v10, 1
	v_fma_f64 v[5:6], v[3:4], v[5:6], v[7:8]
.LBB111_26:                             ;   Parent Loop BB111_6 Depth=1
                                        ; =>  This Inner Loop Header: Depth=2
	s_ff1_i32_b64 s27, s[30:31]
	v_readlane_b32 s35, v6, s27
	v_readlane_b32 s34, v5, s27
	v_add_f64 v[9:10], v[9:10], s[34:35]
	s_lshl_b64 s[34:35], 1, s27
	s_andn2_b64 s[30:31], s[30:31], s[34:35]
	s_cmp_lg_u64 s[30:31], 0
	s_cbranch_scc1 .LBB111_26
; %bb.27:                               ;   in Loop: Header=BB111_6 Depth=1
	v_mbcnt_lo_u32_b32 v5, exec_lo, 0
	v_mbcnt_hi_u32_b32 v5, exec_hi, v5
	v_cmp_eq_u32_e32 vcc, 0, v5
	s_and_saveexec_b64 s[30:31], vcc
	s_xor_b64 s[30:31], exec, s[30:31]
	s_cbranch_execz .LBB111_5
; %bb.28:                               ;   in Loop: Header=BB111_6 Depth=1
	global_load_dwordx2 v[7:8], v0, s[28:29] offset:8
	s_mov_b64 s[30:31], 0
.LBB111_29:                             ;   Parent Loop BB111_6 Depth=1
                                        ; =>  This Inner Loop Header: Depth=2
	s_waitcnt vmcnt(0)
	v_add_f64 v[5:6], v[7:8], v[9:10]
	global_atomic_cmpswap_x2 v[5:6], v0, v[5:8], s[28:29] offset:8 glc
	s_waitcnt vmcnt(0)
	v_cmp_eq_u64_e32 vcc, v[5:6], v[7:8]
	v_mov_b32_e32 v8, v6
	s_or_b64 s[30:31], vcc, s[30:31]
	v_mov_b32_e32 v7, v5
	s_andn2_b64 exec, exec, s[30:31]
	s_cbranch_execnz .LBB111_29
; %bb.30:                               ;   in Loop: Header=BB111_6 Depth=1
	s_or_b64 exec, exec, s[30:31]
	s_branch .LBB111_5
.LBB111_31:
	s_ashr_i32 s1, s22, 31
	s_mov_b32 s0, s22
	s_lshl_b64 s[0:1], s[0:1], 2
	s_add_u32 s0, s12, s0
	s_addc_u32 s1, s13, s1
	s_ashr_i32 s3, s23, 31
	s_mov_b32 s2, s23
	s_lshl_b64 s[2:3], s[2:3], 2
	s_add_u32 s2, s12, s2
	s_addc_u32 s3, s13, s3
	s_load_dword s4, s[2:3], 0x0
	s_load_dword s5, s[0:1], 0x0
	s_waitcnt lgkmcnt(0)
	s_sub_i32 s8, s4, s10
	v_add_u32_e32 v13, s5, v16
	v_cmp_gt_i32_e32 vcc, s8, v13
	s_and_b64 exec, exec, vcc
	s_cbranch_execz .LBB111_43
; %bb.32:
	s_add_i32 s9, s23, -1
	s_cmp_lt_i32 s22, s9
	s_cselect_b64 s[0:1], -1, 0
	s_add_i32 s2, s23, -2
	s_cmp_lg_u32 s22, s2
	s_cselect_b64 s[2:3], -1, 0
	s_and_b64 s[0:1], s[0:1], s[2:3]
	v_cndmask_b32_e64 v0, 0, 1, s[0:1]
	s_mov_b64 s[4:5], 0
	v_cmp_ne_u32_e64 s[0:1], 1, v0
	v_mov_b32_e32 v0, s13
	v_mov_b32_e32 v22, s15
	s_branch .LBB111_34
.LBB111_33:                             ;   in Loop: Header=BB111_34 Depth=1
	s_or_b64 exec, exec, s[2:3]
	v_add_u32_e32 v13, 0x100, v13
	v_cmp_le_i32_e32 vcc, s8, v13
	s_or_b64 s[4:5], vcc, s[4:5]
	s_andn2_b64 exec, exec, s[4:5]
	s_cbranch_execz .LBB111_43
.LBB111_34:                             ; =>This Loop Header: Depth=1
                                        ;     Child Loop BB111_36 Depth 2
                                        ;     Child Loop BB111_40 Depth 2
	;; [unrolled: 1-line block ×3, first 2 shown]
	s_and_b64 vcc, exec, s[0:1]
	v_mov_b32_e32 v7, s22
	v_mov_b32_e32 v5, s9
	s_cbranch_vccnz .LBB111_38
; %bb.35:                               ;   in Loop: Header=BB111_34 Depth=1
	s_mov_b64 s[6:7], 0
	v_mov_b32_e32 v7, s22
	v_mov_b32_e32 v5, s9
.LBB111_36:                             ;   Parent Loop BB111_34 Depth=1
                                        ; =>  This Inner Loop Header: Depth=2
	v_add_u32_e32 v6, v5, v7
	v_lshrrev_b32_e32 v8, 31, v6
	v_add_u32_e32 v6, v6, v8
	v_ashrrev_i32_e32 v8, 1, v6
	v_ashrrev_i32_e32 v9, 31, v8
	v_lshlrev_b64 v[9:10], 2, v[8:9]
	v_mov_b32_e32 v11, s13
	v_add_co_u32_e32 v9, vcc, s12, v9
	v_addc_co_u32_e32 v10, vcc, v11, v10, vcc
	global_load_dword v6, v[9:10], off
	s_waitcnt vmcnt(0)
	v_subrev_u32_e32 v6, s10, v6
	v_cmp_lt_i32_e32 vcc, v13, v6
	v_cndmask_b32_e32 v5, v5, v8, vcc
	v_cndmask_b32_e32 v7, v8, v7, vcc
	v_add_u32_e32 v6, -1, v5
	v_cmp_ge_i32_e32 vcc, v7, v5
	v_cmp_eq_u32_e64 s[2:3], v7, v6
	s_or_b64 s[2:3], vcc, s[2:3]
	s_and_b64 s[2:3], exec, s[2:3]
	s_or_b64 s[6:7], s[2:3], s[6:7]
	s_andn2_b64 exec, exec, s[6:7]
	s_cbranch_execnz .LBB111_36
; %bb.37:                               ;   in Loop: Header=BB111_34 Depth=1
	s_or_b64 exec, exec, s[6:7]
.LBB111_38:                             ;   in Loop: Header=BB111_34 Depth=1
	v_ashrrev_i32_e32 v6, 31, v5
	v_lshlrev_b64 v[8:9], 2, v[5:6]
	v_ashrrev_i32_e32 v14, 31, v13
	v_add_co_u32_e32 v8, vcc, s12, v8
	v_addc_co_u32_e32 v9, vcc, v0, v9, vcc
	global_load_dword v6, v[8:9], off
	v_lshlrev_b64 v[8:9], 2, v[13:14]
	v_add_co_u32_e32 v8, vcc, s14, v8
	v_addc_co_u32_e32 v9, vcc, v22, v9, vcc
	global_load_dword v8, v[8:9], off
	s_waitcnt vmcnt(1)
	v_subrev_u32_e32 v6, s10, v6
	v_cmp_lt_i32_e32 vcc, v13, v6
	v_cndmask_b32_e32 v5, v5, v7, vcc
	s_waitcnt vmcnt(0)
	v_subrev_u32_e32 v9, s10, v8
	v_cmp_ne_u32_e32 vcc, v9, v5
	s_and_saveexec_b64 s[2:3], vcc
	s_cbranch_execz .LBB111_33
; %bb.39:                               ;   in Loop: Header=BB111_34 Depth=1
	v_lshlrev_b64 v[6:7], 3, v[13:14]
	v_mov_b32_e32 v8, s17
	v_add_co_u32_e32 v6, vcc, s16, v6
	v_addc_co_u32_e32 v7, vcc, v8, v7, vcc
	global_load_dwordx2 v[16:17], v[6:7], off
	v_ashrrev_i32_e32 v6, 31, v5
	v_lshlrev_b64 v[5:6], 4, v[5:6]
	v_mov_b32_e32 v7, s19
	v_add_co_u32_e32 v5, vcc, s18, v5
	v_addc_co_u32_e32 v6, vcc, v7, v6, vcc
	global_load_dwordx4 v[5:8], v[5:6], off
	v_ashrrev_i32_e32 v10, 31, v9
	v_lshlrev_b64 v[9:10], 4, v[9:10]
	v_mov_b32_e32 v11, s25
	v_add_co_u32_e32 v14, vcc, s24, v9
	v_addc_co_u32_e32 v15, vcc, v11, v10, vcc
	global_load_dwordx2 v[11:12], v[14:15], off
	s_mov_b64 s[6:7], 0
	s_waitcnt vmcnt(2)
	v_cndmask_b32_e64 v9, v17, -v17, s[20:21]
	v_cvt_f64_f32_e32 v[9:10], v9
	v_cvt_f64_f32_e32 v[19:20], v16
	v_mul_f64 v[17:18], v[1:2], v[9:10]
	v_mul_f64 v[9:10], -v[3:4], v[9:10]
	v_fma_f64 v[16:17], v[3:4], v[19:20], v[17:18]
	v_fma_f64 v[18:19], v[1:2], v[19:20], v[9:10]
	s_waitcnt vmcnt(1)
	v_mul_f64 v[9:10], v[7:8], -v[16:17]
	v_fma_f64 v[20:21], v[18:19], v[5:6], v[9:10]
.LBB111_40:                             ;   Parent Loop BB111_34 Depth=1
                                        ; =>  This Inner Loop Header: Depth=2
	s_waitcnt vmcnt(0)
	v_add_f64 v[9:10], v[11:12], v[20:21]
	global_atomic_cmpswap_x2 v[9:10], v[14:15], v[9:12], off glc
	s_waitcnt vmcnt(0)
	v_cmp_eq_u64_e32 vcc, v[9:10], v[11:12]
	v_mov_b32_e32 v12, v10
	s_or_b64 s[6:7], vcc, s[6:7]
	v_mov_b32_e32 v11, v9
	s_andn2_b64 exec, exec, s[6:7]
	s_cbranch_execnz .LBB111_40
; %bb.41:                               ;   in Loop: Header=BB111_34 Depth=1
	s_or_b64 exec, exec, s[6:7]
	global_load_dwordx2 v[9:10], v[14:15], off offset:8
	v_mul_f64 v[7:8], v[7:8], v[18:19]
	s_mov_b64 s[6:7], 0
	v_fma_f64 v[5:6], v[16:17], v[5:6], v[7:8]
.LBB111_42:                             ;   Parent Loop BB111_34 Depth=1
                                        ; =>  This Inner Loop Header: Depth=2
	s_waitcnt vmcnt(0)
	v_add_f64 v[7:8], v[9:10], v[5:6]
	global_atomic_cmpswap_x2 v[7:8], v[14:15], v[7:10], off offset:8 glc
	s_waitcnt vmcnt(0)
	v_cmp_eq_u64_e32 vcc, v[7:8], v[9:10]
	v_mov_b32_e32 v10, v8
	s_or_b64 s[6:7], vcc, s[6:7]
	v_mov_b32_e32 v9, v7
	s_andn2_b64 exec, exec, s[6:7]
	s_cbranch_execnz .LBB111_42
	s_branch .LBB111_33
.LBB111_43:
	s_endpgm
	.section	.rodata,"a",@progbits
	.p2align	6, 0x0
	.amdhsa_kernel _ZL33csrmvn_symm_large_adaptive_kernelIii21rocsparse_complex_numIfES0_IdES2_S2_EvbT_PKS3_N9rocsparse24const_host_device_scalarIT4_EES5_PKT0_PKT1_PKT2_S9_PT3_21rocsparse_index_base_b
		.amdhsa_group_segment_fixed_size 16384
		.amdhsa_private_segment_fixed_size 0
		.amdhsa_kernarg_size 96
		.amdhsa_user_sgpr_count 6
		.amdhsa_user_sgpr_private_segment_buffer 1
		.amdhsa_user_sgpr_dispatch_ptr 0
		.amdhsa_user_sgpr_queue_ptr 0
		.amdhsa_user_sgpr_kernarg_segment_ptr 1
		.amdhsa_user_sgpr_dispatch_id 0
		.amdhsa_user_sgpr_flat_scratch_init 0
		.amdhsa_user_sgpr_private_segment_size 0
		.amdhsa_uses_dynamic_stack 0
		.amdhsa_system_sgpr_private_segment_wavefront_offset 0
		.amdhsa_system_sgpr_workgroup_id_x 1
		.amdhsa_system_sgpr_workgroup_id_y 0
		.amdhsa_system_sgpr_workgroup_id_z 0
		.amdhsa_system_sgpr_workgroup_info 0
		.amdhsa_system_vgpr_workitem_id 0
		.amdhsa_next_free_vgpr 49
		.amdhsa_next_free_sgpr 98
		.amdhsa_reserve_vcc 1
		.amdhsa_reserve_flat_scratch 0
		.amdhsa_float_round_mode_32 0
		.amdhsa_float_round_mode_16_64 0
		.amdhsa_float_denorm_mode_32 3
		.amdhsa_float_denorm_mode_16_64 3
		.amdhsa_dx10_clamp 1
		.amdhsa_ieee_mode 1
		.amdhsa_fp16_overflow 0
		.amdhsa_exception_fp_ieee_invalid_op 0
		.amdhsa_exception_fp_denorm_src 0
		.amdhsa_exception_fp_ieee_div_zero 0
		.amdhsa_exception_fp_ieee_overflow 0
		.amdhsa_exception_fp_ieee_underflow 0
		.amdhsa_exception_fp_ieee_inexact 0
		.amdhsa_exception_int_div_zero 0
	.end_amdhsa_kernel
	.section	.text._ZL33csrmvn_symm_large_adaptive_kernelIii21rocsparse_complex_numIfES0_IdES2_S2_EvbT_PKS3_N9rocsparse24const_host_device_scalarIT4_EES5_PKT0_PKT1_PKT2_S9_PT3_21rocsparse_index_base_b,"axG",@progbits,_ZL33csrmvn_symm_large_adaptive_kernelIii21rocsparse_complex_numIfES0_IdES2_S2_EvbT_PKS3_N9rocsparse24const_host_device_scalarIT4_EES5_PKT0_PKT1_PKT2_S9_PT3_21rocsparse_index_base_b,comdat
.Lfunc_end111:
	.size	_ZL33csrmvn_symm_large_adaptive_kernelIii21rocsparse_complex_numIfES0_IdES2_S2_EvbT_PKS3_N9rocsparse24const_host_device_scalarIT4_EES5_PKT0_PKT1_PKT2_S9_PT3_21rocsparse_index_base_b, .Lfunc_end111-_ZL33csrmvn_symm_large_adaptive_kernelIii21rocsparse_complex_numIfES0_IdES2_S2_EvbT_PKS3_N9rocsparse24const_host_device_scalarIT4_EES5_PKT0_PKT1_PKT2_S9_PT3_21rocsparse_index_base_b
                                        ; -- End function
	.set _ZL33csrmvn_symm_large_adaptive_kernelIii21rocsparse_complex_numIfES0_IdES2_S2_EvbT_PKS3_N9rocsparse24const_host_device_scalarIT4_EES5_PKT0_PKT1_PKT2_S9_PT3_21rocsparse_index_base_b.num_vgpr, 25
	.set _ZL33csrmvn_symm_large_adaptive_kernelIii21rocsparse_complex_numIfES0_IdES2_S2_EvbT_PKS3_N9rocsparse24const_host_device_scalarIT4_EES5_PKT0_PKT1_PKT2_S9_PT3_21rocsparse_index_base_b.num_agpr, 0
	.set _ZL33csrmvn_symm_large_adaptive_kernelIii21rocsparse_complex_numIfES0_IdES2_S2_EvbT_PKS3_N9rocsparse24const_host_device_scalarIT4_EES5_PKT0_PKT1_PKT2_S9_PT3_21rocsparse_index_base_b.numbered_sgpr, 36
	.set _ZL33csrmvn_symm_large_adaptive_kernelIii21rocsparse_complex_numIfES0_IdES2_S2_EvbT_PKS3_N9rocsparse24const_host_device_scalarIT4_EES5_PKT0_PKT1_PKT2_S9_PT3_21rocsparse_index_base_b.num_named_barrier, 0
	.set _ZL33csrmvn_symm_large_adaptive_kernelIii21rocsparse_complex_numIfES0_IdES2_S2_EvbT_PKS3_N9rocsparse24const_host_device_scalarIT4_EES5_PKT0_PKT1_PKT2_S9_PT3_21rocsparse_index_base_b.private_seg_size, 0
	.set _ZL33csrmvn_symm_large_adaptive_kernelIii21rocsparse_complex_numIfES0_IdES2_S2_EvbT_PKS3_N9rocsparse24const_host_device_scalarIT4_EES5_PKT0_PKT1_PKT2_S9_PT3_21rocsparse_index_base_b.uses_vcc, 1
	.set _ZL33csrmvn_symm_large_adaptive_kernelIii21rocsparse_complex_numIfES0_IdES2_S2_EvbT_PKS3_N9rocsparse24const_host_device_scalarIT4_EES5_PKT0_PKT1_PKT2_S9_PT3_21rocsparse_index_base_b.uses_flat_scratch, 0
	.set _ZL33csrmvn_symm_large_adaptive_kernelIii21rocsparse_complex_numIfES0_IdES2_S2_EvbT_PKS3_N9rocsparse24const_host_device_scalarIT4_EES5_PKT0_PKT1_PKT2_S9_PT3_21rocsparse_index_base_b.has_dyn_sized_stack, 0
	.set _ZL33csrmvn_symm_large_adaptive_kernelIii21rocsparse_complex_numIfES0_IdES2_S2_EvbT_PKS3_N9rocsparse24const_host_device_scalarIT4_EES5_PKT0_PKT1_PKT2_S9_PT3_21rocsparse_index_base_b.has_recursion, 0
	.set _ZL33csrmvn_symm_large_adaptive_kernelIii21rocsparse_complex_numIfES0_IdES2_S2_EvbT_PKS3_N9rocsparse24const_host_device_scalarIT4_EES5_PKT0_PKT1_PKT2_S9_PT3_21rocsparse_index_base_b.has_indirect_call, 0
	.section	.AMDGPU.csdata,"",@progbits
; Kernel info:
; codeLenInByte = 2388
; TotalNumSgprs: 40
; NumVgprs: 25
; ScratchSize: 0
; MemoryBound: 0
; FloatMode: 240
; IeeeMode: 1
; LDSByteSize: 16384 bytes/workgroup (compile time only)
; SGPRBlocks: 12
; VGPRBlocks: 12
; NumSGPRsForWavesPerEU: 102
; NumVGPRsForWavesPerEU: 49
; Occupancy: 4
; WaveLimiterHint : 1
; COMPUTE_PGM_RSRC2:SCRATCH_EN: 0
; COMPUTE_PGM_RSRC2:USER_SGPR: 6
; COMPUTE_PGM_RSRC2:TRAP_HANDLER: 0
; COMPUTE_PGM_RSRC2:TGID_X_EN: 1
; COMPUTE_PGM_RSRC2:TGID_Y_EN: 0
; COMPUTE_PGM_RSRC2:TGID_Z_EN: 0
; COMPUTE_PGM_RSRC2:TIDIG_COMP_CNT: 0
	.section	.text._ZN9rocsparseL22csrmvn_adaptive_kernelIli21rocsparse_complex_numIfES1_IdES3_S3_EEvbT_PKS4_PjPKT0_NS_24const_host_device_scalarIT4_EES6_SA_PKT1_PKT2_SD_PT3_21rocsparse_index_base_b,"axG",@progbits,_ZN9rocsparseL22csrmvn_adaptive_kernelIli21rocsparse_complex_numIfES1_IdES3_S3_EEvbT_PKS4_PjPKT0_NS_24const_host_device_scalarIT4_EES6_SA_PKT1_PKT2_SD_PT3_21rocsparse_index_base_b,comdat
	.globl	_ZN9rocsparseL22csrmvn_adaptive_kernelIli21rocsparse_complex_numIfES1_IdES3_S3_EEvbT_PKS4_PjPKT0_NS_24const_host_device_scalarIT4_EES6_SA_PKT1_PKT2_SD_PT3_21rocsparse_index_base_b ; -- Begin function _ZN9rocsparseL22csrmvn_adaptive_kernelIli21rocsparse_complex_numIfES1_IdES3_S3_EEvbT_PKS4_PjPKT0_NS_24const_host_device_scalarIT4_EES6_SA_PKT1_PKT2_SD_PT3_21rocsparse_index_base_b
	.p2align	8
	.type	_ZN9rocsparseL22csrmvn_adaptive_kernelIli21rocsparse_complex_numIfES1_IdES3_S3_EEvbT_PKS4_PjPKT0_NS_24const_host_device_scalarIT4_EES6_SA_PKT1_PKT2_SD_PT3_21rocsparse_index_base_b,@function
_ZN9rocsparseL22csrmvn_adaptive_kernelIli21rocsparse_complex_numIfES1_IdES3_S3_EEvbT_PKS4_PjPKT0_NS_24const_host_device_scalarIT4_EES6_SA_PKT1_PKT2_SD_PT3_21rocsparse_index_base_b: ; @_ZN9rocsparseL22csrmvn_adaptive_kernelIli21rocsparse_complex_numIfES1_IdES3_S3_EEvbT_PKS4_PjPKT0_NS_24const_host_device_scalarIT4_EES6_SA_PKT1_PKT2_SD_PT3_21rocsparse_index_base_b
; %bb.0:
	s_load_dwordx2 s[0:1], s[4:5], 0x28
	s_load_dwordx2 s[42:43], s[4:5], 0x70
	s_add_u32 s7, s4, 40
	s_addc_u32 s8, s5, 0
	s_add_u32 s9, s4, 0x58
	s_addc_u32 s10, s5, 0
	s_waitcnt lgkmcnt(0)
	s_bitcmp1_b32 s43, 0
	s_cselect_b32 s1, s8, s1
	s_cselect_b32 s0, s7, s0
	v_mov_b32_e32 v1, s0
	v_mov_b32_e32 v2, s1
	flat_load_dwordx4 v[5:8], v[1:2]
	s_load_dwordx2 s[2:3], s[4:5], 0x58
	s_waitcnt lgkmcnt(0)
	s_cselect_b32 s0, s10, s3
	s_cselect_b32 s1, s9, s2
	v_mov_b32_e32 v1, s1
	v_mov_b32_e32 v2, s0
	flat_load_dwordx4 v[1:4], v[1:2]
	s_waitcnt vmcnt(0)
	v_cmp_eq_f64_e32 vcc, 0, v[5:6]
	v_cmp_eq_f64_e64 s[0:1], 0, v[7:8]
	s_and_b64 s[8:9], vcc, s[0:1]
	s_mov_b64 s[0:1], -1
	s_and_saveexec_b64 s[2:3], s[8:9]
	s_cbranch_execz .LBB112_2
; %bb.1:
	s_waitcnt lgkmcnt(0)
	v_cmp_neq_f64_e32 vcc, 1.0, v[1:2]
	v_cmp_neq_f64_e64 s[0:1], 0, v[3:4]
	s_or_b64 s[0:1], vcc, s[0:1]
	s_orn2_b64 s[0:1], s[0:1], exec
.LBB112_2:
	s_or_b64 exec, exec, s[2:3]
	s_and_saveexec_b64 s[2:3], s[0:1]
	s_cbranch_execz .LBB112_117
; %bb.3:
	s_load_dwordx2 s[0:1], s[4:5], 0x20
	s_load_dword s7, s[4:5], 0x0
	s_load_dwordx2 s[2:3], s[4:5], 0x10
	s_waitcnt lgkmcnt(0)
	s_bitcmp1_b32 s7, 0
	s_cselect_b64 s[44:45], -1, 0
	s_ashr_i32 s7, s6, 31
	s_lshl_b64 s[8:9], s[6:7], 3
	s_add_u32 s2, s2, s8
	s_addc_u32 s3, s3, s9
	s_load_dwordx4 s[36:39], s[2:3], 0x0
	s_load_dwordx2 s[22:23], s[4:5], 0x68
	s_load_dwordx8 s[24:31], s[4:5], 0x38
	s_lshl_b64 s[46:47], s[6:7], 2
	s_waitcnt lgkmcnt(0)
	s_sub_i32 s2, s38, s36
	s_add_u32 s0, s0, s46
	s_addc_u32 s1, s1, s47
	s_lshl_b64 s[8:9], s[36:37], 3
	s_add_u32 s40, s24, s8
	s_addc_u32 s41, s25, s9
	s_load_dword s33, s[0:1], 0x0
	s_load_dwordx2 s[34:35], s[40:41], 0x0
	s_cmp_lt_i32 s2, 2
	s_mov_b64 s[0:1], -1
	s_cbranch_scc0 .LBB112_73
; %bb.4:
	s_cmp_lg_u32 s2, 1
	s_cselect_b64 s[0:1], -1, 0
	s_waitcnt lgkmcnt(0)
	s_cmp_lg_u32 s33, 0
	s_cselect_b64 s[2:3], -1, 0
	s_or_b64 s[2:3], s[0:1], s[2:3]
	s_mov_b64 s[0:1], -1
	s_and_b64 vcc, exec, s[2:3]
	s_cbranch_vccnz .LBB112_33
; %bb.5:
	v_mov_b32_e32 v9, s36
	v_mov_b32_e32 v10, s37
	v_cmp_le_i64_e32 vcc, s[38:39], v[9:10]
	s_cbranch_vccnz .LBB112_32
; %bb.6:
	v_subrev_co_u32_e32 v22, vcc, s42, v0
	v_subb_co_u32_e64 v23, s[0:1], 0, 0, vcc
	v_cmp_neq_f64_e32 vcc, 0, v[1:2]
	v_cmp_neq_f64_e64 s[20:21], 0, v[3:4]
	s_movk_i32 s0, 0x80
	v_mov_b32_e32 v13, s38
	v_mov_b32_e32 v21, 0
	v_lshlrev_b32_e32 v24, 4, v0
	v_cmp_gt_u32_e64 s[0:1], s0, v0
	v_cmp_gt_u32_e64 s[2:3], 64, v0
	;; [unrolled: 1-line block ×3, first 2 shown]
	s_or_b64 s[48:49], vcc, s[20:21]
	s_add_u32 s7, s28, 4
	v_cmp_gt_u32_e64 s[10:11], 16, v0
	v_cmp_gt_u32_e64 s[12:13], 8, v0
	;; [unrolled: 1-line block ×4, first 2 shown]
	v_cmp_eq_u32_e64 s[18:19], 0, v0
	s_addc_u32 s43, s29, 0
	s_movk_i32 s58, 0x100
	v_mov_b32_e32 v14, s39
	s_mov_b64 s[50:51], s[36:37]
	s_branch .LBB112_9
.LBB112_7:                              ;   in Loop: Header=BB112_9 Depth=1
	s_or_b64 exec, exec, s[52:53]
	s_lshl_b64 s[52:53], s[50:51], 4
	s_add_u32 s52, s22, s52
	s_addc_u32 s53, s23, s53
	s_waitcnt lgkmcnt(0)
	global_store_dwordx4 v21, v[9:12], s[52:53]
.LBB112_8:                              ;   in Loop: Header=BB112_9 Depth=1
	s_or_b64 exec, exec, s[20:21]
	s_add_u32 s50, s50, 1
	s_addc_u32 s51, s51, 0
	v_cmp_ge_i64_e32 vcc, s[50:51], v[13:14]
	s_cbranch_vccnz .LBB112_32
.LBB112_9:                              ; =>This Loop Header: Depth=1
                                        ;     Child Loop BB112_11 Depth 2
	s_lshl_b64 s[20:21], s[50:51], 3
	s_add_u32 s20, s24, s20
	s_addc_u32 s21, s25, s21
	s_load_dwordx4 s[60:63], s[20:21], 0x0
	v_mov_b32_e32 v11, 0
	v_mov_b32_e32 v12, 0
	s_waitcnt lgkmcnt(0)
	s_sub_u32 s52, s62, s42
	v_mov_b32_e32 v9, s61
	v_add_co_u32_e32 v15, vcc, s60, v22
	s_subb_u32 s53, s63, 0
	v_addc_co_u32_e32 v16, vcc, v9, v23, vcc
	v_cmp_gt_i64_e32 vcc, s[52:53], v[15:16]
	v_mov_b32_e32 v9, 0
	v_mov_b32_e32 v10, 0
	s_and_saveexec_b64 s[54:55], vcc
	s_cbranch_execz .LBB112_13
; %bb.10:                               ;   in Loop: Header=BB112_9 Depth=1
	v_lshlrev_b64 v[9:10], 3, v[15:16]
	v_mov_b32_e32 v11, s43
	v_add_co_u32_e32 v17, vcc, s7, v9
	v_addc_co_u32_e32 v18, vcc, v11, v10, vcc
	v_lshlrev_b64 v[9:10], 2, v[15:16]
	v_mov_b32_e32 v11, s27
	v_add_co_u32_e32 v19, vcc, s26, v9
	v_addc_co_u32_e32 v20, vcc, v11, v10, vcc
	v_mov_b32_e32 v11, 0
	v_mov_b32_e32 v12, 0
	;; [unrolled: 1-line block ×3, first 2 shown]
	s_mov_b64 s[56:57], 0
	v_mov_b32_e32 v10, v12
.LBB112_11:                             ;   Parent Loop BB112_9 Depth=1
                                        ; =>  This Inner Loop Header: Depth=2
	global_load_dword v25, v[19:20], off
	global_load_dwordx2 v[29:30], v[17:18], off offset:-4
	v_mov_b32_e32 v27, s31
	s_waitcnt vmcnt(1)
	v_subrev_u32_e32 v25, s42, v25
	v_ashrrev_i32_e32 v26, 31, v25
	v_lshlrev_b64 v[25:26], 4, v[25:26]
	s_waitcnt vmcnt(0)
	v_cndmask_b32_e64 v30, v30, -v30, s[44:45]
	v_add_co_u32_e32 v25, vcc, s30, v25
	v_addc_co_u32_e32 v26, vcc, v27, v26, vcc
	global_load_dwordx4 v[25:28], v[25:26], off
	v_cvt_f64_f32_e32 v[30:31], v30
	v_cvt_f64_f32_e32 v[34:35], v29
	v_add_co_u32_e32 v15, vcc, s58, v15
	v_mul_f64 v[32:33], -v[7:8], v[30:31]
	v_mul_f64 v[30:31], v[5:6], v[30:31]
	v_addc_co_u32_e32 v16, vcc, 0, v16, vcc
	v_add_co_u32_e32 v17, vcc, 0x800, v17
	v_addc_co_u32_e32 v18, vcc, 0, v18, vcc
	v_fma_f64 v[32:33], v[5:6], v[34:35], v[32:33]
	v_fma_f64 v[29:30], v[7:8], v[34:35], v[30:31]
	v_cmp_le_i64_e64 s[20:21], s[52:53], v[15:16]
	v_add_co_u32_e32 v19, vcc, 0x400, v19
	s_or_b64 s[56:57], s[20:21], s[56:57]
	v_addc_co_u32_e32 v20, vcc, 0, v20, vcc
	s_waitcnt vmcnt(0)
	v_fma_f64 v[9:10], v[32:33], v[25:26], v[9:10]
	v_fma_f64 v[11:12], v[29:30], v[25:26], v[11:12]
	v_fma_f64 v[9:10], -v[29:30], v[27:28], v[9:10]
	v_fma_f64 v[11:12], v[32:33], v[27:28], v[11:12]
	s_andn2_b64 exec, exec, s[56:57]
	s_cbranch_execnz .LBB112_11
; %bb.12:                               ;   in Loop: Header=BB112_9 Depth=1
	s_or_b64 exec, exec, s[56:57]
.LBB112_13:                             ;   in Loop: Header=BB112_9 Depth=1
	s_or_b64 exec, exec, s[54:55]
	ds_write_b128 v24, v[9:12]
	s_waitcnt vmcnt(0) lgkmcnt(0)
	s_barrier
	s_and_saveexec_b64 s[20:21], s[0:1]
	s_cbranch_execz .LBB112_15
; %bb.14:                               ;   in Loop: Header=BB112_9 Depth=1
	ds_read_b128 v[9:12], v24 offset:2048
	ds_read_b128 v[15:18], v24
	s_waitcnt lgkmcnt(0)
	v_add_f64 v[9:10], v[9:10], v[15:16]
	v_add_f64 v[11:12], v[11:12], v[17:18]
	ds_write_b128 v24, v[9:12]
.LBB112_15:                             ;   in Loop: Header=BB112_9 Depth=1
	s_or_b64 exec, exec, s[20:21]
	s_waitcnt lgkmcnt(0)
	s_barrier
	s_and_saveexec_b64 s[20:21], s[2:3]
	s_cbranch_execz .LBB112_17
; %bb.16:                               ;   in Loop: Header=BB112_9 Depth=1
	ds_read_b128 v[9:12], v24 offset:1024
	ds_read_b128 v[15:18], v24
	s_waitcnt lgkmcnt(0)
	v_add_f64 v[9:10], v[9:10], v[15:16]
	v_add_f64 v[11:12], v[11:12], v[17:18]
	ds_write_b128 v24, v[9:12]
.LBB112_17:                             ;   in Loop: Header=BB112_9 Depth=1
	s_or_b64 exec, exec, s[20:21]
	s_waitcnt lgkmcnt(0)
	;; [unrolled: 13-line block ×6, first 2 shown]
	s_barrier
	s_and_saveexec_b64 s[20:21], s[16:17]
	s_cbranch_execz .LBB112_27
; %bb.26:                               ;   in Loop: Header=BB112_9 Depth=1
	ds_read_b128 v[9:12], v24
	ds_read_b128 v[15:18], v24 offset:32
	s_waitcnt lgkmcnt(0)
	v_add_f64 v[9:10], v[15:16], v[9:10]
	v_add_f64 v[11:12], v[17:18], v[11:12]
	ds_write_b128 v24, v[9:12]
.LBB112_27:                             ;   in Loop: Header=BB112_9 Depth=1
	s_or_b64 exec, exec, s[20:21]
	s_waitcnt lgkmcnt(0)
	s_barrier
	s_and_saveexec_b64 s[20:21], s[18:19]
	s_cbranch_execz .LBB112_29
; %bb.28:                               ;   in Loop: Header=BB112_9 Depth=1
	ds_read_b128 v[9:12], v21
	ds_read_b128 v[15:18], v21 offset:16
	s_waitcnt lgkmcnt(0)
	v_add_f64 v[9:10], v[15:16], v[9:10]
	v_add_f64 v[11:12], v[17:18], v[11:12]
	ds_write_b128 v21, v[9:12]
.LBB112_29:                             ;   in Loop: Header=BB112_9 Depth=1
	s_or_b64 exec, exec, s[20:21]
	s_waitcnt lgkmcnt(0)
	s_barrier
	s_and_saveexec_b64 s[20:21], s[18:19]
	s_cbranch_execz .LBB112_8
; %bb.30:                               ;   in Loop: Header=BB112_9 Depth=1
	ds_read_b128 v[9:12], v21
	s_and_saveexec_b64 s[52:53], s[48:49]
	s_cbranch_execz .LBB112_7
; %bb.31:                               ;   in Loop: Header=BB112_9 Depth=1
	s_lshl_b64 s[54:55], s[50:51], 4
	s_add_u32 s54, s22, s54
	s_addc_u32 s55, s23, s55
	global_load_dwordx4 v[15:18], v21, s[54:55]
	s_waitcnt vmcnt(0) lgkmcnt(0)
	v_fma_f64 v[9:10], v[1:2], v[15:16], v[9:10]
	v_fma_f64 v[11:12], v[3:4], v[15:16], v[11:12]
	v_fma_f64 v[9:10], -v[3:4], v[17:18], v[9:10]
	v_fma_f64 v[11:12], v[1:2], v[17:18], v[11:12]
	s_branch .LBB112_7
.LBB112_32:
	s_mov_b64 s[0:1], 0
.LBB112_33:
	s_andn2_b64 vcc, exec, s[0:1]
	s_cbranch_vccnz .LBB112_72
; %bb.34:
	s_load_dwordx2 s[8:9], s[4:5], 0x18
	s_sub_i32 s6, s6, s33
	v_mov_b32_e32 v13, 0
	v_or_b32_e32 v14, s33, v0
	v_mov_b32_e32 v9, 0
	s_waitcnt lgkmcnt(0)
	s_add_u32 s2, s8, s46
	s_addc_u32 s3, s9, s47
	global_load_dword v19, v13, s[2:3]
	v_mov_b32_e32 v11, 0
	v_mov_b32_e32 v10, 0
	;; [unrolled: 1-line block ×3, first 2 shown]
	v_cmp_eq_u32_e32 vcc, 0, v14
	s_and_saveexec_b64 s[0:1], vcc
	s_cbranch_execz .LBB112_38
; %bb.35:
	s_lshl_b64 s[12:13], s[36:37], 4
	s_add_u32 s12, s22, s12
	s_addc_u32 s13, s23, s13
	global_load_dwordx4 v[11:14], v13, s[12:13]
	v_add_f64 v[9:10], v[1:2], -1.0
	s_mov_b64 s[10:11], exec
	v_mbcnt_lo_u32_b32 v17, s10, 0
	v_mbcnt_hi_u32_b32 v17, s11, v17
	v_cmp_eq_u32_e32 vcc, 0, v17
	s_waitcnt vmcnt(0) expcnt(0) lgkmcnt(0)
	v_mul_f64 v[15:16], v[13:14], -v[3:4]
	v_mul_f64 v[13:14], v[9:10], v[13:14]
	s_and_saveexec_b64 s[12:13], vcc
	s_cbranch_execz .LBB112_37
; %bb.36:
	s_ashr_i32 s7, s6, 31
	s_lshl_b64 s[14:15], s[6:7], 2
	s_add_u32 s14, s8, s14
	s_addc_u32 s15, s9, s15
	s_bcnt1_i32_b64 s7, s[10:11]
	s_and_b32 s7, s7, 1
	v_mov_b32_e32 v17, 0
	v_mov_b32_e32 v18, s7
	global_atomic_xor v17, v18, s[14:15]
.LBB112_37:
	s_or_b64 exec, exec, s[12:13]
	v_fma_f64 v[9:10], v[9:10], v[11:12], v[15:16]
	v_fma_f64 v[11:12], v[3:4], v[11:12], v[13:14]
.LBB112_38:
	s_or_b64 exec, exec, s[0:1]
	s_load_dwordx2 s[0:1], s[40:41], 0x8
	s_sub_u32 s11, s34, s42
	s_mul_i32 s7, s33, 0xc00
	s_subb_u32 s12, s35, 0
	s_mul_hi_i32 s10, s33, 0xc00
	s_add_u32 s7, s11, s7
	s_addc_u32 s12, s12, s10
	s_waitcnt lgkmcnt(0)
	s_sub_u32 s0, s0, s42
	v_mov_b32_e32 v14, s12
	v_add_co_u32_e32 v13, vcc, s7, v0
	s_subb_u32 s1, s1, 0
	v_addc_co_u32_e32 v14, vcc, 0, v14, vcc
	v_cmp_gt_i64_e32 vcc, s[0:1], v[13:14]
	s_and_saveexec_b64 s[10:11], vcc
	s_cbranch_execz .LBB112_42
; %bb.39:
	s_add_u32 s14, s7, 0xc00
	v_mov_b32_e32 v16, s1
	s_addc_u32 s15, s12, 0
	v_mov_b32_e32 v15, s0
	v_cmp_lt_i64_e32 vcc, s[14:15], v[15:16]
	v_lshlrev_b64 v[15:16], 3, v[13:14]
	s_and_b64 s[12:13], vcc, exec
	v_mov_b32_e32 v17, s29
	v_add_co_u32_e32 v15, vcc, s28, v15
	v_addc_co_u32_e32 v16, vcc, v17, v16, vcc
	v_add_co_u32_e32 v15, vcc, 4, v15
	v_lshlrev_b64 v[17:18], 2, v[13:14]
	v_addc_co_u32_e32 v16, vcc, 0, v16, vcc
	v_mov_b32_e32 v20, s27
	v_add_co_u32_e32 v17, vcc, s26, v17
	s_cselect_b32 s13, s15, s1
	s_cselect_b32 s12, s14, s0
	v_addc_co_u32_e32 v18, vcc, v20, v18, vcc
	s_mov_b64 s[14:15], 0
	v_mov_b32_e32 v20, s31
	s_movk_i32 s7, 0x100
.LBB112_40:                             ; =>This Inner Loop Header: Depth=1
	global_load_dword v21, v[17:18], off
	global_load_dwordx2 v[25:26], v[15:16], off offset:-4
	s_waitcnt vmcnt(1)
	v_subrev_u32_e32 v21, s42, v21
	v_ashrrev_i32_e32 v22, 31, v21
	v_lshlrev_b64 v[21:22], 4, v[21:22]
	s_waitcnt vmcnt(0)
	v_cndmask_b32_e64 v26, v26, -v26, s[44:45]
	v_add_co_u32_e32 v21, vcc, s30, v21
	v_addc_co_u32_e32 v22, vcc, v20, v22, vcc
	global_load_dwordx4 v[21:24], v[21:22], off
	v_cvt_f64_f32_e32 v[26:27], v26
	v_cvt_f64_f32_e32 v[30:31], v25
	v_add_co_u32_e32 v13, vcc, s7, v13
	v_mul_f64 v[28:29], -v[7:8], v[26:27]
	v_mul_f64 v[26:27], v[5:6], v[26:27]
	v_addc_co_u32_e32 v14, vcc, 0, v14, vcc
	v_add_co_u32_e32 v15, vcc, 0x800, v15
	v_addc_co_u32_e32 v16, vcc, 0, v16, vcc
	v_fma_f64 v[28:29], v[5:6], v[30:31], v[28:29]
	v_fma_f64 v[25:26], v[7:8], v[30:31], v[26:27]
	v_cmp_le_i64_e64 s[0:1], s[12:13], v[13:14]
	v_add_co_u32_e32 v17, vcc, 0x400, v17
	s_or_b64 s[14:15], s[0:1], s[14:15]
	v_addc_co_u32_e32 v18, vcc, 0, v18, vcc
	s_waitcnt vmcnt(0)
	v_fma_f64 v[9:10], v[28:29], v[21:22], v[9:10]
	v_fma_f64 v[11:12], v[25:26], v[21:22], v[11:12]
	v_fma_f64 v[9:10], -v[25:26], v[23:24], v[9:10]
	v_fma_f64 v[11:12], v[28:29], v[23:24], v[11:12]
	s_andn2_b64 exec, exec, s[14:15]
	s_cbranch_execnz .LBB112_40
; %bb.41:
	s_or_b64 exec, exec, s[14:15]
.LBB112_42:
	s_or_b64 exec, exec, s[10:11]
	s_movk_i32 s0, 0x80
	v_lshlrev_b32_e32 v13, 4, v0
	v_cmp_gt_u32_e32 vcc, s0, v0
	ds_write_b128 v13, v[9:12]
	s_waitcnt vmcnt(0) lgkmcnt(0)
	s_barrier
	s_and_saveexec_b64 s[0:1], vcc
	s_cbranch_execz .LBB112_44
; %bb.43:
	ds_read_b128 v[9:12], v13 offset:2048
	ds_read_b128 v[14:17], v13
	s_waitcnt lgkmcnt(0)
	v_add_f64 v[9:10], v[9:10], v[14:15]
	v_add_f64 v[11:12], v[11:12], v[16:17]
	ds_write_b128 v13, v[9:12]
.LBB112_44:
	s_or_b64 exec, exec, s[0:1]
	v_cmp_gt_u32_e32 vcc, 64, v0
	s_waitcnt lgkmcnt(0)
	s_barrier
	s_and_saveexec_b64 s[0:1], vcc
	s_cbranch_execz .LBB112_46
; %bb.45:
	ds_read_b128 v[9:12], v13 offset:1024
	ds_read_b128 v[14:17], v13
	s_waitcnt lgkmcnt(0)
	v_add_f64 v[9:10], v[9:10], v[14:15]
	v_add_f64 v[11:12], v[11:12], v[16:17]
	ds_write_b128 v13, v[9:12]
.LBB112_46:
	s_or_b64 exec, exec, s[0:1]
	v_cmp_gt_u32_e32 vcc, 32, v0
	s_waitcnt lgkmcnt(0)
	;; [unrolled: 14-line block ×6, first 2 shown]
	s_barrier
	s_and_saveexec_b64 s[0:1], vcc
	s_cbranch_execz .LBB112_56
; %bb.55:
	ds_read_b128 v[9:12], v13
	ds_read_b128 v[14:17], v13 offset:32
	s_waitcnt lgkmcnt(0)
	v_add_f64 v[9:10], v[14:15], v[9:10]
	v_add_f64 v[11:12], v[16:17], v[11:12]
	ds_write_b128 v13, v[9:12]
.LBB112_56:
	s_or_b64 exec, exec, s[0:1]
	v_cmp_eq_u32_e32 vcc, 0, v0
	s_waitcnt lgkmcnt(0)
	s_barrier
	s_and_saveexec_b64 s[0:1], vcc
	s_cbranch_execz .LBB112_58
; %bb.57:
	v_mov_b32_e32 v17, 0
	ds_read_b128 v[9:12], v17
	ds_read_b128 v[13:16], v17 offset:16
	s_waitcnt lgkmcnt(0)
	v_add_f64 v[9:10], v[13:14], v[9:10]
	v_add_f64 v[11:12], v[15:16], v[11:12]
	ds_write_b128 v17, v[9:12]
.LBB112_58:
	s_or_b64 exec, exec, s[0:1]
	s_waitcnt lgkmcnt(0)
	s_barrier
	s_and_saveexec_b64 s[0:1], vcc
	s_cbranch_execz .LBB112_71
; %bb.59:
	s_cmp_eq_u32 s33, 0
	s_cbranch_scc1 .LBB112_65
; %bb.60:
	s_ashr_i32 s7, s6, 31
	s_lshl_b64 s[6:7], s[6:7], 2
	s_add_u32 s6, s8, s6
	s_addc_u32 s7, s9, s7
	v_mov_b32_e32 v9, 0
	s_branch .LBB112_62
.LBB112_61:                             ;   in Loop: Header=BB112_62 Depth=1
	s_or_b64 exec, exec, s[8:9]
	s_waitcnt vmcnt(0)
	v_readfirstlane_b32 s8, v10
	v_cmp_eq_u32_e32 vcc, s8, v19
	s_cbranch_vccz .LBB112_64
.LBB112_62:                             ; =>This Inner Loop Header: Depth=1
	v_mbcnt_lo_u32_b32 v10, exec_lo, 0
	v_mbcnt_hi_u32_b32 v10, exec_hi, v10
	v_cmp_eq_u32_e32 vcc, 0, v10
                                        ; implicit-def: $vgpr10
	s_and_saveexec_b64 s[8:9], vcc
	s_cbranch_execz .LBB112_61
; %bb.63:                               ;   in Loop: Header=BB112_62 Depth=1
	global_load_dword v10, v9, s[6:7] glc
	s_branch .LBB112_61
.LBB112_64:
	v_mov_b32_e32 v9, 0
	global_load_ushort v10, v9, s[2:3]
	s_waitcnt vmcnt(0)
	v_xor_b32_e32 v10, 1, v10
	global_store_short v9, v10, s[2:3]
.LBB112_65:
	v_mov_b32_e32 v17, 0
	ds_read_b128 v[9:12], v17
	s_mov_b64 s[8:9], exec
	s_lshl_b64 s[2:3], s[36:37], 4
	v_mbcnt_lo_u32_b32 v13, s8, 0
	s_add_u32 s2, s22, s2
	v_mbcnt_hi_u32_b32 v13, s9, v13
	s_addc_u32 s3, s23, s3
	v_cmp_eq_u32_e32 vcc, 0, v13
	s_and_saveexec_b64 s[6:7], vcc
	s_cbranch_execz .LBB112_68
; %bb.66:
	global_load_dwordx2 v[15:16], v17, s[2:3]
	s_bcnt1_i32_b64 s8, s[8:9]
	v_cvt_f64_u32_e32 v[13:14], s8
	s_mov_b64 s[8:9], 0
	s_waitcnt lgkmcnt(0)
	v_mul_f64 v[9:10], v[9:10], v[13:14]
.LBB112_67:                             ; =>This Inner Loop Header: Depth=1
	s_waitcnt vmcnt(0)
	v_add_f64 v[13:14], v[15:16], v[9:10]
	global_atomic_cmpswap_x2 v[13:14], v17, v[13:16], s[2:3] glc
	s_waitcnt vmcnt(0)
	v_cmp_eq_u64_e32 vcc, v[13:14], v[15:16]
	v_mov_b32_e32 v16, v14
	s_or_b64 s[8:9], vcc, s[8:9]
	v_mov_b32_e32 v15, v13
	s_andn2_b64 exec, exec, s[8:9]
	s_cbranch_execnz .LBB112_67
.LBB112_68:
	s_or_b64 exec, exec, s[6:7]
	s_mov_b64 s[6:7], exec
	s_waitcnt lgkmcnt(0)
	v_mbcnt_lo_u32_b32 v9, s6, 0
	v_mbcnt_hi_u32_b32 v9, s7, v9
	v_cmp_eq_u32_e32 vcc, 0, v9
	s_and_b64 s[8:9], exec, vcc
	s_mov_b64 exec, s[8:9]
	s_cbranch_execz .LBB112_71
; %bb.69:
	v_mov_b32_e32 v15, 0
	global_load_dwordx2 v[13:14], v15, s[2:3] offset:8
	s_bcnt1_i32_b64 s6, s[6:7]
	v_cvt_f64_u32_e32 v[9:10], s6
	s_mov_b64 s[6:7], 0
	v_mul_f64 v[9:10], v[11:12], v[9:10]
.LBB112_70:                             ; =>This Inner Loop Header: Depth=1
	s_waitcnt vmcnt(0)
	v_add_f64 v[11:12], v[13:14], v[9:10]
	global_atomic_cmpswap_x2 v[11:12], v15, v[11:14], s[2:3] offset:8 glc
	s_waitcnt vmcnt(0)
	v_cmp_eq_u64_e32 vcc, v[11:12], v[13:14]
	v_mov_b32_e32 v14, v12
	s_or_b64 s[6:7], vcc, s[6:7]
	v_mov_b32_e32 v13, v11
	s_andn2_b64 exec, exec, s[6:7]
	s_cbranch_execnz .LBB112_70
.LBB112_71:
	s_or_b64 exec, exec, s[0:1]
.LBB112_72:
	s_mov_b64 s[0:1], 0
.LBB112_73:
	s_andn2_b64 vcc, exec, s[0:1]
	s_cbranch_vccnz .LBB112_117
; %bb.74:
	s_load_dwordx2 s[0:1], s[4:5], 0x8
	v_subrev_co_u32_e32 v9, vcc, s42, v0
	v_subb_co_u32_e64 v10, s[2:3], 0, 0, vcc
	s_waitcnt lgkmcnt(0)
	v_mov_b32_e32 v11, s35
	v_add_co_u32_e32 v9, vcc, s34, v9
	v_addc_co_u32_e32 v10, vcc, v11, v10, vcc
	v_add_co_u32_e32 v11, vcc, 0x300, v9
	v_addc_co_u32_e32 v12, vcc, 0, v10, vcc
	v_cmp_le_i64_e32 vcc, s[0:1], v[11:12]
	s_and_saveexec_b64 s[0:1], vcc
	s_xor_b64 s[2:3], exec, s[0:1]
	s_cbranch_execz .LBB112_79
; %bb.75:
	s_lshl_b64 s[0:1], s[38:39], 3
	s_add_u32 s0, s24, s0
	s_addc_u32 s1, s25, s1
	s_load_dwordx2 s[0:1], s[0:1], 0x0
	s_waitcnt lgkmcnt(0)
	s_sub_u32 s4, s0, s42
	s_subb_u32 s5, s1, 0
	v_cmp_gt_i64_e32 vcc, s[4:5], v[9:10]
	s_and_saveexec_b64 s[6:7], vcc
	s_cbranch_execz .LBB112_78
; %bb.76:
	v_lshlrev_b64 v[11:12], 3, v[9:10]
	v_mov_b32_e32 v13, s29
	v_add_co_u32_e32 v11, vcc, s28, v11
	v_addc_co_u32_e32 v12, vcc, v13, v12, vcc
	v_add_co_u32_e32 v11, vcc, 4, v11
	v_lshlrev_b64 v[13:14], 2, v[9:10]
	v_addc_co_u32_e32 v12, vcc, 0, v12, vcc
	v_mov_b32_e32 v16, s27
	v_add_co_u32_e32 v13, vcc, s26, v13
	v_lshlrev_b32_e32 v15, 4, v0
	v_addc_co_u32_e32 v14, vcc, v16, v14, vcc
	s_mov_b64 s[8:9], 0
	v_mov_b32_e32 v16, s31
	s_movk_i32 s10, 0x100
.LBB112_77:                             ; =>This Inner Loop Header: Depth=1
	global_load_dword v17, v[13:14], off
	global_load_dwordx2 v[21:22], v[11:12], off offset:-4
	s_waitcnt vmcnt(1)
	v_subrev_u32_e32 v17, s42, v17
	v_ashrrev_i32_e32 v18, 31, v17
	v_lshlrev_b64 v[17:18], 4, v[17:18]
	s_waitcnt vmcnt(0)
	v_cndmask_b32_e64 v22, v22, -v22, s[44:45]
	v_add_co_u32_e32 v17, vcc, s30, v17
	v_addc_co_u32_e32 v18, vcc, v16, v18, vcc
	global_load_dwordx4 v[17:20], v[17:18], off
	v_cvt_f64_f32_e32 v[22:23], v22
	v_cvt_f64_f32_e32 v[26:27], v21
	v_add_co_u32_e32 v9, vcc, s10, v9
	v_mul_f64 v[24:25], v[5:6], v[22:23]
	v_mul_f64 v[22:23], -v[7:8], v[22:23]
	v_addc_co_u32_e32 v10, vcc, 0, v10, vcc
	v_add_co_u32_e32 v11, vcc, 0x800, v11
	v_addc_co_u32_e32 v12, vcc, 0, v12, vcc
	v_fma_f64 v[24:25], v[7:8], v[26:27], v[24:25]
	v_fma_f64 v[21:22], v[5:6], v[26:27], v[22:23]
	v_cmp_le_i64_e64 s[0:1], s[4:5], v[9:10]
	v_add_co_u32_e32 v13, vcc, 0x400, v13
	v_addc_co_u32_e32 v14, vcc, 0, v14, vcc
	s_or_b64 s[8:9], s[0:1], s[8:9]
	s_waitcnt vmcnt(0)
	v_mul_f64 v[26:27], v[19:20], -v[24:25]
	v_mul_f64 v[28:29], v[19:20], v[21:22]
	v_fma_f64 v[19:20], v[21:22], v[17:18], v[26:27]
	v_fma_f64 v[21:22], v[24:25], v[17:18], v[28:29]
	ds_write_b128 v15, v[19:22]
	v_add_u32_e32 v15, 0x1000, v15
	s_andn2_b64 exec, exec, s[8:9]
	s_cbranch_execnz .LBB112_77
.LBB112_78:
	s_or_b64 exec, exec, s[6:7]
                                        ; implicit-def: $vgpr9_vgpr10
                                        ; implicit-def: $vgpr7_vgpr8
.LBB112_79:
	s_or_saveexec_b64 s[0:1], s[2:3]
	v_lshlrev_b32_e32 v15, 4, v0
	s_xor_b64 exec, exec, s[0:1]
	s_cbranch_execz .LBB112_81
; %bb.80:
	v_lshlrev_b64 v[11:12], 2, v[9:10]
	v_mov_b32_e32 v13, s27
	v_add_co_u32_e32 v11, vcc, s26, v11
	v_addc_co_u32_e32 v12, vcc, v13, v12, vcc
	global_load_dword v16, v[11:12], off
	global_load_dword v17, v[11:12], off offset:1024
	global_load_dword v18, v[11:12], off offset:2048
	;; [unrolled: 1-line block ×3, first 2 shown]
	v_lshlrev_b64 v[9:10], 3, v[9:10]
	v_mov_b32_e32 v11, s29
	v_add_co_u32_e32 v9, vcc, s28, v9
	s_movk_i32 s2, 0x1000
	v_addc_co_u32_e32 v10, vcc, v11, v10, vcc
	global_load_dwordx2 v[13:14], v[9:10], off
	global_load_dwordx2 v[28:29], v[9:10], off offset:2048
	v_add_co_u32_e32 v9, vcc, s2, v9
	v_addc_co_u32_e32 v10, vcc, 0, v10, vcc
	global_load_dwordx2 v[30:31], v[9:10], off
	global_load_dwordx2 v[32:33], v[9:10], off offset:2048
	v_mov_b32_e32 v20, s31
	v_mov_b32_e32 v21, s31
	;; [unrolled: 1-line block ×4, first 2 shown]
	s_waitcnt vmcnt(7)
	v_subrev_u32_e32 v9, s42, v16
	v_ashrrev_i32_e32 v10, 31, v9
	s_waitcnt vmcnt(6)
	v_subrev_u32_e32 v11, s42, v17
	v_lshlrev_b64 v[9:10], 4, v[9:10]
	v_ashrrev_i32_e32 v12, 31, v11
	s_waitcnt vmcnt(5)
	v_subrev_u32_e32 v16, s42, v18
	v_lshlrev_b64 v[11:12], 4, v[11:12]
	v_add_co_u32_e32 v26, vcc, s30, v9
	v_ashrrev_i32_e32 v17, 31, v16
	v_addc_co_u32_e32 v27, vcc, v20, v10, vcc
	s_waitcnt vmcnt(4)
	v_subrev_u32_e32 v18, s42, v19
	v_lshlrev_b64 v[16:17], 4, v[16:17]
	v_add_co_u32_e32 v34, vcc, s30, v11
	v_ashrrev_i32_e32 v19, 31, v18
	v_addc_co_u32_e32 v35, vcc, v21, v12, vcc
	v_lshlrev_b64 v[24:25], 4, v[18:19]
	v_add_co_u32_e32 v36, vcc, s30, v16
	v_addc_co_u32_e32 v37, vcc, v22, v17, vcc
	v_add_co_u32_e32 v24, vcc, s30, v24
	global_load_dwordx4 v[9:12], v[26:27], off
	global_load_dwordx4 v[16:19], v[34:35], off
	;; [unrolled: 1-line block ×3, first 2 shown]
	v_addc_co_u32_e32 v25, vcc, v38, v25, vcc
	global_load_dwordx4 v[24:27], v[24:25], off
	s_waitcnt vmcnt(7)
	v_cndmask_b32_e64 v34, v14, -v14, s[44:45]
	s_waitcnt vmcnt(6)
	v_cndmask_b32_e64 v36, v29, -v29, s[44:45]
	v_cvt_f64_f32_e32 v[34:35], v34
	v_cvt_f64_f32_e32 v[36:37], v36
	s_waitcnt vmcnt(5)
	v_cndmask_b32_e64 v38, v31, -v31, s[44:45]
	s_waitcnt vmcnt(4)
	v_cndmask_b32_e64 v40, v33, -v33, s[44:45]
	v_cvt_f64_f32_e32 v[38:39], v38
	v_cvt_f64_f32_e32 v[40:41], v40
	v_mul_f64 v[42:43], v[5:6], v[34:35]
	v_mul_f64 v[34:35], -v[7:8], v[34:35]
	v_mul_f64 v[44:45], v[5:6], v[36:37]
	v_mul_f64 v[36:37], -v[7:8], v[36:37]
	;; [unrolled: 2-line block ×4, first 2 shown]
	v_cvt_f64_f32_e32 v[13:14], v13
	v_cvt_f64_f32_e32 v[28:29], v28
	;; [unrolled: 1-line block ×4, first 2 shown]
	v_fma_f64 v[42:43], v[7:8], v[13:14], v[42:43]
	v_fma_f64 v[13:14], v[5:6], v[13:14], v[34:35]
	;; [unrolled: 1-line block ×8, first 2 shown]
	s_waitcnt vmcnt(3)
	v_mul_f64 v[5:6], v[11:12], -v[42:43]
	v_mul_f64 v[7:8], v[11:12], v[13:14]
	s_waitcnt vmcnt(2)
	v_mul_f64 v[11:12], v[18:19], -v[34:35]
	v_mul_f64 v[18:19], v[18:19], v[28:29]
	;; [unrolled: 3-line block ×4, first 2 shown]
	v_fma_f64 v[5:6], v[13:14], v[9:10], v[5:6]
	v_fma_f64 v[7:8], v[42:43], v[9:10], v[7:8]
	v_fma_f64 v[9:10], v[28:29], v[16:17], v[11:12]
	v_fma_f64 v[11:12], v[34:35], v[16:17], v[18:19]
	v_fma_f64 v[16:17], v[30:31], v[20:21], v[40:41]
	v_fma_f64 v[18:19], v[36:37], v[20:21], v[22:23]
	v_fma_f64 v[20:21], v[32:33], v[24:25], v[44:45]
	v_fma_f64 v[22:23], v[38:39], v[24:25], v[26:27]
	ds_write_b128 v15, v[5:8]
	ds_write_b128 v15, v[9:12] offset:4096
	ds_write_b128 v15, v[16:19] offset:8192
	;; [unrolled: 1-line block ×3, first 2 shown]
.LBB112_81:
	s_or_b64 exec, exec, s[0:1]
	s_cmp_lt_i32 s33, 2
	s_mov_b64 s[0:1], -1
	s_waitcnt vmcnt(0) lgkmcnt(0)
	s_barrier
	s_cbranch_scc0 .LBB112_92
; %bb.82:
	v_mov_b32_e32 v5, s37
	v_add_co_u32_e32 v13, vcc, s36, v0
	v_addc_co_u32_e32 v14, vcc, 0, v5, vcc
	v_cmp_gt_i64_e32 vcc, s[38:39], v[13:14]
	s_and_saveexec_b64 s[2:3], vcc
	s_cbranch_execz .LBB112_91
; %bb.83:
	v_cmp_neq_f64_e32 vcc, 0, v[1:2]
	v_cmp_neq_f64_e64 s[0:1], 0, v[3:4]
	s_lshl_b32 s6, s34, 4
	s_mov_b64 s[4:5], 0
	v_mov_b32_e32 v16, s25
	s_sub_i32 s10, 0, s6
	v_mov_b32_e32 v17, s23
	s_or_b64 s[6:7], vcc, s[0:1]
	s_branch .LBB112_85
.LBB112_84:                             ;   in Loop: Header=BB112_85 Depth=1
	s_or_b64 exec, exec, s[0:1]
	v_add_co_u32_e32 v13, vcc, 0x100, v13
	v_addc_co_u32_e32 v14, vcc, 0, v14, vcc
	v_cmp_le_i64_e32 vcc, s[38:39], v[13:14]
	v_add_co_u32_e64 v9, s[0:1], s22, v9
	v_addc_co_u32_e64 v10, s[0:1], v17, v10, s[0:1]
	s_or_b64 s[4:5], vcc, s[4:5]
	global_store_dwordx4 v[9:10], v[5:8], off
	s_andn2_b64 exec, exec, s[4:5]
	s_cbranch_execz .LBB112_91
.LBB112_85:                             ; =>This Loop Header: Depth=1
                                        ;     Child Loop BB112_87 Depth 2
	v_lshlrev_b64 v[5:6], 3, v[13:14]
	v_mov_b32_e32 v7, 0
	v_add_co_u32_e32 v5, vcc, s24, v5
	v_addc_co_u32_e32 v6, vcc, v16, v6, vcc
	global_load_dwordx4 v[9:12], v[5:6], off
	v_mov_b32_e32 v5, 0
	v_mov_b32_e32 v8, 0
	;; [unrolled: 1-line block ×3, first 2 shown]
	s_waitcnt vmcnt(0)
	v_subrev_u32_e32 v10, s34, v9
	v_subrev_u32_e32 v11, s34, v11
	v_cmp_lt_i32_e32 vcc, v10, v11
	s_and_saveexec_b64 s[0:1], vcc
	s_cbranch_execz .LBB112_89
; %bb.86:                               ;   in Loop: Header=BB112_85 Depth=1
	v_mov_b32_e32 v7, 0
	v_mov_b32_e32 v8, 0
	;; [unrolled: 1-line block ×3, first 2 shown]
	v_lshl_add_u32 v9, v9, 4, s10
	s_mov_b64 s[8:9], 0
	v_mov_b32_e32 v6, v8
.LBB112_87:                             ;   Parent Loop BB112_85 Depth=1
                                        ; =>  This Inner Loop Header: Depth=2
	ds_read_b128 v[18:21], v9
	v_add_u32_e32 v10, 1, v10
	v_cmp_ge_i32_e32 vcc, v10, v11
	s_or_b64 s[8:9], vcc, s[8:9]
	v_add_u32_e32 v9, 16, v9
	s_waitcnt lgkmcnt(0)
	v_add_f64 v[5:6], v[5:6], v[18:19]
	v_add_f64 v[7:8], v[7:8], v[20:21]
	s_andn2_b64 exec, exec, s[8:9]
	s_cbranch_execnz .LBB112_87
; %bb.88:                               ;   in Loop: Header=BB112_85 Depth=1
	s_or_b64 exec, exec, s[8:9]
.LBB112_89:                             ;   in Loop: Header=BB112_85 Depth=1
	s_or_b64 exec, exec, s[0:1]
	v_lshlrev_b64 v[9:10], 4, v[13:14]
	s_and_saveexec_b64 s[0:1], s[6:7]
	s_cbranch_execz .LBB112_84
; %bb.90:                               ;   in Loop: Header=BB112_85 Depth=1
	v_mov_b32_e32 v12, s23
	v_add_co_u32_e32 v11, vcc, s22, v9
	v_addc_co_u32_e32 v12, vcc, v12, v10, vcc
	global_load_dwordx4 v[18:21], v[11:12], off
	s_waitcnt vmcnt(0)
	v_fma_f64 v[5:6], v[1:2], v[18:19], v[5:6]
	v_fma_f64 v[7:8], v[3:4], v[18:19], v[7:8]
	v_fma_f64 v[5:6], -v[3:4], v[20:21], v[5:6]
	v_fma_f64 v[7:8], v[1:2], v[20:21], v[7:8]
	s_branch .LBB112_84
.LBB112_91:
	s_or_b64 exec, exec, s[2:3]
	s_mov_b64 s[0:1], 0
.LBB112_92:
	s_andn2_b64 vcc, exec, s[0:1]
	s_cbranch_vccnz .LBB112_117
; %bb.93:
	s_flbit_i32_b32 s0, s33
	s_xor_b32 s0, s0, 31
	v_lshrrev_b32_e32 v11, s0, v0
	v_mov_b32_e32 v5, s37
	v_add_co_u32_e32 v9, vcc, s36, v11
	v_addc_co_u32_e32 v10, vcc, 0, v5, vcc
	v_mov_b32_e32 v5, 0
	s_add_i32 s0, s33, -1
	v_mov_b32_e32 v6, 0
	v_and_b32_e32 v0, s0, v0
	v_cmp_le_i64_e32 vcc, s[38:39], v[9:10]
	v_cmp_gt_i64_e64 s[0:1], s[38:39], v[9:10]
	v_mov_b32_e32 v8, v6
	v_mov_b32_e32 v7, v5
	s_and_saveexec_b64 s[2:3], s[0:1]
	s_cbranch_execz .LBB112_99
; %bb.94:
	v_lshlrev_b32_e32 v5, 3, v11
	global_load_dword v6, v5, s[40:41] offset:8
	global_load_dword v12, v5, s[40:41]
	v_mov_b32_e32 v7, 0
	v_mov_b32_e32 v8, 0
	s_waitcnt vmcnt(1)
	v_subrev_u32_e32 v11, s34, v6
	s_waitcnt vmcnt(0)
	v_subrev_u32_e32 v5, s34, v12
	v_add_u32_e32 v12, v0, v5
	v_mov_b32_e32 v5, 0
	v_mov_b32_e32 v6, 0
	v_cmp_lt_i32_e64 s[0:1], v12, v11
	s_and_saveexec_b64 s[4:5], s[0:1]
	s_cbranch_execz .LBB112_98
; %bb.95:
	v_mov_b32_e32 v7, 0
	v_mov_b32_e32 v8, 0
	;; [unrolled: 1-line block ×3, first 2 shown]
	v_lshlrev_b32_e32 v13, 4, v12
	s_lshl_b32 s8, s33, 4
	s_mov_b64 s[6:7], 0
	v_mov_b32_e32 v6, v8
.LBB112_96:                             ; =>This Inner Loop Header: Depth=1
	ds_read_b128 v[16:19], v13
	v_add_u32_e32 v12, s33, v12
	v_cmp_ge_i32_e64 s[0:1], v12, v11
	s_or_b64 s[6:7], s[0:1], s[6:7]
	v_add_u32_e32 v13, s8, v13
	s_waitcnt lgkmcnt(0)
	v_add_f64 v[5:6], v[5:6], v[16:17]
	v_add_f64 v[7:8], v[7:8], v[18:19]
	s_andn2_b64 exec, exec, s[6:7]
	s_cbranch_execnz .LBB112_96
; %bb.97:
	s_or_b64 exec, exec, s[6:7]
.LBB112_98:
	s_or_b64 exec, exec, s[4:5]
.LBB112_99:
	s_or_b64 exec, exec, s[2:3]
	s_cmpk_lt_u32 s33, 0x81
	s_waitcnt vmcnt(0)
	s_barrier
	ds_write_b128 v15, v[5:8]
	s_waitcnt lgkmcnt(0)
	s_barrier
	s_cbranch_scc1 .LBB112_101
; %bb.100:
	ds_read_b128 v[11:14], v15 offset:2048
	s_waitcnt lgkmcnt(0)
	s_barrier
	v_add_f64 v[5:6], v[5:6], v[11:12]
	v_add_f64 v[7:8], v[7:8], v[13:14]
	ds_write_b128 v15, v[5:8]
.LBB112_101:
	s_cmpk_lt_u32 s33, 0x41
	s_waitcnt lgkmcnt(0)
	s_barrier
	s_cbranch_scc1 .LBB112_103
; %bb.102:
	ds_read_b128 v[11:14], v15 offset:1024
	s_waitcnt lgkmcnt(0)
	s_barrier
	v_add_f64 v[5:6], v[5:6], v[11:12]
	v_add_f64 v[7:8], v[7:8], v[13:14]
	ds_write_b128 v15, v[5:8]
.LBB112_103:
	s_cmp_lt_u32 s33, 33
	s_waitcnt lgkmcnt(0)
	s_barrier
	s_cbranch_scc1 .LBB112_105
; %bb.104:
	ds_read_b128 v[11:14], v15 offset:512
	s_waitcnt lgkmcnt(0)
	s_barrier
	v_add_f64 v[5:6], v[5:6], v[11:12]
	v_add_f64 v[7:8], v[7:8], v[13:14]
	ds_write_b128 v15, v[5:8]
.LBB112_105:
	s_cmp_lt_u32 s33, 17
	;; [unrolled: 12-line block ×4, first 2 shown]
	s_waitcnt lgkmcnt(0)
	s_barrier
	s_cbranch_scc1 .LBB112_111
; %bb.110:
	ds_read_b128 v[11:14], v15 offset:64
	s_waitcnt lgkmcnt(0)
	s_barrier
	v_add_f64 v[5:6], v[5:6], v[11:12]
	v_add_f64 v[7:8], v[7:8], v[13:14]
	ds_write_b128 v15, v[5:8]
.LBB112_111:
	s_cmp_eq_u32 s33, 2
	s_waitcnt lgkmcnt(0)
	s_barrier
	s_cbranch_scc1 .LBB112_113
; %bb.112:
	ds_read_b128 v[11:14], v15 offset:32
	s_waitcnt lgkmcnt(0)
	s_barrier
	v_add_f64 v[5:6], v[5:6], v[11:12]
	v_add_f64 v[7:8], v[7:8], v[13:14]
	ds_write_b128 v15, v[5:8]
.LBB112_113:
	s_waitcnt lgkmcnt(0)
	s_barrier
	ds_read_b128 v[11:14], v15 offset:16
	v_cmp_eq_u32_e64 s[0:1], 0, v0
	s_xor_b64 s[2:3], vcc, -1
	s_and_b64 s[0:1], s[0:1], s[2:3]
	s_waitcnt lgkmcnt(0)
	v_add_f64 v[5:6], v[5:6], v[11:12]
	v_add_f64 v[7:8], v[7:8], v[13:14]
	s_barrier
	ds_write_b128 v15, v[5:8]
	s_and_b64 exec, exec, s[0:1]
	s_cbranch_execz .LBB112_117
; %bb.114:
	v_cmp_neq_f64_e32 vcc, 0, v[1:2]
	v_cmp_neq_f64_e64 s[0:1], 0, v[3:4]
	v_lshlrev_b64 v[9:10], 4, v[9:10]
	s_or_b64 s[2:3], vcc, s[0:1]
	s_and_saveexec_b64 s[0:1], s[2:3]
	s_cbranch_execz .LBB112_116
; %bb.115:
	v_mov_b32_e32 v0, s23
	v_add_co_u32_e32 v11, vcc, s22, v9
	v_addc_co_u32_e32 v12, vcc, v0, v10, vcc
	global_load_dwordx4 v[11:14], v[11:12], off
	s_waitcnt vmcnt(0)
	v_fma_f64 v[5:6], v[1:2], v[11:12], v[5:6]
	v_fma_f64 v[7:8], v[3:4], v[11:12], v[7:8]
	v_fma_f64 v[5:6], -v[3:4], v[13:14], v[5:6]
	v_fma_f64 v[7:8], v[1:2], v[13:14], v[7:8]
.LBB112_116:
	s_or_b64 exec, exec, s[0:1]
	v_mov_b32_e32 v1, s23
	v_add_co_u32_e32 v0, vcc, s22, v9
	v_addc_co_u32_e32 v1, vcc, v1, v10, vcc
	global_store_dwordx4 v[0:1], v[5:8], off
.LBB112_117:
	s_endpgm
	.section	.rodata,"a",@progbits
	.p2align	6, 0x0
	.amdhsa_kernel _ZN9rocsparseL22csrmvn_adaptive_kernelIli21rocsparse_complex_numIfES1_IdES3_S3_EEvbT_PKS4_PjPKT0_NS_24const_host_device_scalarIT4_EES6_SA_PKT1_PKT2_SD_PT3_21rocsparse_index_base_b
		.amdhsa_group_segment_fixed_size 16384
		.amdhsa_private_segment_fixed_size 0
		.amdhsa_kernarg_size 120
		.amdhsa_user_sgpr_count 6
		.amdhsa_user_sgpr_private_segment_buffer 1
		.amdhsa_user_sgpr_dispatch_ptr 0
		.amdhsa_user_sgpr_queue_ptr 0
		.amdhsa_user_sgpr_kernarg_segment_ptr 1
		.amdhsa_user_sgpr_dispatch_id 0
		.amdhsa_user_sgpr_flat_scratch_init 0
		.amdhsa_user_sgpr_private_segment_size 0
		.amdhsa_uses_dynamic_stack 0
		.amdhsa_system_sgpr_private_segment_wavefront_offset 0
		.amdhsa_system_sgpr_workgroup_id_x 1
		.amdhsa_system_sgpr_workgroup_id_y 0
		.amdhsa_system_sgpr_workgroup_id_z 0
		.amdhsa_system_sgpr_workgroup_info 0
		.amdhsa_system_vgpr_workitem_id 0
		.amdhsa_next_free_vgpr 50
		.amdhsa_next_free_sgpr 98
		.amdhsa_reserve_vcc 1
		.amdhsa_reserve_flat_scratch 0
		.amdhsa_float_round_mode_32 0
		.amdhsa_float_round_mode_16_64 0
		.amdhsa_float_denorm_mode_32 3
		.amdhsa_float_denorm_mode_16_64 3
		.amdhsa_dx10_clamp 1
		.amdhsa_ieee_mode 1
		.amdhsa_fp16_overflow 0
		.amdhsa_exception_fp_ieee_invalid_op 0
		.amdhsa_exception_fp_denorm_src 0
		.amdhsa_exception_fp_ieee_div_zero 0
		.amdhsa_exception_fp_ieee_overflow 0
		.amdhsa_exception_fp_ieee_underflow 0
		.amdhsa_exception_fp_ieee_inexact 0
		.amdhsa_exception_int_div_zero 0
	.end_amdhsa_kernel
	.section	.text._ZN9rocsparseL22csrmvn_adaptive_kernelIli21rocsparse_complex_numIfES1_IdES3_S3_EEvbT_PKS4_PjPKT0_NS_24const_host_device_scalarIT4_EES6_SA_PKT1_PKT2_SD_PT3_21rocsparse_index_base_b,"axG",@progbits,_ZN9rocsparseL22csrmvn_adaptive_kernelIli21rocsparse_complex_numIfES1_IdES3_S3_EEvbT_PKS4_PjPKT0_NS_24const_host_device_scalarIT4_EES6_SA_PKT1_PKT2_SD_PT3_21rocsparse_index_base_b,comdat
.Lfunc_end112:
	.size	_ZN9rocsparseL22csrmvn_adaptive_kernelIli21rocsparse_complex_numIfES1_IdES3_S3_EEvbT_PKS4_PjPKT0_NS_24const_host_device_scalarIT4_EES6_SA_PKT1_PKT2_SD_PT3_21rocsparse_index_base_b, .Lfunc_end112-_ZN9rocsparseL22csrmvn_adaptive_kernelIli21rocsparse_complex_numIfES1_IdES3_S3_EEvbT_PKS4_PjPKT0_NS_24const_host_device_scalarIT4_EES6_SA_PKT1_PKT2_SD_PT3_21rocsparse_index_base_b
                                        ; -- End function
	.set _ZN9rocsparseL22csrmvn_adaptive_kernelIli21rocsparse_complex_numIfES1_IdES3_S3_EEvbT_PKS4_PjPKT0_NS_24const_host_device_scalarIT4_EES6_SA_PKT1_PKT2_SD_PT3_21rocsparse_index_base_b.num_vgpr, 50
	.set _ZN9rocsparseL22csrmvn_adaptive_kernelIli21rocsparse_complex_numIfES1_IdES3_S3_EEvbT_PKS4_PjPKT0_NS_24const_host_device_scalarIT4_EES6_SA_PKT1_PKT2_SD_PT3_21rocsparse_index_base_b.num_agpr, 0
	.set _ZN9rocsparseL22csrmvn_adaptive_kernelIli21rocsparse_complex_numIfES1_IdES3_S3_EEvbT_PKS4_PjPKT0_NS_24const_host_device_scalarIT4_EES6_SA_PKT1_PKT2_SD_PT3_21rocsparse_index_base_b.numbered_sgpr, 64
	.set _ZN9rocsparseL22csrmvn_adaptive_kernelIli21rocsparse_complex_numIfES1_IdES3_S3_EEvbT_PKS4_PjPKT0_NS_24const_host_device_scalarIT4_EES6_SA_PKT1_PKT2_SD_PT3_21rocsparse_index_base_b.num_named_barrier, 0
	.set _ZN9rocsparseL22csrmvn_adaptive_kernelIli21rocsparse_complex_numIfES1_IdES3_S3_EEvbT_PKS4_PjPKT0_NS_24const_host_device_scalarIT4_EES6_SA_PKT1_PKT2_SD_PT3_21rocsparse_index_base_b.private_seg_size, 0
	.set _ZN9rocsparseL22csrmvn_adaptive_kernelIli21rocsparse_complex_numIfES1_IdES3_S3_EEvbT_PKS4_PjPKT0_NS_24const_host_device_scalarIT4_EES6_SA_PKT1_PKT2_SD_PT3_21rocsparse_index_base_b.uses_vcc, 1
	.set _ZN9rocsparseL22csrmvn_adaptive_kernelIli21rocsparse_complex_numIfES1_IdES3_S3_EEvbT_PKS4_PjPKT0_NS_24const_host_device_scalarIT4_EES6_SA_PKT1_PKT2_SD_PT3_21rocsparse_index_base_b.uses_flat_scratch, 0
	.set _ZN9rocsparseL22csrmvn_adaptive_kernelIli21rocsparse_complex_numIfES1_IdES3_S3_EEvbT_PKS4_PjPKT0_NS_24const_host_device_scalarIT4_EES6_SA_PKT1_PKT2_SD_PT3_21rocsparse_index_base_b.has_dyn_sized_stack, 0
	.set _ZN9rocsparseL22csrmvn_adaptive_kernelIli21rocsparse_complex_numIfES1_IdES3_S3_EEvbT_PKS4_PjPKT0_NS_24const_host_device_scalarIT4_EES6_SA_PKT1_PKT2_SD_PT3_21rocsparse_index_base_b.has_recursion, 0
	.set _ZN9rocsparseL22csrmvn_adaptive_kernelIli21rocsparse_complex_numIfES1_IdES3_S3_EEvbT_PKS4_PjPKT0_NS_24const_host_device_scalarIT4_EES6_SA_PKT1_PKT2_SD_PT3_21rocsparse_index_base_b.has_indirect_call, 0
	.section	.AMDGPU.csdata,"",@progbits
; Kernel info:
; codeLenInByte = 5340
; TotalNumSgprs: 68
; NumVgprs: 50
; ScratchSize: 0
; MemoryBound: 0
; FloatMode: 240
; IeeeMode: 1
; LDSByteSize: 16384 bytes/workgroup (compile time only)
; SGPRBlocks: 12
; VGPRBlocks: 12
; NumSGPRsForWavesPerEU: 102
; NumVGPRsForWavesPerEU: 50
; Occupancy: 4
; WaveLimiterHint : 1
; COMPUTE_PGM_RSRC2:SCRATCH_EN: 0
; COMPUTE_PGM_RSRC2:USER_SGPR: 6
; COMPUTE_PGM_RSRC2:TRAP_HANDLER: 0
; COMPUTE_PGM_RSRC2:TGID_X_EN: 1
; COMPUTE_PGM_RSRC2:TGID_Y_EN: 0
; COMPUTE_PGM_RSRC2:TGID_Z_EN: 0
; COMPUTE_PGM_RSRC2:TIDIG_COMP_CNT: 0
	.section	.text._ZN9rocsparseL27csrmvn_symm_adaptive_kernelIli21rocsparse_complex_numIfES1_IdES3_S3_EEvbT_S4_PKS4_NS_24const_host_device_scalarIT4_EES6_PKT0_PKT1_PKT2_S9_PT3_21rocsparse_index_base_b,"axG",@progbits,_ZN9rocsparseL27csrmvn_symm_adaptive_kernelIli21rocsparse_complex_numIfES1_IdES3_S3_EEvbT_S4_PKS4_NS_24const_host_device_scalarIT4_EES6_PKT0_PKT1_PKT2_S9_PT3_21rocsparse_index_base_b,comdat
	.globl	_ZN9rocsparseL27csrmvn_symm_adaptive_kernelIli21rocsparse_complex_numIfES1_IdES3_S3_EEvbT_S4_PKS4_NS_24const_host_device_scalarIT4_EES6_PKT0_PKT1_PKT2_S9_PT3_21rocsparse_index_base_b ; -- Begin function _ZN9rocsparseL27csrmvn_symm_adaptive_kernelIli21rocsparse_complex_numIfES1_IdES3_S3_EEvbT_S4_PKS4_NS_24const_host_device_scalarIT4_EES6_PKT0_PKT1_PKT2_S9_PT3_21rocsparse_index_base_b
	.p2align	8
	.type	_ZN9rocsparseL27csrmvn_symm_adaptive_kernelIli21rocsparse_complex_numIfES1_IdES3_S3_EEvbT_S4_PKS4_NS_24const_host_device_scalarIT4_EES6_PKT0_PKT1_PKT2_S9_PT3_21rocsparse_index_base_b,@function
_ZN9rocsparseL27csrmvn_symm_adaptive_kernelIli21rocsparse_complex_numIfES1_IdES3_S3_EEvbT_S4_PKS4_NS_24const_host_device_scalarIT4_EES6_PKT0_PKT1_PKT2_S9_PT3_21rocsparse_index_base_b: ; @_ZN9rocsparseL27csrmvn_symm_adaptive_kernelIli21rocsparse_complex_numIfES1_IdES3_S3_EEvbT_S4_PKS4_NS_24const_host_device_scalarIT4_EES6_PKT0_PKT1_PKT2_S9_PT3_21rocsparse_index_base_b
; %bb.0:
	s_load_dwordx2 s[30:31], s[4:5], 0x68
	s_load_dwordx2 s[0:1], s[4:5], 0x20
	s_add_u32 s7, s4, 32
	s_addc_u32 s10, s5, 0
	s_waitcnt lgkmcnt(0)
	s_bitcmp1_b32 s31, 0
	s_cselect_b64 s[8:9], -1, 0
	s_and_b64 s[2:3], s[8:9], exec
	s_cselect_b32 s1, s10, s1
	s_cselect_b32 s0, s7, s0
	v_mov_b32_e32 v1, s0
	v_mov_b32_e32 v2, s1
	flat_load_dwordx4 v[2:5], v[1:2]
	s_waitcnt vmcnt(0) lgkmcnt(0)
	v_cmp_eq_f64_e32 vcc, 0, v[2:3]
	v_cmp_eq_f64_e64 s[0:1], 0, v[4:5]
	s_and_b64 s[10:11], vcc, s[0:1]
	s_mov_b64 s[0:1], -1
	s_and_saveexec_b64 s[2:3], s[10:11]
	s_cbranch_execz .LBB113_2
; %bb.1:
	s_load_dwordx2 s[0:1], s[4:5], 0x50
	s_add_u32 s7, s4, 0x50
	s_addc_u32 s10, s5, 0
	s_and_b64 s[8:9], s[8:9], exec
	s_waitcnt lgkmcnt(0)
	s_cselect_b32 s1, s10, s1
	s_cselect_b32 s0, s7, s0
	v_mov_b32_e32 v6, s0
	v_mov_b32_e32 v7, s1
	flat_load_dwordx4 v[6:9], v[6:7]
	s_waitcnt vmcnt(0) lgkmcnt(0)
	v_cmp_neq_f64_e32 vcc, 1.0, v[6:7]
	v_cmp_neq_f64_e64 s[0:1], 0, v[8:9]
	s_or_b64 s[0:1], vcc, s[0:1]
	s_orn2_b64 s[0:1], s[0:1], exec
.LBB113_2:
	s_or_b64 exec, exec, s[2:3]
	s_and_saveexec_b64 s[2:3], s[0:1]
	s_cbranch_execz .LBB113_199
; %bb.3:
	s_load_dword s2, s[4:5], 0x0
	s_load_dwordx2 s[8:9], s[4:5], 0x18
	s_mov_b32 s0, 0
	s_mov_b32 s3, s0
	;; [unrolled: 1-line block ×3, first 2 shown]
	s_waitcnt lgkmcnt(0)
	s_bitcmp1_b32 s2, 0
	s_cselect_b64 s[38:39], -1, 0
	s_mov_b32 s2, s0
	v_mov_b32_e32 v9, s3
	s_ashr_i32 s7, s6, 31
	v_mov_b32_e32 v8, s2
	v_mov_b32_e32 v7, s1
	;; [unrolled: 1-line block ×3, first 2 shown]
	s_lshl_b64 s[0:1], s[6:7], 3
	s_add_u32 s0, s8, s0
	v_lshlrev_b32_e32 v26, 4, v0
	s_addc_u32 s1, s9, s1
	ds_write_b128 v26, v[6:9]
	ds_write_b128 v26, v[6:9] offset:4096
	ds_write_b128 v26, v[6:9] offset:8192
	;; [unrolled: 1-line block ×3, first 2 shown]
	s_waitcnt lgkmcnt(0)
	s_barrier
	s_load_dwordx4 s[24:27], s[0:1], 0x0
	s_load_dwordx2 s[14:15], s[4:5], 0x60
	s_load_dwordx8 s[16:23], s[4:5], 0x30
	s_mov_b64 s[0:1], -1
	s_waitcnt lgkmcnt(0)
	s_sub_u32 s28, s26, s24
	s_subb_u32 s29, s27, s25
	v_cmp_gt_i64_e64 s[2:3], s[28:29], 2
	s_and_b64 vcc, exec, s[2:3]
	s_cbranch_vccnz .LBB113_47
; %bb.4:
	v_mov_b32_e32 v6, s24
	v_mov_b32_e32 v7, s25
	v_cmp_le_i64_e32 vcc, s[26:27], v[6:7]
	v_subrev_co_u32_e64 v1, s[0:1], s30, v0
	v_mov_b32_e32 v19, 0
	v_subb_co_u32_e64 v18, s[0:1], 0, 0, s[0:1]
	s_cbranch_vccnz .LBB113_34
; %bb.5:
	s_movk_i32 s31, 0x100
	s_add_u32 s33, s20, 4
	v_mov_b32_e32 v14, s26
	v_cmp_gt_u32_e64 s[0:1], s31, v0
	v_cmp_gt_u32_e64 s[2:3], 64, v0
	;; [unrolled: 1-line block ×4, first 2 shown]
	v_cmp_eq_u32_e64 s[10:11], 0, v0
	s_addc_u32 s44, s21, 0
	v_mov_b32_e32 v15, s27
	s_mov_b64 s[34:35], s[24:25]
	s_branch .LBB113_7
.LBB113_6:                              ;   in Loop: Header=BB113_7 Depth=1
	s_or_b64 exec, exec, s[12:13]
	s_add_u32 s34, s34, 1
	s_addc_u32 s35, s35, 0
	v_cmp_ge_i64_e32 vcc, s[34:35], v[14:15]
	s_cbranch_vccnz .LBB113_34
.LBB113_7:                              ; =>This Loop Header: Depth=1
                                        ;     Child Loop BB113_9 Depth 2
                                        ;     Child Loop BB113_23 Depth 2
	;; [unrolled: 1-line block ×5, first 2 shown]
	s_lshl_b64 s[12:13], s[34:35], 3
	s_add_u32 s12, s16, s12
	s_addc_u32 s13, s17, s13
	s_load_dwordx4 s[40:43], s[12:13], 0x0
	v_mov_b32_e32 v8, 0
	v_mov_b32_e32 v9, 0
	s_waitcnt lgkmcnt(0)
	s_sub_u32 s36, s42, s30
	v_mov_b32_e32 v6, s41
	v_add_co_u32_e32 v10, vcc, s40, v1
	s_subb_u32 s37, s43, 0
	v_addc_co_u32_e32 v11, vcc, v6, v18, vcc
	v_cmp_gt_i64_e32 vcc, s[36:37], v[10:11]
	v_mov_b32_e32 v6, 0
	v_mov_b32_e32 v7, 0
	s_and_saveexec_b64 s[40:41], vcc
	s_cbranch_execz .LBB113_11
; %bb.8:                                ;   in Loop: Header=BB113_7 Depth=1
	v_lshlrev_b64 v[6:7], 2, v[10:11]
	v_mov_b32_e32 v8, s19
	v_add_co_u32_e32 v12, vcc, s18, v6
	v_addc_co_u32_e32 v13, vcc, v8, v7, vcc
	v_lshlrev_b64 v[6:7], 3, v[10:11]
	v_mov_b32_e32 v8, s44
	v_add_co_u32_e32 v16, vcc, s33, v6
	v_addc_co_u32_e32 v17, vcc, v8, v7, vcc
	v_mov_b32_e32 v8, 0
	v_mov_b32_e32 v9, 0
	;; [unrolled: 1-line block ×3, first 2 shown]
	s_mov_b64 s[42:43], 0
	v_mov_b32_e32 v7, v9
.LBB113_9:                              ;   Parent Loop BB113_7 Depth=1
                                        ; =>  This Inner Loop Header: Depth=2
	global_load_dword v20, v[12:13], off
	global_load_dwordx2 v[24:25], v[16:17], off offset:-4
	v_mov_b32_e32 v22, s23
	s_waitcnt vmcnt(1)
	v_subrev_u32_e32 v20, s30, v20
	v_ashrrev_i32_e32 v21, 31, v20
	v_lshlrev_b64 v[20:21], 4, v[20:21]
	s_waitcnt vmcnt(0)
	v_cndmask_b32_e64 v27, v25, -v25, s[38:39]
	v_add_co_u32_e32 v20, vcc, s22, v20
	v_addc_co_u32_e32 v21, vcc, v22, v21, vcc
	global_load_dwordx4 v[20:23], v[20:21], off
	v_cvt_f64_f32_e32 v[24:25], v24
	v_cvt_f64_f32_e32 v[27:28], v27
	v_add_co_u32_e32 v10, vcc, s31, v10
	v_addc_co_u32_e32 v11, vcc, 0, v11, vcc
	v_add_co_u32_e32 v12, vcc, 0x400, v12
	v_addc_co_u32_e32 v13, vcc, 0, v13, vcc
	v_cmp_le_i64_e64 s[12:13], s[36:37], v[10:11]
	v_add_co_u32_e32 v16, vcc, 0x800, v16
	s_or_b64 s[42:43], s[12:13], s[42:43]
	v_addc_co_u32_e32 v17, vcc, 0, v17, vcc
	s_waitcnt vmcnt(0)
	v_fma_f64 v[6:7], v[24:25], v[20:21], v[6:7]
	v_fma_f64 v[8:9], v[27:28], v[20:21], v[8:9]
	v_fma_f64 v[6:7], -v[27:28], v[22:23], v[6:7]
	v_fma_f64 v[8:9], v[24:25], v[22:23], v[8:9]
	s_andn2_b64 exec, exec, s[42:43]
	s_cbranch_execnz .LBB113_9
; %bb.10:                               ;   in Loop: Header=BB113_7 Depth=1
	s_or_b64 exec, exec, s[42:43]
.LBB113_11:                             ;   in Loop: Header=BB113_7 Depth=1
	s_or_b64 exec, exec, s[40:41]
	ds_write_b128 v26, v[6:9]
	s_waitcnt lgkmcnt(0)
	s_barrier
	s_and_saveexec_b64 s[12:13], s[0:1]
	s_cbranch_execz .LBB113_13
; %bb.12:                               ;   in Loop: Header=BB113_7 Depth=1
	ds_read_b128 v[6:9], v26 offset:4096
	ds_read_b128 v[10:13], v26 offset:8192
	ds_read_b128 v[20:23], v26 offset:12288
	ds_read_b128 v[27:30], v26
	s_waitcnt lgkmcnt(2)
	v_add_f64 v[6:7], v[10:11], v[6:7]
	v_add_f64 v[8:9], v[12:13], v[8:9]
	s_waitcnt lgkmcnt(1)
	v_add_f64 v[6:7], v[6:7], v[20:21]
	v_add_f64 v[8:9], v[8:9], v[22:23]
	s_waitcnt lgkmcnt(0)
	v_add_f64 v[6:7], v[6:7], v[27:28]
	v_add_f64 v[8:9], v[8:9], v[29:30]
	ds_write_b128 v26, v[6:9]
.LBB113_13:                             ;   in Loop: Header=BB113_7 Depth=1
	s_or_b64 exec, exec, s[12:13]
	s_waitcnt lgkmcnt(0)
	s_barrier
	s_and_saveexec_b64 s[12:13], s[2:3]
	s_cbranch_execz .LBB113_15
; %bb.14:                               ;   in Loop: Header=BB113_7 Depth=1
	ds_read_b128 v[6:9], v26 offset:1024
	ds_read_b128 v[10:13], v26 offset:2048
	ds_read_b128 v[20:23], v26 offset:3072
	ds_read_b128 v[27:30], v26
	s_waitcnt lgkmcnt(2)
	v_add_f64 v[6:7], v[10:11], v[6:7]
	v_add_f64 v[8:9], v[12:13], v[8:9]
	s_waitcnt lgkmcnt(1)
	v_add_f64 v[6:7], v[6:7], v[20:21]
	v_add_f64 v[8:9], v[8:9], v[22:23]
	s_waitcnt lgkmcnt(0)
	v_add_f64 v[6:7], v[6:7], v[27:28]
	v_add_f64 v[8:9], v[8:9], v[29:30]
	ds_write_b128 v26, v[6:9]
.LBB113_15:                             ;   in Loop: Header=BB113_7 Depth=1
	s_or_b64 exec, exec, s[12:13]
	s_waitcnt lgkmcnt(0)
	s_barrier
	s_and_saveexec_b64 s[12:13], s[6:7]
	s_cbranch_execz .LBB113_17
; %bb.16:                               ;   in Loop: Header=BB113_7 Depth=1
	ds_read_b128 v[6:9], v26 offset:256
	ds_read_b128 v[10:13], v26 offset:512
	ds_read_b128 v[20:23], v26 offset:768
	ds_read_b128 v[27:30], v26
	s_waitcnt lgkmcnt(2)
	v_add_f64 v[6:7], v[10:11], v[6:7]
	v_add_f64 v[8:9], v[12:13], v[8:9]
	s_waitcnt lgkmcnt(1)
	v_add_f64 v[6:7], v[6:7], v[20:21]
	v_add_f64 v[8:9], v[8:9], v[22:23]
	s_waitcnt lgkmcnt(0)
	v_add_f64 v[6:7], v[6:7], v[27:28]
	v_add_f64 v[8:9], v[8:9], v[29:30]
	ds_write_b128 v26, v[6:9]
.LBB113_17:                             ;   in Loop: Header=BB113_7 Depth=1
	s_or_b64 exec, exec, s[12:13]
	s_waitcnt lgkmcnt(0)
	s_barrier
	s_and_saveexec_b64 s[12:13], s[8:9]
	s_cbranch_execz .LBB113_19
; %bb.18:                               ;   in Loop: Header=BB113_7 Depth=1
	ds_read_b128 v[6:9], v26 offset:64
	ds_read_b128 v[10:13], v26 offset:128
	ds_read_b128 v[20:23], v26 offset:192
	ds_read_b128 v[27:30], v26
	s_waitcnt lgkmcnt(2)
	v_add_f64 v[6:7], v[10:11], v[6:7]
	v_add_f64 v[8:9], v[12:13], v[8:9]
	s_waitcnt lgkmcnt(1)
	v_add_f64 v[6:7], v[6:7], v[20:21]
	v_add_f64 v[8:9], v[8:9], v[22:23]
	s_waitcnt lgkmcnt(0)
	v_add_f64 v[6:7], v[6:7], v[27:28]
	v_add_f64 v[8:9], v[8:9], v[29:30]
	ds_write_b128 v26, v[6:9]
.LBB113_19:                             ;   in Loop: Header=BB113_7 Depth=1
	s_or_b64 exec, exec, s[12:13]
	s_waitcnt lgkmcnt(0)
	s_barrier
	s_and_saveexec_b64 s[12:13], s[10:11]
	s_cbranch_execz .LBB113_21
; %bb.20:                               ;   in Loop: Header=BB113_7 Depth=1
	ds_read_b128 v[6:9], v19 offset:16
	ds_read_b128 v[10:13], v19 offset:32
	ds_read_b128 v[20:23], v19 offset:48
	ds_read_b128 v[27:30], v26
	s_waitcnt lgkmcnt(2)
	v_add_f64 v[6:7], v[10:11], v[6:7]
	v_add_f64 v[8:9], v[12:13], v[8:9]
	s_waitcnt lgkmcnt(1)
	v_add_f64 v[6:7], v[6:7], v[20:21]
	v_add_f64 v[8:9], v[8:9], v[22:23]
	s_waitcnt lgkmcnt(0)
	v_add_f64 v[6:7], v[6:7], v[27:28]
	v_add_f64 v[8:9], v[8:9], v[29:30]
	ds_write_b128 v26, v[6:9]
.LBB113_21:                             ;   in Loop: Header=BB113_7 Depth=1
	s_or_b64 exec, exec, s[12:13]
	s_waitcnt lgkmcnt(0)
	s_barrier
	s_and_saveexec_b64 s[12:13], s[10:11]
	s_cbranch_execz .LBB113_6
; %bb.22:                               ;   in Loop: Header=BB113_7 Depth=1
	ds_read_b128 v[6:9], v19
	v_mov_b32_e32 v16, 0
	s_mov_b64 s[36:37], exec
	v_bfrev_b32_e32 v17, 1
	s_waitcnt lgkmcnt(0)
	v_mul_f64 v[10:11], v[8:9], -v[4:5]
	v_fma_f64 v[10:11], v[2:3], v[6:7], v[10:11]
.LBB113_23:                             ;   Parent Loop BB113_7 Depth=1
                                        ; =>  This Inner Loop Header: Depth=2
	s_ff1_i32_b64 s42, s[36:37]
	v_readlane_b32 s41, v11, s42
	v_readlane_b32 s40, v10, s42
	v_add_f64 v[16:17], v[16:17], s[40:41]
	s_lshl_b64 s[40:41], 1, s42
	s_andn2_b64 s[36:37], s[36:37], s[40:41]
	s_cmp_lg_u64 s[36:37], 0
	s_cbranch_scc1 .LBB113_23
; %bb.24:                               ;   in Loop: Header=BB113_7 Depth=1
	s_lshl_b64 s[36:37], s[34:35], 4
	v_mbcnt_lo_u32_b32 v10, exec_lo, 0
	s_add_u32 s36, s14, s36
	v_mbcnt_hi_u32_b32 v10, exec_hi, v10
	s_addc_u32 s37, s15, s37
	v_cmp_eq_u32_e32 vcc, 0, v10
	s_and_saveexec_b64 s[40:41], vcc
	s_xor_b64 s[40:41], exec, s[40:41]
	s_cbranch_execz .LBB113_28
; %bb.25:                               ;   in Loop: Header=BB113_7 Depth=1
	global_load_dwordx2 v[12:13], v19, s[36:37]
	s_mov_b64 s[42:43], 0
.LBB113_26:                             ;   Parent Loop BB113_7 Depth=1
                                        ; =>  This Inner Loop Header: Depth=2
	s_waitcnt vmcnt(0)
	v_add_f64 v[10:11], v[12:13], v[16:17]
	global_atomic_cmpswap_x2 v[10:11], v19, v[10:13], s[36:37] glc
	s_waitcnt vmcnt(0)
	v_cmp_eq_u64_e32 vcc, v[10:11], v[12:13]
	v_mov_b32_e32 v13, v11
	s_or_b64 s[42:43], vcc, s[42:43]
	v_mov_b32_e32 v12, v10
	s_andn2_b64 exec, exec, s[42:43]
	s_cbranch_execnz .LBB113_26
; %bb.27:                               ;   in Loop: Header=BB113_7 Depth=1
	s_or_b64 exec, exec, s[42:43]
.LBB113_28:                             ;   in Loop: Header=BB113_7 Depth=1
	s_or_b64 exec, exec, s[40:41]
	v_mul_f64 v[8:9], v[2:3], v[8:9]
	v_mov_b32_e32 v10, 0
	s_mov_b64 s[40:41], exec
	v_bfrev_b32_e32 v11, 1
	v_fma_f64 v[6:7], v[4:5], v[6:7], v[8:9]
.LBB113_29:                             ;   Parent Loop BB113_7 Depth=1
                                        ; =>  This Inner Loop Header: Depth=2
	s_ff1_i32_b64 s45, s[40:41]
	v_readlane_b32 s43, v7, s45
	v_readlane_b32 s42, v6, s45
	v_add_f64 v[10:11], v[10:11], s[42:43]
	s_lshl_b64 s[42:43], 1, s45
	s_andn2_b64 s[40:41], s[40:41], s[42:43]
	s_cmp_lg_u64 s[40:41], 0
	s_cbranch_scc1 .LBB113_29
; %bb.30:                               ;   in Loop: Header=BB113_7 Depth=1
	v_mbcnt_lo_u32_b32 v6, exec_lo, 0
	v_mbcnt_hi_u32_b32 v6, exec_hi, v6
	v_cmp_eq_u32_e32 vcc, 0, v6
	s_and_saveexec_b64 s[40:41], vcc
	s_xor_b64 s[40:41], exec, s[40:41]
	s_cbranch_execz .LBB113_6
; %bb.31:                               ;   in Loop: Header=BB113_7 Depth=1
	global_load_dwordx2 v[8:9], v19, s[36:37] offset:8
	s_mov_b64 s[40:41], 0
.LBB113_32:                             ;   Parent Loop BB113_7 Depth=1
                                        ; =>  This Inner Loop Header: Depth=2
	s_waitcnt vmcnt(0)
	v_add_f64 v[6:7], v[8:9], v[10:11]
	global_atomic_cmpswap_x2 v[6:7], v19, v[6:9], s[36:37] offset:8 glc
	s_waitcnt vmcnt(0)
	v_cmp_eq_u64_e32 vcc, v[6:7], v[8:9]
	v_mov_b32_e32 v9, v7
	s_or_b64 s[40:41], vcc, s[40:41]
	v_mov_b32_e32 v8, v6
	s_andn2_b64 exec, exec, s[40:41]
	s_cbranch_execnz .LBB113_32
; %bb.33:                               ;   in Loop: Header=BB113_7 Depth=1
	s_or_b64 exec, exec, s[40:41]
	s_branch .LBB113_6
.LBB113_34:
	s_lshl_b64 s[0:1], s[24:25], 3
	s_add_u32 s0, s16, s0
	s_addc_u32 s1, s17, s1
	s_lshl_b64 s[2:3], s[26:27], 3
	s_add_u32 s2, s16, s2
	s_addc_u32 s3, s17, s3
	s_load_dwordx2 s[8:9], s[0:1], 0x0
	s_load_dwordx2 s[6:7], s[2:3], 0x0
	s_waitcnt lgkmcnt(0)
	v_mov_b32_e32 v6, s9
	s_sub_u32 s6, s6, s30
	v_add_co_u32_e32 v14, vcc, s8, v1
	s_subb_u32 s7, s7, 0
	v_addc_co_u32_e32 v15, vcc, v6, v18, vcc
	v_cmp_gt_i64_e32 vcc, s[6:7], v[14:15]
	s_and_saveexec_b64 s[8:9], vcc
	s_cbranch_execz .LBB113_46
; %bb.35:
	s_add_u32 s10, s26, -1
	s_addc_u32 s11, s27, -1
	v_mov_b32_e32 v6, s10
	s_add_u32 s0, s26, -2
	v_mov_b32_e32 v7, s11
	s_addc_u32 s1, s27, -1
	v_cmp_lt_i64_e32 vcc, s[24:25], v[6:7]
	s_cmp_lg_u64 s[24:25], s[0:1]
	s_cselect_b64 s[0:1], -1, 0
	s_and_b64 s[0:1], vcc, s[0:1]
	v_cndmask_b32_e64 v1, 0, 1, s[0:1]
	s_mov_b64 s[12:13], 0
	v_cmp_ne_u32_e64 s[0:1], 1, v1
	v_mov_b32_e32 v1, s17
	v_mov_b32_e32 v24, s19
	s_branch .LBB113_37
.LBB113_36:                             ;   in Loop: Header=BB113_37 Depth=1
	s_or_b64 exec, exec, s[2:3]
	v_add_co_u32_e32 v14, vcc, 0x100, v14
	v_addc_co_u32_e32 v15, vcc, 0, v15, vcc
	v_cmp_le_i64_e32 vcc, s[6:7], v[14:15]
	s_or_b64 s[12:13], vcc, s[12:13]
	s_andn2_b64 exec, exec, s[12:13]
	s_cbranch_execz .LBB113_46
.LBB113_37:                             ; =>This Loop Header: Depth=1
                                        ;     Child Loop BB113_39 Depth 2
                                        ;     Child Loop BB113_43 Depth 2
	;; [unrolled: 1-line block ×3, first 2 shown]
	v_mov_b32_e32 v6, s24
	v_mov_b32_e32 v8, s10
	s_and_b64 vcc, exec, s[0:1]
	v_mov_b32_e32 v7, s25
	v_mov_b32_e32 v9, s11
	s_cbranch_vccnz .LBB113_41
; %bb.38:                               ;   in Loop: Header=BB113_37 Depth=1
	v_mov_b32_e32 v6, s24
	v_mov_b32_e32 v8, s10
	s_mov_b64 s[34:35], 0
	v_mov_b32_e32 v7, s25
	v_mov_b32_e32 v9, s11
.LBB113_39:                             ;   Parent Loop BB113_37 Depth=1
                                        ; =>  This Inner Loop Header: Depth=2
	v_add_co_u32_e32 v10, vcc, v8, v6
	v_addc_co_u32_e32 v11, vcc, v9, v7, vcc
	v_lshrrev_b32_e32 v12, 31, v11
	v_add_co_u32_e32 v10, vcc, v10, v12
	v_addc_co_u32_e32 v11, vcc, 0, v11, vcc
	v_ashrrev_i64 v[10:11], 1, v[10:11]
	v_mov_b32_e32 v16, s17
	v_lshlrev_b64 v[12:13], 3, v[10:11]
	v_add_co_u32_e32 v12, vcc, s16, v12
	v_addc_co_u32_e32 v13, vcc, v16, v13, vcc
	global_load_dwordx2 v[12:13], v[12:13], off
	s_waitcnt vmcnt(0)
	v_subrev_co_u32_e32 v12, vcc, s30, v12
	v_subbrev_co_u32_e32 v13, vcc, 0, v13, vcc
	v_cmp_lt_i64_e32 vcc, v[14:15], v[12:13]
	v_cndmask_b32_e32 v8, v8, v10, vcc
	v_cndmask_b32_e32 v9, v9, v11, vcc
	;; [unrolled: 1-line block ×3, first 2 shown]
	v_add_co_u32_e64 v10, s[2:3], -1, v8
	v_cndmask_b32_e32 v7, v11, v7, vcc
	v_addc_co_u32_e64 v11, s[2:3], -1, v9, s[2:3]
	v_cmp_ge_i64_e32 vcc, v[6:7], v[8:9]
	v_cmp_eq_u64_e64 s[2:3], v[6:7], v[10:11]
	s_or_b64 s[2:3], vcc, s[2:3]
	s_and_b64 s[2:3], exec, s[2:3]
	s_or_b64 s[34:35], s[2:3], s[34:35]
	s_andn2_b64 exec, exec, s[34:35]
	s_cbranch_execnz .LBB113_39
; %bb.40:                               ;   in Loop: Header=BB113_37 Depth=1
	s_or_b64 exec, exec, s[34:35]
.LBB113_41:                             ;   in Loop: Header=BB113_37 Depth=1
	v_lshlrev_b64 v[10:11], 3, v[8:9]
	v_lshlrev_b64 v[12:13], 2, v[14:15]
	v_add_co_u32_e32 v10, vcc, s16, v10
	v_addc_co_u32_e32 v11, vcc, v1, v11, vcc
	global_load_dwordx2 v[10:11], v[10:11], off
	v_add_co_u32_e32 v12, vcc, s18, v12
	v_addc_co_u32_e32 v13, vcc, v24, v13, vcc
	global_load_dword v16, v[12:13], off
	s_waitcnt vmcnt(1)
	v_subrev_co_u32_e32 v12, vcc, s30, v10
	v_subbrev_co_u32_e32 v13, vcc, 0, v11, vcc
	v_cmp_lt_i64_e32 vcc, v[14:15], v[12:13]
	s_waitcnt vmcnt(0)
	v_subrev_u32_e32 v10, s30, v16
	v_cndmask_b32_e32 v7, v9, v7, vcc
	v_cndmask_b32_e32 v6, v8, v6, vcc
	v_ashrrev_i32_e32 v11, 31, v10
	v_cmp_ne_u64_e32 vcc, v[6:7], v[10:11]
	s_and_saveexec_b64 s[2:3], vcc
	s_cbranch_execz .LBB113_36
; %bb.42:                               ;   in Loop: Header=BB113_37 Depth=1
	v_lshlrev_b64 v[8:9], 3, v[14:15]
	v_mov_b32_e32 v12, s21
	v_add_co_u32_e32 v8, vcc, s20, v8
	v_addc_co_u32_e32 v9, vcc, v12, v9, vcc
	global_load_dwordx2 v[18:19], v[8:9], off
	v_lshlrev_b64 v[6:7], 4, v[6:7]
	v_mov_b32_e32 v8, s23
	v_add_co_u32_e32 v6, vcc, s22, v6
	v_addc_co_u32_e32 v7, vcc, v8, v7, vcc
	global_load_dwordx4 v[6:9], v[6:7], off
	v_lshlrev_b64 v[10:11], 4, v[10:11]
	v_mov_b32_e32 v12, s15
	v_add_co_u32_e32 v16, vcc, s14, v10
	v_addc_co_u32_e32 v17, vcc, v12, v11, vcc
	global_load_dwordx2 v[12:13], v[16:17], off
	s_mov_b64 s[34:35], 0
	s_waitcnt vmcnt(2)
	v_cndmask_b32_e64 v10, v19, -v19, s[38:39]
	v_cvt_f64_f32_e32 v[10:11], v10
	v_cvt_f64_f32_e32 v[21:22], v18
	v_mul_f64 v[19:20], v[2:3], v[10:11]
	v_mul_f64 v[10:11], -v[4:5], v[10:11]
	v_fma_f64 v[18:19], v[4:5], v[21:22], v[19:20]
	v_fma_f64 v[20:21], v[2:3], v[21:22], v[10:11]
	s_waitcnt vmcnt(1)
	v_mul_f64 v[10:11], v[8:9], -v[18:19]
	v_fma_f64 v[22:23], v[20:21], v[6:7], v[10:11]
.LBB113_43:                             ;   Parent Loop BB113_37 Depth=1
                                        ; =>  This Inner Loop Header: Depth=2
	s_waitcnt vmcnt(0)
	v_add_f64 v[10:11], v[12:13], v[22:23]
	global_atomic_cmpswap_x2 v[10:11], v[16:17], v[10:13], off glc
	s_waitcnt vmcnt(0)
	v_cmp_eq_u64_e32 vcc, v[10:11], v[12:13]
	v_mov_b32_e32 v13, v11
	s_or_b64 s[34:35], vcc, s[34:35]
	v_mov_b32_e32 v12, v10
	s_andn2_b64 exec, exec, s[34:35]
	s_cbranch_execnz .LBB113_43
; %bb.44:                               ;   in Loop: Header=BB113_37 Depth=1
	s_or_b64 exec, exec, s[34:35]
	global_load_dwordx2 v[10:11], v[16:17], off offset:8
	v_mul_f64 v[8:9], v[8:9], v[20:21]
	s_mov_b64 s[34:35], 0
	v_fma_f64 v[6:7], v[18:19], v[6:7], v[8:9]
.LBB113_45:                             ;   Parent Loop BB113_37 Depth=1
                                        ; =>  This Inner Loop Header: Depth=2
	s_waitcnt vmcnt(0)
	v_add_f64 v[8:9], v[10:11], v[6:7]
	global_atomic_cmpswap_x2 v[8:9], v[16:17], v[8:11], off offset:8 glc
	s_waitcnt vmcnt(0)
	v_cmp_eq_u64_e32 vcc, v[8:9], v[10:11]
	v_mov_b32_e32 v11, v9
	s_or_b64 s[34:35], vcc, s[34:35]
	v_mov_b32_e32 v10, v8
	s_andn2_b64 exec, exec, s[34:35]
	s_cbranch_execnz .LBB113_45
	s_branch .LBB113_36
.LBB113_46:
	s_or_b64 exec, exec, s[8:9]
	s_mov_b64 s[0:1], 0
.LBB113_47:
	s_and_b64 vcc, exec, s[0:1]
	s_cbranch_vccz .LBB113_199
; %bb.48:
	s_load_dword s0, s[4:5], 0x7c
	v_mov_b32_e32 v6, s28
	s_mov_b32 s13, 0
	v_mov_b32_e32 v7, s29
	s_mov_b64 s[36:37], 0
	s_waitcnt lgkmcnt(0)
	s_and_b32 s12, s0, 0xffff
	v_cmp_lt_u64_e32 vcc, s[12:13], v[6:7]
	s_cbranch_vccnz .LBB113_50
; %bb.49:
	v_cvt_f32_u32_e32 v1, s28
	s_sub_i32 s0, 0, s28
	v_rcp_iflag_f32_e32 v1, v1
	v_mul_f32_e32 v1, 0x4f7ffffe, v1
	v_cvt_u32_f32_e32 v1, v1
	v_readfirstlane_b32 s1, v1
	s_mul_i32 s0, s0, s1
	s_mul_hi_u32 s0, s1, s0
	s_add_i32 s1, s1, s0
	s_mul_hi_u32 s0, s12, s1
	s_mul_i32 s2, s0, s28
	s_sub_i32 s2, s12, s2
	s_add_i32 s1, s0, 1
	s_sub_i32 s3, s2, s28
	s_cmp_ge_u32 s2, s28
	s_cselect_b32 s0, s1, s0
	s_cselect_b32 s2, s3, s2
	s_add_i32 s1, s0, 1
	s_cmp_ge_u32 s2, s28
	s_cselect_b32 s36, s1, s0
.LBB113_50:
	s_lshl_b64 s[0:1], s[24:25], 3
	s_add_u32 s34, s16, s0
	s_addc_u32 s35, s17, s1
	s_load_dwordx2 s[6:7], s[34:35], 0x0
	s_load_dwordx4 s[8:11], s[4:5], 0x8
	v_subrev_co_u32_e32 v1, vcc, s30, v0
	v_subb_co_u32_e64 v6, s[0:1], 0, 0, vcc
	s_waitcnt lgkmcnt(0)
	v_mov_b32_e32 v7, s7
	v_add_co_u32_e32 v14, vcc, s6, v1
	v_addc_co_u32_e32 v15, vcc, v7, v6, vcc
	v_add_co_u32_e32 v16, vcc, 0x300, v14
	v_addc_co_u32_e32 v17, vcc, 0, v15, vcc
	v_cmp_le_i64_e64 s[0:1], s[8:9], v[16:17]
	v_mov_b32_e32 v1, 0
	s_and_saveexec_b64 s[2:3], s[0:1]
	s_xor_b64 s[2:3], exec, s[2:3]
	s_cbranch_execnz .LBB113_53
; %bb.51:
	s_andn2_saveexec_b64 s[2:3], s[2:3]
	s_cbranch_execnz .LBB113_57
.LBB113_52:
	s_or_b64 exec, exec, s[2:3]
	v_cmp_gt_i64_e32 vcc, s[10:11], v[0:1]
	s_and_saveexec_b64 s[2:3], vcc
	s_cbranch_execnz .LBB113_58
	s_branch .LBB113_60
.LBB113_53:
	s_lshl_b64 s[4:5], s[26:27], 3
	s_add_u32 s4, s16, s4
	s_addc_u32 s5, s17, s5
	s_load_dwordx2 s[4:5], s[4:5], 0x0
	s_waitcnt lgkmcnt(0)
	s_sub_u32 s4, s4, s6
	s_subb_u32 s5, s5, s7
	v_cmp_gt_i64_e32 vcc, s[4:5], v[0:1]
	s_and_saveexec_b64 s[8:9], vcc
	s_cbranch_execz .LBB113_56
; %bb.54:
	v_lshlrev_b64 v[6:7], 3, v[14:15]
	v_mov_b32_e32 v8, s21
	v_add_co_u32_e32 v6, vcc, s20, v6
	v_addc_co_u32_e32 v7, vcc, v8, v7, vcc
	v_add_co_u32_e32 v6, vcc, 4, v6
	v_mov_b32_e32 v9, v1
	v_addc_co_u32_e32 v7, vcc, 0, v7, vcc
	s_mov_b64 s[40:41], 0
	v_mov_b32_e32 v10, v26
	v_mov_b32_e32 v8, v0
.LBB113_55:                             ; =>This Inner Loop Header: Depth=1
	global_load_dwordx2 v[11:12], v[6:7], off offset:-4
	v_add_co_u32_e32 v6, vcc, 0x800, v6
	v_addc_co_u32_e32 v7, vcc, 0, v7, vcc
	v_add_co_u32_e32 v8, vcc, 0x100, v8
	v_addc_co_u32_e32 v9, vcc, 0, v9, vcc
	v_cmp_le_i64_e32 vcc, s[4:5], v[8:9]
	s_or_b64 s[40:41], vcc, s[40:41]
	s_waitcnt vmcnt(0)
	v_cndmask_b32_e64 v12, v12, -v12, s[38:39]
	v_cvt_f64_f32_e32 v[12:13], v12
	v_cvt_f64_f32_e32 v[20:21], v11
	v_mul_f64 v[18:19], -v[4:5], v[12:13]
	v_mul_f64 v[12:13], v[2:3], v[12:13]
	v_fma_f64 v[18:19], v[2:3], v[20:21], v[18:19]
	v_fma_f64 v[20:21], v[4:5], v[20:21], v[12:13]
	ds_write_b128 v10, v[18:21]
	v_add_u32_e32 v10, 0x1000, v10
	s_andn2_b64 exec, exec, s[40:41]
	s_cbranch_execnz .LBB113_55
.LBB113_56:
	s_or_b64 exec, exec, s[8:9]
                                        ; implicit-def: $vgpr4_vgpr5
	s_andn2_saveexec_b64 s[2:3], s[2:3]
	s_cbranch_execz .LBB113_52
.LBB113_57:
	v_lshlrev_b64 v[6:7], 3, v[14:15]
	v_mov_b32_e32 v8, s21
	v_add_co_u32_e32 v6, vcc, s20, v6
	v_addc_co_u32_e32 v7, vcc, v8, v7, vcc
	s_movk_i32 s4, 0x1000
	global_load_dwordx2 v[8:9], v[6:7], off
	global_load_dwordx2 v[10:11], v[6:7], off offset:2048
	v_add_co_u32_e32 v6, vcc, s4, v6
	v_addc_co_u32_e32 v7, vcc, 0, v7, vcc
	global_load_dwordx2 v[12:13], v[6:7], off
	global_load_dwordx2 v[18:19], v[6:7], off offset:2048
	s_waitcnt vmcnt(3)
	v_cndmask_b32_e64 v6, v9, -v9, s[38:39]
	s_waitcnt vmcnt(2)
	v_cndmask_b32_e64 v11, v11, -v11, s[38:39]
	v_cvt_f64_f32_e32 v[6:7], v6
	v_cvt_f64_f32_e32 v[20:21], v10
	;; [unrolled: 1-line block ×3, first 2 shown]
	s_waitcnt vmcnt(1)
	v_cndmask_b32_e64 v13, v13, -v13, s[38:39]
	v_cvt_f64_f32_e32 v[22:23], v12
	s_waitcnt vmcnt(0)
	v_cndmask_b32_e64 v19, v19, -v19, s[38:39]
	v_cvt_f64_f32_e32 v[12:13], v13
	v_cvt_f64_f32_e32 v[24:25], v18
	;; [unrolled: 1-line block ×3, first 2 shown]
	v_mul_f64 v[27:28], -v[4:5], v[6:7]
	v_mul_f64 v[29:30], v[2:3], v[6:7]
	v_mul_f64 v[31:32], -v[4:5], v[10:11]
	v_mul_f64 v[33:34], v[2:3], v[10:11]
	;; [unrolled: 2-line block ×4, first 2 shown]
	v_cvt_f64_f32_e32 v[8:9], v8
	v_fma_f64 v[10:11], v[2:3], v[20:21], v[31:32]
	v_fma_f64 v[12:13], v[4:5], v[20:21], v[33:34]
	;; [unrolled: 1-line block ×8, first 2 shown]
	ds_write_b128 v26, v[6:9]
	ds_write_b128 v26, v[10:13] offset:4096
	ds_write_b128 v26, v[18:21] offset:8192
	;; [unrolled: 1-line block ×3, first 2 shown]
	s_or_b64 exec, exec, s[2:3]
	v_cmp_gt_i64_e32 vcc, s[10:11], v[0:1]
	s_and_saveexec_b64 s[2:3], vcc
	s_cbranch_execz .LBB113_60
.LBB113_58:
	s_mov_b32 s8, 0
	v_mov_b32_e32 v2, 0x4000
	s_mov_b32 s20, s8
	v_lshl_add_u32 v8, v0, 4, v2
	s_mov_b32 s9, s8
	s_mov_b32 s21, s8
	v_mov_b32_e32 v2, s8
	v_mov_b32_e32 v4, s20
	;; [unrolled: 1-line block ×3, first 2 shown]
	s_mov_b64 s[4:5], 0
	v_mov_b32_e32 v3, s9
	v_mov_b32_e32 v5, s21
	;; [unrolled: 1-line block ×3, first 2 shown]
.LBB113_59:                             ; =>This Inner Loop Header: Depth=1
	v_add_co_u32_e32 v6, vcc, 0x100, v6
	v_addc_co_u32_e32 v7, vcc, 0, v7, vcc
	v_cmp_le_i64_e32 vcc, s[10:11], v[6:7]
	ds_write2_b64 v8, v[2:3], v[4:5] offset1:1
	s_or_b64 s[4:5], vcc, s[4:5]
	v_add_u32_e32 v8, 0x1000, v8
	s_andn2_b64 exec, exec, s[4:5]
	s_cbranch_execnz .LBB113_59
.LBB113_60:
	s_or_b64 exec, exec, s[2:3]
	v_mov_b32_e32 v2, s10
	v_mov_b32_e32 v3, s11
	s_sub_u32 s4, s26, s10
	v_cmp_ge_i64_e32 vcc, s[26:27], v[2:3]
	s_subb_u32 s5, s27, s11
	s_and_b64 s[2:3], vcc, exec
	s_cselect_b32 s9, s5, 0
	s_cselect_b32 s8, s4, 0
	s_waitcnt lgkmcnt(0)
	s_barrier
	s_and_saveexec_b64 s[2:3], s[0:1]
	s_xor_b64 s[20:21], exec, s[2:3]
	s_cbranch_execz .LBB113_85
; %bb.61:
	s_lshl_b64 s[0:1], s[26:27], 3
	s_add_u32 s0, s16, s0
	s_addc_u32 s1, s17, s1
	s_load_dwordx2 s[0:1], s[0:1], 0x0
	s_waitcnt lgkmcnt(0)
	s_sub_u32 s38, s0, s6
	s_subb_u32 s39, s1, s7
	v_cmp_gt_i64_e32 vcc, s[38:39], v[0:1]
	s_and_saveexec_b64 s[40:41], vcc
	s_cbranch_execz .LBB113_84
; %bb.62:
	s_add_u32 s42, s26, -1
	s_addc_u32 s43, s27, -1
	s_add_u32 s2, s26, -2
	s_addc_u32 s3, s27, -1
	s_cmp_lg_u64 s[24:25], s[2:3]
	s_cselect_b64 s[2:3], -1, 0
	s_sub_u32 s44, s0, s30
	v_cndmask_b32_e64 v2, 0, 1, s[2:3]
	s_subb_u32 s45, s1, 0
	s_mov_b64 s[46:47], 0
	v_cmp_ne_u32_e64 s[0:1], 1, v2
	v_mov_b32_e32 v24, s17
	v_mov_b32_e32 v25, s19
	;; [unrolled: 1-line block ×4, first 2 shown]
	s_mov_b64 s[48:49], 0
	s_branch .LBB113_65
.LBB113_63:                             ;   in Loop: Header=BB113_65 Depth=1
	s_or_b64 exec, exec, s[2:3]
.LBB113_64:                             ;   in Loop: Header=BB113_65 Depth=1
	s_or_b64 exec, exec, s[4:5]
	v_lshlrev_b64 v[6:7], 4, v[16:17]
	s_add_u32 s48, s48, 0x100
	v_add_co_u32_e32 v6, vcc, s22, v6
	v_addc_co_u32_e32 v7, vcc, v27, v7, vcc
	global_load_dwordx4 v[6:9], v[6:7], off
	s_addc_u32 s49, s49, 0
	s_waitcnt vmcnt(0)
	v_mul_f64 v[10:11], v[8:9], v[18:19]
	v_mul_f64 v[8:9], v[8:9], v[2:3]
	v_fma_f64 v[2:3], v[2:3], v[6:7], v[10:11]
	v_fma_f64 v[4:5], v[4:5], v[6:7], v[8:9]
	v_mov_b32_e32 v7, s49
	v_add_co_u32_e32 v6, vcc, s48, v0
	v_addc_co_u32_e32 v7, vcc, 0, v7, vcc
	v_cmp_le_i64_e32 vcc, s[38:39], v[6:7]
	v_lshlrev_b32_e32 v6, 4, v29
	s_or_b64 s[46:47], vcc, s[46:47]
	ds_write_b128 v6, v[2:5]
	s_andn2_b64 exec, exec, s[46:47]
	s_cbranch_execz .LBB113_84
.LBB113_65:                             ; =>This Loop Header: Depth=1
                                        ;     Child Loop BB113_67 Depth 2
                                        ;     Child Loop BB113_74 Depth 2
                                        ;     Child Loop BB113_76 Depth 2
                                        ;     Child Loop BB113_80 Depth 2
                                        ;     Child Loop BB113_82 Depth 2
	v_mov_b32_e32 v3, s49
	v_add_co_u32_e32 v2, vcc, s48, v14
	v_addc_co_u32_e32 v3, vcc, v3, v15, vcc
	v_mov_b32_e32 v4, s24
	v_mov_b32_e32 v6, s42
	s_and_b64 vcc, exec, s[0:1]
	v_mov_b32_e32 v5, s25
	v_mov_b32_e32 v7, s43
	s_cbranch_vccnz .LBB113_69
; %bb.66:                               ;   in Loop: Header=BB113_65 Depth=1
	v_mov_b32_e32 v4, s24
	v_mov_b32_e32 v6, s42
	s_mov_b64 s[4:5], 0
	v_mov_b32_e32 v5, s25
	v_mov_b32_e32 v7, s43
.LBB113_67:                             ;   Parent Loop BB113_65 Depth=1
                                        ; =>  This Inner Loop Header: Depth=2
	v_add_co_u32_e32 v8, vcc, v6, v4
	v_addc_co_u32_e32 v9, vcc, v7, v5, vcc
	v_lshrrev_b32_e32 v10, 31, v9
	v_add_co_u32_e32 v8, vcc, v8, v10
	v_addc_co_u32_e32 v9, vcc, 0, v9, vcc
	v_ashrrev_i64 v[8:9], 1, v[8:9]
	v_mov_b32_e32 v12, s17
	v_lshlrev_b64 v[10:11], 3, v[8:9]
	v_add_co_u32_e32 v10, vcc, s16, v10
	v_addc_co_u32_e32 v11, vcc, v12, v11, vcc
	global_load_dwordx2 v[10:11], v[10:11], off
	s_waitcnt vmcnt(0)
	v_subrev_co_u32_e32 v10, vcc, s30, v10
	v_subbrev_co_u32_e32 v11, vcc, 0, v11, vcc
	v_cmp_lt_i64_e32 vcc, v[2:3], v[10:11]
	v_cndmask_b32_e32 v6, v6, v8, vcc
	v_cndmask_b32_e32 v7, v7, v9, vcc
	;; [unrolled: 1-line block ×3, first 2 shown]
	v_add_co_u32_e64 v8, s[2:3], -1, v6
	v_cndmask_b32_e32 v5, v9, v5, vcc
	v_addc_co_u32_e64 v9, s[2:3], -1, v7, s[2:3]
	v_cmp_ge_i64_e32 vcc, v[4:5], v[6:7]
	v_cmp_eq_u64_e64 s[2:3], v[4:5], v[8:9]
	s_or_b64 s[2:3], vcc, s[2:3]
	s_and_b64 s[2:3], exec, s[2:3]
	s_or_b64 s[4:5], s[2:3], s[4:5]
	s_andn2_b64 exec, exec, s[4:5]
	s_cbranch_execnz .LBB113_67
; %bb.68:                               ;   in Loop: Header=BB113_65 Depth=1
	s_or_b64 exec, exec, s[4:5]
.LBB113_69:                             ;   in Loop: Header=BB113_65 Depth=1
	v_lshlrev_b64 v[8:9], 3, v[6:7]
	v_lshlrev_b64 v[10:11], 2, v[2:3]
	v_add_co_u32_e32 v8, vcc, s16, v8
	v_addc_co_u32_e32 v9, vcc, v24, v9, vcc
	global_load_dwordx2 v[8:9], v[8:9], off
	v_add_co_u32_e32 v10, vcc, s18, v10
	v_addc_co_u32_e32 v11, vcc, v25, v11, vcc
	global_load_dword v10, v[10:11], off
	v_cmp_le_i64_e32 vcc, s[44:45], v[2:3]
	v_add_co_u32_e64 v29, s[4:5], s48, v0
                                        ; implicit-def: $vgpr18_vgpr19
	s_waitcnt vmcnt(1)
	v_subrev_co_u32_e64 v8, s[2:3], s30, v8
	v_subbrev_co_u32_e64 v9, s[2:3], 0, v9, s[2:3]
	v_cmp_lt_i64_e64 s[2:3], v[2:3], v[8:9]
	s_waitcnt vmcnt(0)
	v_subrev_u32_e32 v16, s30, v10
	v_cndmask_b32_e64 v7, v7, v5, s[2:3]
	v_ashrrev_i32_e32 v17, 31, v16
	v_cndmask_b32_e64 v6, v6, v4, s[2:3]
	v_cmp_eq_u64_e64 s[2:3], v[6:7], v[16:17]
	v_lshlrev_b32_e32 v10, 4, v29
	s_or_b64 s[2:3], s[2:3], vcc
                                        ; implicit-def: $vgpr2_vgpr3
	s_and_saveexec_b64 s[4:5], s[2:3]
	s_xor_b64 s[2:3], exec, s[4:5]
	s_cbranch_execz .LBB113_71
; %bb.70:                               ;   in Loop: Header=BB113_65 Depth=1
	ds_read_b128 v[2:5], v10
                                        ; implicit-def: $vgpr6_vgpr7
                                        ; implicit-def: $vgpr10
	s_waitcnt lgkmcnt(0)
	v_xor_b32_e32 v19, 0x80000000, v5
	v_mov_b32_e32 v18, v4
.LBB113_71:                             ;   in Loop: Header=BB113_65 Depth=1
	s_andn2_saveexec_b64 s[4:5], s[2:3]
	s_cbranch_execz .LBB113_64
; %bb.72:                               ;   in Loop: Header=BB113_65 Depth=1
	v_cmp_gt_i64_e32 vcc, s[8:9], v[16:17]
	v_cmp_le_i64_e64 s[2:3], s[26:27], v[16:17]
	v_lshlrev_b64 v[6:7], 4, v[6:7]
	s_or_b64 s[2:3], vcc, s[2:3]
                                        ; implicit-def: $vgpr2_vgpr3
                                        ; implicit-def: $vgpr18_vgpr19
	s_and_saveexec_b64 s[50:51], s[2:3]
	s_xor_b64 s[2:3], exec, s[50:51]
	s_cbranch_execz .LBB113_78
; %bb.73:                               ;   in Loop: Header=BB113_65 Depth=1
	v_mov_b32_e32 v3, s23
	v_add_co_u32_e32 v2, vcc, s22, v6
	v_addc_co_u32_e32 v3, vcc, v3, v7, vcc
	global_load_dwordx4 v[6:9], v[2:3], off
	v_lshlrev_b64 v[2:3], 4, v[16:17]
	v_mov_b32_e32 v4, s15
	v_add_co_u32_e32 v20, vcc, s14, v2
	v_addc_co_u32_e32 v21, vcc, v4, v3, vcc
	global_load_dwordx2 v[12:13], v[20:21], off
	ds_read_b128 v[2:5], v10
	s_mov_b64 s[50:51], 0
	s_waitcnt lgkmcnt(0)
	v_xor_b32_e32 v19, 0x80000000, v5
	v_mov_b32_e32 v18, v4
	s_waitcnt vmcnt(1)
	v_mul_f64 v[10:11], v[8:9], -v[4:5]
	v_fma_f64 v[22:23], v[2:3], v[6:7], v[10:11]
.LBB113_74:                             ;   Parent Loop BB113_65 Depth=1
                                        ; =>  This Inner Loop Header: Depth=2
	s_waitcnt vmcnt(0)
	v_add_f64 v[10:11], v[12:13], v[22:23]
	global_atomic_cmpswap_x2 v[10:11], v[20:21], v[10:13], off glc
	s_waitcnt vmcnt(0)
	v_cmp_eq_u64_e32 vcc, v[10:11], v[12:13]
	v_mov_b32_e32 v13, v11
	s_or_b64 s[50:51], vcc, s[50:51]
	v_mov_b32_e32 v12, v10
	s_andn2_b64 exec, exec, s[50:51]
	s_cbranch_execnz .LBB113_74
; %bb.75:                               ;   in Loop: Header=BB113_65 Depth=1
	s_or_b64 exec, exec, s[50:51]
	global_load_dwordx2 v[10:11], v[20:21], off offset:8
	v_mul_f64 v[8:9], v[8:9], v[2:3]
	s_mov_b64 s[50:51], 0
	v_fma_f64 v[6:7], v[4:5], v[6:7], v[8:9]
.LBB113_76:                             ;   Parent Loop BB113_65 Depth=1
                                        ; =>  This Inner Loop Header: Depth=2
	s_waitcnt vmcnt(0)
	v_add_f64 v[8:9], v[10:11], v[6:7]
	global_atomic_cmpswap_x2 v[8:9], v[20:21], v[8:11], off offset:8 glc
	s_waitcnt vmcnt(0)
	v_cmp_eq_u64_e32 vcc, v[8:9], v[10:11]
	v_mov_b32_e32 v11, v9
	s_or_b64 s[50:51], vcc, s[50:51]
	v_mov_b32_e32 v10, v8
	s_andn2_b64 exec, exec, s[50:51]
	s_cbranch_execnz .LBB113_76
; %bb.77:                               ;   in Loop: Header=BB113_65 Depth=1
	s_or_b64 exec, exec, s[50:51]
                                        ; implicit-def: $vgpr6_vgpr7
                                        ; implicit-def: $vgpr10
.LBB113_78:                             ;   in Loop: Header=BB113_65 Depth=1
	s_andn2_saveexec_b64 s[2:3], s[2:3]
	s_cbranch_execz .LBB113_63
; %bb.79:                               ;   in Loop: Header=BB113_65 Depth=1
	v_add_co_u32_e32 v2, vcc, s22, v6
	v_addc_co_u32_e32 v3, vcc, v27, v7, vcc
	global_load_dwordx4 v[6:9], v[2:3], off
	ds_read_b128 v[2:5], v10
	v_subrev_u32_e32 v12, s8, v16
	v_lshl_add_u32 v20, v12, 4, v28
	ds_read_b64 v[12:13], v20
	s_mov_b64 s[50:51], 0
	s_waitcnt lgkmcnt(1)
	v_xor_b32_e32 v19, 0x80000000, v5
	v_mov_b32_e32 v18, v4
	s_waitcnt vmcnt(0)
	v_mul_f64 v[10:11], v[8:9], -v[4:5]
	v_fma_f64 v[10:11], v[2:3], v[6:7], v[10:11]
.LBB113_80:                             ;   Parent Loop BB113_65 Depth=1
                                        ; =>  This Inner Loop Header: Depth=2
	s_waitcnt lgkmcnt(0)
	v_add_f64 v[21:22], v[12:13], v[10:11]
	ds_cmpst_rtn_b64 v[21:22], v20, v[12:13], v[21:22]
	s_waitcnt lgkmcnt(0)
	v_cmp_eq_u64_e32 vcc, v[21:22], v[12:13]
	v_mov_b32_e32 v12, v21
	s_or_b64 s[50:51], vcc, s[50:51]
	v_mov_b32_e32 v13, v22
	s_andn2_b64 exec, exec, s[50:51]
	s_cbranch_execnz .LBB113_80
; %bb.81:                               ;   in Loop: Header=BB113_65 Depth=1
	s_or_b64 exec, exec, s[50:51]
	v_mul_f64 v[8:9], v[8:9], v[2:3]
	s_mov_b64 s[50:51], 0
	v_fma_f64 v[6:7], v[4:5], v[6:7], v[8:9]
	ds_read_b64 v[8:9], v20 offset:8
.LBB113_82:                             ;   Parent Loop BB113_65 Depth=1
                                        ; =>  This Inner Loop Header: Depth=2
	s_waitcnt lgkmcnt(0)
	v_add_f64 v[10:11], v[8:9], v[6:7]
	ds_cmpst_rtn_b64 v[10:11], v20, v[8:9], v[10:11] offset:8
	s_waitcnt lgkmcnt(0)
	v_cmp_eq_u64_e32 vcc, v[10:11], v[8:9]
	v_mov_b32_e32 v8, v10
	s_or_b64 s[50:51], vcc, s[50:51]
	v_mov_b32_e32 v9, v11
	s_andn2_b64 exec, exec, s[50:51]
	s_cbranch_execnz .LBB113_82
; %bb.83:                               ;   in Loop: Header=BB113_65 Depth=1
	s_or_b64 exec, exec, s[50:51]
	s_branch .LBB113_63
.LBB113_84:
	s_or_b64 exec, exec, s[40:41]
                                        ; implicit-def: $vgpr16_vgpr17
                                        ; implicit-def: $vgpr14
.LBB113_85:
	s_andn2_saveexec_b64 s[4:5], s[20:21]
	s_cbranch_execz .LBB113_159
; %bb.86:
	s_add_u32 s20, s26, -1
	s_addc_u32 s21, s27, -1
	s_add_u32 s0, s26, -2
	s_addc_u32 s1, s27, -1
	s_cmp_lg_u64 s[24:25], s[0:1]
	v_mov_b32_e32 v2, s24
	v_mov_b32_e32 v4, s20
	s_cselect_b64 s[2:3], -1, 0
	s_cmp_eq_u64 s[24:25], s[0:1]
	v_mov_b32_e32 v3, s25
	v_mov_b32_e32 v5, s21
	s_cbranch_scc1 .LBB113_90
; %bb.87:
	v_mov_b32_e32 v2, s24
	v_mov_b32_e32 v4, s20
	s_mov_b64 s[38:39], 0
	v_mov_b32_e32 v3, s25
	v_mov_b32_e32 v5, s21
	;; [unrolled: 1-line block ×3, first 2 shown]
.LBB113_88:                             ; =>This Inner Loop Header: Depth=1
	v_add_co_u32_e32 v7, vcc, v4, v2
	v_addc_co_u32_e32 v8, vcc, v5, v3, vcc
	v_lshrrev_b32_e32 v9, 31, v8
	v_add_co_u32_e32 v7, vcc, v7, v9
	v_addc_co_u32_e32 v8, vcc, 0, v8, vcc
	v_ashrrev_i64 v[7:8], 1, v[7:8]
	v_lshlrev_b64 v[9:10], 3, v[7:8]
	v_add_co_u32_e32 v9, vcc, s16, v9
	v_addc_co_u32_e32 v10, vcc, v6, v10, vcc
	global_load_dwordx2 v[9:10], v[9:10], off
	s_waitcnt vmcnt(0)
	v_subrev_co_u32_e32 v9, vcc, s30, v9
	v_subbrev_co_u32_e32 v10, vcc, 0, v10, vcc
	v_cmp_lt_i64_e32 vcc, v[14:15], v[9:10]
	v_cndmask_b32_e32 v4, v4, v7, vcc
	v_cndmask_b32_e32 v5, v5, v8, vcc
	;; [unrolled: 1-line block ×3, first 2 shown]
	v_add_co_u32_e64 v7, s[0:1], -1, v4
	v_cndmask_b32_e32 v3, v8, v3, vcc
	v_addc_co_u32_e64 v8, s[0:1], -1, v5, s[0:1]
	v_cmp_ge_i64_e32 vcc, v[2:3], v[4:5]
	v_cmp_eq_u64_e64 s[0:1], v[2:3], v[7:8]
	s_or_b64 s[0:1], vcc, s[0:1]
	s_and_b64 s[0:1], exec, s[0:1]
	s_or_b64 s[38:39], s[0:1], s[38:39]
	s_andn2_b64 exec, exec, s[38:39]
	s_cbranch_execnz .LBB113_88
; %bb.89:
	s_or_b64 exec, exec, s[38:39]
.LBB113_90:
	v_lshlrev_b64 v[6:7], 3, v[4:5]
	v_mov_b32_e32 v8, s17
	v_add_co_u32_e32 v6, vcc, s16, v6
	v_addc_co_u32_e32 v7, vcc, v8, v7, vcc
	v_lshlrev_b64 v[8:9], 2, v[14:15]
	global_load_dwordx2 v[6:7], v[6:7], off
	v_mov_b32_e32 v10, s19
	v_add_co_u32_e32 v18, vcc, s18, v8
	v_addc_co_u32_e32 v19, vcc, v10, v9, vcc
	global_load_dword v8, v[18:19], off
	s_lshl_b64 s[0:1], s[26:27], 3
	s_add_u32 s18, s16, s0
	s_addc_u32 s19, s17, s1
	s_waitcnt vmcnt(1)
	v_subrev_co_u32_e32 v6, vcc, s30, v6
	v_subbrev_co_u32_e32 v7, vcc, 0, v7, vcc
	v_cmp_lt_i64_e32 vcc, v[14:15], v[6:7]
	s_waitcnt vmcnt(0)
	v_subrev_u32_e32 v20, s30, v8
	v_cndmask_b32_e32 v3, v5, v3, vcc
	v_cndmask_b32_e32 v2, v4, v2, vcc
	v_ashrrev_i32_e32 v21, 31, v20
	v_cmp_ne_u64_e32 vcc, v[2:3], v[20:21]
	s_and_saveexec_b64 s[38:39], vcc
	s_cbranch_execz .LBB113_104
; %bb.91:
	s_load_dwordx2 s[0:1], s[18:19], 0x0
	s_waitcnt lgkmcnt(0)
	s_sub_u32 s0, s0, s30
	s_subb_u32 s1, s1, 0
	v_cmp_gt_i64_e32 vcc, s[0:1], v[14:15]
	s_and_b64 exec, exec, vcc
	s_cbranch_execz .LBB113_104
; %bb.92:
	v_cmp_gt_i64_e32 vcc, s[8:9], v[20:21]
	v_cmp_le_i64_e64 s[0:1], s[26:27], v[20:21]
	v_lshlrev_b64 v[2:3], 4, v[2:3]
	s_or_b64 s[0:1], vcc, s[0:1]
	s_and_saveexec_b64 s[40:41], s[0:1]
	s_xor_b64 s[0:1], exec, s[40:41]
	s_cbranch_execz .LBB113_98
; %bb.93:
	v_mov_b32_e32 v4, s23
	v_add_co_u32_e32 v2, vcc, s22, v2
	v_addc_co_u32_e32 v3, vcc, v4, v3, vcc
	global_load_dwordx4 v[2:5], v[2:3], off
	v_lshlrev_b64 v[6:7], 4, v[20:21]
	v_mov_b32_e32 v8, s15
	v_add_co_u32_e32 v22, vcc, s14, v6
	v_addc_co_u32_e32 v23, vcc, v8, v7, vcc
	global_load_dwordx2 v[12:13], v[22:23], off
	ds_read_b128 v[6:9], v26
	s_mov_b64 s[40:41], 0
	s_waitcnt vmcnt(1) lgkmcnt(0)
	v_mul_f64 v[10:11], v[4:5], -v[8:9]
	v_fma_f64 v[24:25], v[6:7], v[2:3], v[10:11]
.LBB113_94:                             ; =>This Inner Loop Header: Depth=1
	s_waitcnt vmcnt(0)
	v_add_f64 v[10:11], v[12:13], v[24:25]
	global_atomic_cmpswap_x2 v[10:11], v[22:23], v[10:13], off glc
	s_waitcnt vmcnt(0)
	v_cmp_eq_u64_e32 vcc, v[10:11], v[12:13]
	v_mov_b32_e32 v13, v11
	s_or_b64 s[40:41], vcc, s[40:41]
	v_mov_b32_e32 v12, v10
	s_andn2_b64 exec, exec, s[40:41]
	s_cbranch_execnz .LBB113_94
; %bb.95:
	s_or_b64 exec, exec, s[40:41]
	global_load_dwordx2 v[10:11], v[22:23], off offset:8
	v_mul_f64 v[4:5], v[4:5], v[6:7]
	s_mov_b64 s[40:41], 0
	v_fma_f64 v[2:3], v[8:9], v[2:3], v[4:5]
.LBB113_96:                             ; =>This Inner Loop Header: Depth=1
	s_waitcnt vmcnt(0)
	v_add_f64 v[8:9], v[10:11], v[2:3]
	global_atomic_cmpswap_x2 v[4:5], v[22:23], v[8:11], off offset:8 glc
	s_waitcnt vmcnt(0)
	v_cmp_eq_u64_e32 vcc, v[4:5], v[10:11]
	v_mov_b32_e32 v11, v5
	s_or_b64 s[40:41], vcc, s[40:41]
	v_mov_b32_e32 v10, v4
	s_andn2_b64 exec, exec, s[40:41]
	s_cbranch_execnz .LBB113_96
; %bb.97:
	s_or_b64 exec, exec, s[40:41]
                                        ; implicit-def: $vgpr2_vgpr3
.LBB113_98:
	s_andn2_saveexec_b64 s[0:1], s[0:1]
	s_cbranch_execz .LBB113_104
; %bb.99:
	v_mov_b32_e32 v4, s23
	v_add_co_u32_e32 v2, vcc, s22, v2
	v_addc_co_u32_e32 v3, vcc, v4, v3, vcc
	global_load_dwordx4 v[2:5], v[2:3], off
	ds_read_b128 v[6:9], v26
	v_subrev_u32_e32 v12, s8, v20
	v_mov_b32_e32 v13, 0x4000
	v_lshl_add_u32 v22, v12, 4, v13
	ds_read_b64 v[12:13], v22
	s_mov_b64 s[0:1], 0
	s_waitcnt vmcnt(0) lgkmcnt(1)
	v_mul_f64 v[10:11], v[4:5], -v[8:9]
	v_fma_f64 v[10:11], v[6:7], v[2:3], v[10:11]
.LBB113_100:                            ; =>This Inner Loop Header: Depth=1
	s_waitcnt lgkmcnt(0)
	v_add_f64 v[23:24], v[12:13], v[10:11]
	ds_cmpst_rtn_b64 v[23:24], v22, v[12:13], v[23:24]
	s_waitcnt lgkmcnt(0)
	v_cmp_eq_u64_e32 vcc, v[23:24], v[12:13]
	v_mov_b32_e32 v12, v23
	s_or_b64 s[0:1], vcc, s[0:1]
	v_mov_b32_e32 v13, v24
	s_andn2_b64 exec, exec, s[0:1]
	s_cbranch_execnz .LBB113_100
; %bb.101:
	s_or_b64 exec, exec, s[0:1]
	v_mul_f64 v[4:5], v[4:5], v[6:7]
	s_mov_b64 s[0:1], 0
	v_fma_f64 v[2:3], v[8:9], v[2:3], v[4:5]
	ds_read_b64 v[4:5], v22 offset:8
.LBB113_102:                            ; =>This Inner Loop Header: Depth=1
	s_waitcnt lgkmcnt(0)
	v_add_f64 v[6:7], v[4:5], v[2:3]
	ds_cmpst_rtn_b64 v[6:7], v22, v[4:5], v[6:7] offset:8
	s_waitcnt lgkmcnt(0)
	v_cmp_eq_u64_e32 vcc, v[6:7], v[4:5]
	v_mov_b32_e32 v4, v6
	s_or_b64 s[0:1], vcc, s[0:1]
	v_mov_b32_e32 v5, v7
	s_andn2_b64 exec, exec, s[0:1]
	s_cbranch_execnz .LBB113_102
; %bb.103:
	s_or_b64 exec, exec, s[0:1]
.LBB113_104:
	s_or_b64 exec, exec, s[38:39]
	v_lshlrev_b64 v[2:3], 4, v[20:21]
	v_mov_b32_e32 v4, s23
	v_add_co_u32_e32 v2, vcc, s22, v2
	v_addc_co_u32_e32 v3, vcc, v4, v3, vcc
	global_load_dwordx4 v[3:6], v[2:3], off
	ds_read_b128 v[7:10], v26
	v_add_co_u32_e32 v2, vcc, 0x100, v14
	s_waitcnt vmcnt(0) lgkmcnt(0)
	v_mul_f64 v[11:12], v[5:6], -v[9:10]
	v_mul_f64 v[20:21], v[5:6], v[7:8]
	v_fma_f64 v[6:7], v[7:8], v[3:4], v[11:12]
	v_fma_f64 v[8:9], v[9:10], v[3:4], v[20:21]
	v_cndmask_b32_e64 v10, 0, 1, s[2:3]
	v_mov_b32_e32 v4, s24
	v_addc_co_u32_e32 v3, vcc, 0, v15, vcc
	v_mov_b32_e32 v5, s25
	v_cmp_ne_u32_e64 s[0:1], 1, v10
	s_andn2_b64 vcc, exec, s[2:3]
	ds_write_b128 v26, v[6:9]
	v_mov_b32_e32 v6, s20
	v_mov_b32_e32 v7, s21
	s_cbranch_vccnz .LBB113_108
; %bb.105:
	v_mov_b32_e32 v4, s24
	v_mov_b32_e32 v6, s20
	s_mov_b64 s[38:39], 0
	v_mov_b32_e32 v5, s25
	v_mov_b32_e32 v7, s21
	;; [unrolled: 1-line block ×3, first 2 shown]
.LBB113_106:                            ; =>This Inner Loop Header: Depth=1
	v_add_co_u32_e32 v9, vcc, v6, v4
	v_addc_co_u32_e32 v10, vcc, v7, v5, vcc
	v_lshrrev_b32_e32 v11, 31, v10
	v_add_co_u32_e32 v9, vcc, v9, v11
	v_addc_co_u32_e32 v10, vcc, 0, v10, vcc
	v_ashrrev_i64 v[9:10], 1, v[9:10]
	v_lshlrev_b64 v[11:12], 3, v[9:10]
	v_add_co_u32_e32 v11, vcc, s16, v11
	v_addc_co_u32_e32 v12, vcc, v8, v12, vcc
	global_load_dwordx2 v[11:12], v[11:12], off
	s_waitcnt vmcnt(0)
	v_subrev_co_u32_e32 v11, vcc, s30, v11
	v_subbrev_co_u32_e32 v12, vcc, 0, v12, vcc
	v_cmp_lt_i64_e32 vcc, v[2:3], v[11:12]
	v_cndmask_b32_e32 v6, v6, v9, vcc
	v_cndmask_b32_e32 v7, v7, v10, vcc
	v_cndmask_b32_e32 v4, v9, v4, vcc
	v_add_co_u32_e64 v9, s[2:3], -1, v6
	v_cndmask_b32_e32 v5, v10, v5, vcc
	v_addc_co_u32_e64 v10, s[2:3], -1, v7, s[2:3]
	v_cmp_ge_i64_e32 vcc, v[4:5], v[6:7]
	v_cmp_eq_u64_e64 s[2:3], v[4:5], v[9:10]
	s_or_b64 s[2:3], vcc, s[2:3]
	s_and_b64 s[2:3], exec, s[2:3]
	s_or_b64 s[38:39], s[2:3], s[38:39]
	s_andn2_b64 exec, exec, s[38:39]
	s_cbranch_execnz .LBB113_106
; %bb.107:
	s_or_b64 exec, exec, s[38:39]
.LBB113_108:
	v_lshlrev_b64 v[8:9], 3, v[6:7]
	v_mov_b32_e32 v10, s17
	v_add_co_u32_e32 v8, vcc, s16, v8
	v_addc_co_u32_e32 v9, vcc, v10, v9, vcc
	global_load_dwordx2 v[8:9], v[8:9], off
	s_waitcnt vmcnt(0)
	v_subrev_co_u32_e32 v8, vcc, s30, v8
	global_load_dword v11, v[18:19], off offset:1024
	v_subbrev_co_u32_e32 v9, vcc, 0, v9, vcc
	v_cmp_lt_i64_e32 vcc, v[2:3], v[8:9]
	v_cndmask_b32_e32 v5, v7, v5, vcc
	v_cndmask_b32_e32 v4, v6, v4, vcc
	s_waitcnt vmcnt(0)
	v_subrev_u32_e32 v20, s30, v11
	v_ashrrev_i32_e32 v21, 31, v20
	v_cmp_ne_u64_e32 vcc, v[4:5], v[20:21]
	s_and_saveexec_b64 s[38:39], vcc
	s_cbranch_execz .LBB113_122
; %bb.109:
	s_load_dwordx2 s[2:3], s[18:19], 0x0
	s_waitcnt lgkmcnt(0)
	s_sub_u32 s2, s2, s30
	s_subb_u32 s3, s3, 0
	v_cmp_gt_i64_e32 vcc, s[2:3], v[2:3]
	s_and_b64 exec, exec, vcc
	s_cbranch_execz .LBB113_122
; %bb.110:
	v_cmp_gt_i64_e32 vcc, s[8:9], v[20:21]
	v_cmp_le_i64_e64 s[2:3], s[26:27], v[20:21]
	v_lshlrev_b64 v[2:3], 4, v[4:5]
	s_or_b64 s[2:3], vcc, s[2:3]
	s_and_saveexec_b64 s[40:41], s[2:3]
	s_xor_b64 s[2:3], exec, s[40:41]
	s_cbranch_execz .LBB113_116
; %bb.111:
	v_mov_b32_e32 v4, s23
	v_add_co_u32_e32 v2, vcc, s22, v2
	v_addc_co_u32_e32 v3, vcc, v4, v3, vcc
	global_load_dwordx4 v[2:5], v[2:3], off
	v_lshlrev_b64 v[6:7], 4, v[20:21]
	v_mov_b32_e32 v8, s15
	v_add_co_u32_e32 v22, vcc, s14, v6
	v_addc_co_u32_e32 v23, vcc, v8, v7, vcc
	global_load_dwordx2 v[12:13], v[22:23], off
	ds_read_b128 v[6:9], v26 offset:4096
	s_mov_b64 s[40:41], 0
	s_waitcnt vmcnt(1) lgkmcnt(0)
	v_mul_f64 v[10:11], v[4:5], -v[8:9]
	v_fma_f64 v[24:25], v[6:7], v[2:3], v[10:11]
.LBB113_112:                            ; =>This Inner Loop Header: Depth=1
	s_waitcnt vmcnt(0)
	v_add_f64 v[10:11], v[12:13], v[24:25]
	global_atomic_cmpswap_x2 v[10:11], v[22:23], v[10:13], off glc
	s_waitcnt vmcnt(0)
	v_cmp_eq_u64_e32 vcc, v[10:11], v[12:13]
	v_mov_b32_e32 v13, v11
	s_or_b64 s[40:41], vcc, s[40:41]
	v_mov_b32_e32 v12, v10
	s_andn2_b64 exec, exec, s[40:41]
	s_cbranch_execnz .LBB113_112
; %bb.113:
	s_or_b64 exec, exec, s[40:41]
	global_load_dwordx2 v[10:11], v[22:23], off offset:8
	v_mul_f64 v[4:5], v[4:5], v[6:7]
	s_mov_b64 s[40:41], 0
	v_fma_f64 v[2:3], v[8:9], v[2:3], v[4:5]
.LBB113_114:                            ; =>This Inner Loop Header: Depth=1
	s_waitcnt vmcnt(0)
	v_add_f64 v[8:9], v[10:11], v[2:3]
	global_atomic_cmpswap_x2 v[4:5], v[22:23], v[8:11], off offset:8 glc
	s_waitcnt vmcnt(0)
	v_cmp_eq_u64_e32 vcc, v[4:5], v[10:11]
	v_mov_b32_e32 v11, v5
	s_or_b64 s[40:41], vcc, s[40:41]
	v_mov_b32_e32 v10, v4
	s_andn2_b64 exec, exec, s[40:41]
	s_cbranch_execnz .LBB113_114
; %bb.115:
	s_or_b64 exec, exec, s[40:41]
                                        ; implicit-def: $vgpr2_vgpr3
.LBB113_116:
	s_andn2_saveexec_b64 s[2:3], s[2:3]
	s_cbranch_execz .LBB113_122
; %bb.117:
	v_mov_b32_e32 v4, s23
	v_add_co_u32_e32 v2, vcc, s22, v2
	v_addc_co_u32_e32 v3, vcc, v4, v3, vcc
	global_load_dwordx4 v[2:5], v[2:3], off
	ds_read_b128 v[6:9], v26 offset:4096
	v_subrev_u32_e32 v12, s8, v20
	v_mov_b32_e32 v13, 0x4000
	v_lshl_add_u32 v22, v12, 4, v13
	ds_read_b64 v[12:13], v22
	s_mov_b64 s[2:3], 0
	s_waitcnt vmcnt(0) lgkmcnt(1)
	v_mul_f64 v[10:11], v[4:5], -v[8:9]
	v_fma_f64 v[10:11], v[6:7], v[2:3], v[10:11]
.LBB113_118:                            ; =>This Inner Loop Header: Depth=1
	s_waitcnt lgkmcnt(0)
	v_add_f64 v[23:24], v[12:13], v[10:11]
	ds_cmpst_rtn_b64 v[23:24], v22, v[12:13], v[23:24]
	s_waitcnt lgkmcnt(0)
	v_cmp_eq_u64_e32 vcc, v[23:24], v[12:13]
	v_mov_b32_e32 v12, v23
	s_or_b64 s[2:3], vcc, s[2:3]
	v_mov_b32_e32 v13, v24
	s_andn2_b64 exec, exec, s[2:3]
	s_cbranch_execnz .LBB113_118
; %bb.119:
	s_or_b64 exec, exec, s[2:3]
	v_mul_f64 v[4:5], v[4:5], v[6:7]
	s_mov_b64 s[2:3], 0
	v_fma_f64 v[2:3], v[8:9], v[2:3], v[4:5]
	ds_read_b64 v[4:5], v22 offset:8
.LBB113_120:                            ; =>This Inner Loop Header: Depth=1
	s_waitcnt lgkmcnt(0)
	v_add_f64 v[6:7], v[4:5], v[2:3]
	ds_cmpst_rtn_b64 v[6:7], v22, v[4:5], v[6:7] offset:8
	s_waitcnt lgkmcnt(0)
	v_cmp_eq_u64_e32 vcc, v[6:7], v[4:5]
	v_mov_b32_e32 v4, v6
	s_or_b64 s[2:3], vcc, s[2:3]
	v_mov_b32_e32 v5, v7
	s_andn2_b64 exec, exec, s[2:3]
	s_cbranch_execnz .LBB113_120
; %bb.121:
	s_or_b64 exec, exec, s[2:3]
.LBB113_122:
	s_or_b64 exec, exec, s[38:39]
	v_lshlrev_b64 v[2:3], 4, v[20:21]
	v_mov_b32_e32 v4, s23
	v_add_co_u32_e32 v2, vcc, s22, v2
	v_addc_co_u32_e32 v3, vcc, v4, v3, vcc
	global_load_dwordx4 v[2:5], v[2:3], off
	ds_read_b128 v[6:9], v26 offset:4096
	s_waitcnt vmcnt(0) lgkmcnt(0)
	v_mul_f64 v[10:11], v[4:5], -v[8:9]
	v_mul_f64 v[4:5], v[4:5], v[6:7]
	v_fma_f64 v[6:7], v[6:7], v[2:3], v[10:11]
	v_fma_f64 v[8:9], v[8:9], v[2:3], v[4:5]
	v_add_co_u32_e32 v2, vcc, 0x200, v14
	v_mov_b32_e32 v4, s24
	v_addc_co_u32_e32 v3, vcc, 0, v15, vcc
	v_mov_b32_e32 v5, s25
	s_and_b64 vcc, exec, s[0:1]
	ds_write_b128 v26, v[6:9] offset:4096
	v_mov_b32_e32 v6, s20
	v_mov_b32_e32 v7, s21
	s_cbranch_vccnz .LBB113_126
; %bb.123:
	v_mov_b32_e32 v4, s24
	v_mov_b32_e32 v6, s20
	s_mov_b64 s[38:39], 0
	v_mov_b32_e32 v5, s25
	v_mov_b32_e32 v7, s21
	;; [unrolled: 1-line block ×3, first 2 shown]
.LBB113_124:                            ; =>This Inner Loop Header: Depth=1
	v_add_co_u32_e32 v9, vcc, v6, v4
	v_addc_co_u32_e32 v10, vcc, v7, v5, vcc
	v_lshrrev_b32_e32 v11, 31, v10
	v_add_co_u32_e32 v9, vcc, v9, v11
	v_addc_co_u32_e32 v10, vcc, 0, v10, vcc
	v_ashrrev_i64 v[9:10], 1, v[9:10]
	v_lshlrev_b64 v[11:12], 3, v[9:10]
	v_add_co_u32_e32 v11, vcc, s16, v11
	v_addc_co_u32_e32 v12, vcc, v8, v12, vcc
	global_load_dwordx2 v[11:12], v[11:12], off
	s_waitcnt vmcnt(0)
	v_subrev_co_u32_e32 v11, vcc, s30, v11
	v_subbrev_co_u32_e32 v12, vcc, 0, v12, vcc
	v_cmp_lt_i64_e32 vcc, v[2:3], v[11:12]
	v_cndmask_b32_e32 v6, v6, v9, vcc
	v_cndmask_b32_e32 v7, v7, v10, vcc
	;; [unrolled: 1-line block ×3, first 2 shown]
	v_add_co_u32_e64 v9, s[2:3], -1, v6
	v_cndmask_b32_e32 v5, v10, v5, vcc
	v_addc_co_u32_e64 v10, s[2:3], -1, v7, s[2:3]
	v_cmp_ge_i64_e32 vcc, v[4:5], v[6:7]
	v_cmp_eq_u64_e64 s[2:3], v[4:5], v[9:10]
	s_or_b64 s[2:3], vcc, s[2:3]
	s_and_b64 s[2:3], exec, s[2:3]
	s_or_b64 s[38:39], s[2:3], s[38:39]
	s_andn2_b64 exec, exec, s[38:39]
	s_cbranch_execnz .LBB113_124
; %bb.125:
	s_or_b64 exec, exec, s[38:39]
.LBB113_126:
	v_lshlrev_b64 v[8:9], 3, v[6:7]
	v_mov_b32_e32 v10, s17
	v_add_co_u32_e32 v8, vcc, s16, v8
	v_addc_co_u32_e32 v9, vcc, v10, v9, vcc
	global_load_dwordx2 v[8:9], v[8:9], off
	s_waitcnt vmcnt(0)
	v_subrev_co_u32_e32 v8, vcc, s30, v8
	global_load_dword v11, v[18:19], off offset:2048
	v_subbrev_co_u32_e32 v9, vcc, 0, v9, vcc
	v_cmp_lt_i64_e32 vcc, v[2:3], v[8:9]
	v_cndmask_b32_e32 v5, v7, v5, vcc
	v_cndmask_b32_e32 v4, v6, v4, vcc
	s_waitcnt vmcnt(0)
	v_subrev_u32_e32 v14, s30, v11
	v_ashrrev_i32_e32 v15, 31, v14
	v_cmp_ne_u64_e32 vcc, v[4:5], v[14:15]
	s_and_saveexec_b64 s[38:39], vcc
	s_cbranch_execz .LBB113_140
; %bb.127:
	s_load_dwordx2 s[2:3], s[18:19], 0x0
	s_waitcnt lgkmcnt(0)
	s_sub_u32 s2, s2, s30
	s_subb_u32 s3, s3, 0
	v_cmp_gt_i64_e32 vcc, s[2:3], v[2:3]
	s_and_b64 exec, exec, vcc
	s_cbranch_execz .LBB113_140
; %bb.128:
	v_cmp_gt_i64_e32 vcc, s[8:9], v[14:15]
	v_cmp_le_i64_e64 s[2:3], s[26:27], v[14:15]
	v_lshlrev_b64 v[2:3], 4, v[4:5]
	s_or_b64 s[2:3], vcc, s[2:3]
	s_and_saveexec_b64 s[40:41], s[2:3]
	s_xor_b64 s[2:3], exec, s[40:41]
	s_cbranch_execz .LBB113_134
; %bb.129:
	v_mov_b32_e32 v4, s23
	v_add_co_u32_e32 v2, vcc, s22, v2
	v_addc_co_u32_e32 v3, vcc, v4, v3, vcc
	global_load_dwordx4 v[2:5], v[2:3], off
	v_lshlrev_b64 v[6:7], 4, v[14:15]
	v_mov_b32_e32 v8, s15
	v_add_co_u32_e32 v20, vcc, s14, v6
	v_addc_co_u32_e32 v21, vcc, v8, v7, vcc
	global_load_dwordx2 v[12:13], v[20:21], off
	ds_read_b128 v[6:9], v26 offset:8192
	s_mov_b64 s[40:41], 0
	s_waitcnt vmcnt(1) lgkmcnt(0)
	v_mul_f64 v[10:11], v[4:5], -v[8:9]
	v_fma_f64 v[22:23], v[6:7], v[2:3], v[10:11]
.LBB113_130:                            ; =>This Inner Loop Header: Depth=1
	s_waitcnt vmcnt(0)
	v_add_f64 v[10:11], v[12:13], v[22:23]
	global_atomic_cmpswap_x2 v[10:11], v[20:21], v[10:13], off glc
	s_waitcnt vmcnt(0)
	v_cmp_eq_u64_e32 vcc, v[10:11], v[12:13]
	v_mov_b32_e32 v13, v11
	s_or_b64 s[40:41], vcc, s[40:41]
	v_mov_b32_e32 v12, v10
	s_andn2_b64 exec, exec, s[40:41]
	s_cbranch_execnz .LBB113_130
; %bb.131:
	s_or_b64 exec, exec, s[40:41]
	global_load_dwordx2 v[10:11], v[20:21], off offset:8
	v_mul_f64 v[4:5], v[4:5], v[6:7]
	s_mov_b64 s[40:41], 0
	v_fma_f64 v[2:3], v[8:9], v[2:3], v[4:5]
.LBB113_132:                            ; =>This Inner Loop Header: Depth=1
	s_waitcnt vmcnt(0)
	v_add_f64 v[8:9], v[10:11], v[2:3]
	global_atomic_cmpswap_x2 v[4:5], v[20:21], v[8:11], off offset:8 glc
	s_waitcnt vmcnt(0)
	v_cmp_eq_u64_e32 vcc, v[4:5], v[10:11]
	v_mov_b32_e32 v11, v5
	s_or_b64 s[40:41], vcc, s[40:41]
	v_mov_b32_e32 v10, v4
	s_andn2_b64 exec, exec, s[40:41]
	s_cbranch_execnz .LBB113_132
; %bb.133:
	s_or_b64 exec, exec, s[40:41]
                                        ; implicit-def: $vgpr2_vgpr3
.LBB113_134:
	s_andn2_saveexec_b64 s[2:3], s[2:3]
	s_cbranch_execz .LBB113_140
; %bb.135:
	v_mov_b32_e32 v4, s23
	v_add_co_u32_e32 v2, vcc, s22, v2
	v_addc_co_u32_e32 v3, vcc, v4, v3, vcc
	global_load_dwordx4 v[2:5], v[2:3], off
	ds_read_b128 v[6:9], v26 offset:8192
	v_subrev_u32_e32 v12, s8, v14
	v_mov_b32_e32 v13, 0x4000
	v_lshl_add_u32 v20, v12, 4, v13
	ds_read_b64 v[12:13], v20
	s_mov_b64 s[2:3], 0
	s_waitcnt vmcnt(0) lgkmcnt(1)
	v_mul_f64 v[10:11], v[4:5], -v[8:9]
	v_fma_f64 v[10:11], v[6:7], v[2:3], v[10:11]
.LBB113_136:                            ; =>This Inner Loop Header: Depth=1
	s_waitcnt lgkmcnt(0)
	v_add_f64 v[21:22], v[12:13], v[10:11]
	ds_cmpst_rtn_b64 v[21:22], v20, v[12:13], v[21:22]
	s_waitcnt lgkmcnt(0)
	v_cmp_eq_u64_e32 vcc, v[21:22], v[12:13]
	v_mov_b32_e32 v12, v21
	s_or_b64 s[2:3], vcc, s[2:3]
	v_mov_b32_e32 v13, v22
	s_andn2_b64 exec, exec, s[2:3]
	s_cbranch_execnz .LBB113_136
; %bb.137:
	s_or_b64 exec, exec, s[2:3]
	v_mul_f64 v[4:5], v[4:5], v[6:7]
	s_mov_b64 s[2:3], 0
	v_fma_f64 v[2:3], v[8:9], v[2:3], v[4:5]
	ds_read_b64 v[4:5], v20 offset:8
.LBB113_138:                            ; =>This Inner Loop Header: Depth=1
	s_waitcnt lgkmcnt(0)
	v_add_f64 v[6:7], v[4:5], v[2:3]
	ds_cmpst_rtn_b64 v[6:7], v20, v[4:5], v[6:7] offset:8
	s_waitcnt lgkmcnt(0)
	v_cmp_eq_u64_e32 vcc, v[6:7], v[4:5]
	v_mov_b32_e32 v4, v6
	s_or_b64 s[2:3], vcc, s[2:3]
	v_mov_b32_e32 v5, v7
	s_andn2_b64 exec, exec, s[2:3]
	s_cbranch_execnz .LBB113_138
; %bb.139:
	s_or_b64 exec, exec, s[2:3]
.LBB113_140:
	s_or_b64 exec, exec, s[38:39]
	v_lshlrev_b64 v[2:3], 4, v[14:15]
	v_mov_b32_e32 v4, s23
	v_add_co_u32_e32 v2, vcc, s22, v2
	v_addc_co_u32_e32 v3, vcc, v4, v3, vcc
	global_load_dwordx4 v[2:5], v[2:3], off
	ds_read_b128 v[6:9], v26 offset:8192
	s_and_b64 vcc, exec, s[0:1]
	s_waitcnt vmcnt(0) lgkmcnt(0)
	v_mul_f64 v[10:11], v[4:5], -v[8:9]
	v_mul_f64 v[12:13], v[4:5], v[6:7]
	v_fma_f64 v[4:5], v[6:7], v[2:3], v[10:11]
	v_fma_f64 v[6:7], v[8:9], v[2:3], v[12:13]
	v_mov_b32_e32 v2, s24
	v_mov_b32_e32 v3, s25
	ds_write_b128 v26, v[4:7] offset:8192
	v_mov_b32_e32 v4, s20
	v_mov_b32_e32 v5, s21
	s_cbranch_vccnz .LBB113_144
; %bb.141:
	v_mov_b32_e32 v2, s24
	v_mov_b32_e32 v4, s20
	s_mov_b64 s[2:3], 0
	v_mov_b32_e32 v3, s25
	v_mov_b32_e32 v5, s21
	;; [unrolled: 1-line block ×3, first 2 shown]
.LBB113_142:                            ; =>This Inner Loop Header: Depth=1
	v_add_co_u32_e32 v7, vcc, v4, v2
	v_addc_co_u32_e32 v8, vcc, v5, v3, vcc
	v_lshrrev_b32_e32 v9, 31, v8
	v_add_co_u32_e32 v7, vcc, v7, v9
	v_addc_co_u32_e32 v8, vcc, 0, v8, vcc
	v_ashrrev_i64 v[7:8], 1, v[7:8]
	v_lshlrev_b64 v[9:10], 3, v[7:8]
	v_add_co_u32_e32 v9, vcc, s16, v9
	v_addc_co_u32_e32 v10, vcc, v6, v10, vcc
	global_load_dwordx2 v[9:10], v[9:10], off
	s_waitcnt vmcnt(0)
	v_subrev_co_u32_e32 v9, vcc, s30, v9
	v_subbrev_co_u32_e32 v10, vcc, 0, v10, vcc
	v_cmp_lt_i64_e32 vcc, v[16:17], v[9:10]
	v_cndmask_b32_e32 v4, v4, v7, vcc
	v_cndmask_b32_e32 v5, v5, v8, vcc
	;; [unrolled: 1-line block ×3, first 2 shown]
	v_add_co_u32_e64 v7, s[0:1], -1, v4
	v_cndmask_b32_e32 v3, v8, v3, vcc
	v_addc_co_u32_e64 v8, s[0:1], -1, v5, s[0:1]
	v_cmp_ge_i64_e32 vcc, v[2:3], v[4:5]
	v_cmp_eq_u64_e64 s[0:1], v[2:3], v[7:8]
	s_or_b64 s[0:1], vcc, s[0:1]
	s_and_b64 s[0:1], exec, s[0:1]
	s_or_b64 s[2:3], s[0:1], s[2:3]
	s_andn2_b64 exec, exec, s[2:3]
	s_cbranch_execnz .LBB113_142
; %bb.143:
	s_or_b64 exec, exec, s[2:3]
.LBB113_144:
	v_lshlrev_b64 v[6:7], 3, v[4:5]
	v_mov_b32_e32 v8, s17
	v_add_co_u32_e32 v6, vcc, s16, v6
	v_addc_co_u32_e32 v7, vcc, v8, v7, vcc
	global_load_dwordx2 v[6:7], v[6:7], off
	s_waitcnt vmcnt(0)
	v_subrev_co_u32_e32 v6, vcc, s30, v6
	global_load_dword v9, v[18:19], off offset:3072
	v_subbrev_co_u32_e32 v7, vcc, 0, v7, vcc
	v_cmp_lt_i64_e32 vcc, v[16:17], v[6:7]
	v_cndmask_b32_e32 v3, v5, v3, vcc
	v_cndmask_b32_e32 v2, v4, v2, vcc
	s_waitcnt vmcnt(0)
	v_subrev_u32_e32 v14, s30, v9
	v_ashrrev_i32_e32 v15, 31, v14
	v_cmp_ne_u64_e32 vcc, v[2:3], v[14:15]
	s_and_saveexec_b64 s[2:3], vcc
	s_cbranch_execz .LBB113_158
; %bb.145:
	s_load_dwordx2 s[0:1], s[18:19], 0x0
	s_waitcnt lgkmcnt(0)
	s_sub_u32 s0, s0, s30
	s_subb_u32 s1, s1, 0
	v_cmp_gt_i64_e32 vcc, s[0:1], v[16:17]
	s_and_b64 exec, exec, vcc
	s_cbranch_execz .LBB113_158
; %bb.146:
	v_cmp_gt_i64_e32 vcc, s[8:9], v[14:15]
	v_cmp_le_i64_e64 s[0:1], s[26:27], v[14:15]
	v_lshlrev_b64 v[2:3], 4, v[2:3]
	s_or_b64 s[0:1], vcc, s[0:1]
	s_and_saveexec_b64 s[18:19], s[0:1]
	s_xor_b64 s[0:1], exec, s[18:19]
	s_cbranch_execz .LBB113_152
; %bb.147:
	v_mov_b32_e32 v4, s23
	v_add_co_u32_e32 v2, vcc, s22, v2
	v_addc_co_u32_e32 v3, vcc, v4, v3, vcc
	global_load_dwordx4 v[2:5], v[2:3], off
	v_lshlrev_b64 v[6:7], 4, v[14:15]
	v_mov_b32_e32 v8, s15
	v_add_co_u32_e32 v16, vcc, s14, v6
	v_addc_co_u32_e32 v17, vcc, v8, v7, vcc
	global_load_dwordx2 v[12:13], v[16:17], off
	ds_read_b128 v[6:9], v26 offset:12288
	s_mov_b64 s[18:19], 0
	s_waitcnt vmcnt(1) lgkmcnt(0)
	v_mul_f64 v[10:11], v[4:5], -v[8:9]
	v_fma_f64 v[18:19], v[6:7], v[2:3], v[10:11]
.LBB113_148:                            ; =>This Inner Loop Header: Depth=1
	s_waitcnt vmcnt(0)
	v_add_f64 v[10:11], v[12:13], v[18:19]
	global_atomic_cmpswap_x2 v[10:11], v[16:17], v[10:13], off glc
	s_waitcnt vmcnt(0)
	v_cmp_eq_u64_e32 vcc, v[10:11], v[12:13]
	v_mov_b32_e32 v13, v11
	s_or_b64 s[18:19], vcc, s[18:19]
	v_mov_b32_e32 v12, v10
	s_andn2_b64 exec, exec, s[18:19]
	s_cbranch_execnz .LBB113_148
; %bb.149:
	s_or_b64 exec, exec, s[18:19]
	global_load_dwordx2 v[10:11], v[16:17], off offset:8
	v_mul_f64 v[4:5], v[4:5], v[6:7]
	s_mov_b64 s[18:19], 0
	v_fma_f64 v[2:3], v[8:9], v[2:3], v[4:5]
.LBB113_150:                            ; =>This Inner Loop Header: Depth=1
	s_waitcnt vmcnt(0)
	v_add_f64 v[8:9], v[10:11], v[2:3]
	global_atomic_cmpswap_x2 v[4:5], v[16:17], v[8:11], off offset:8 glc
	s_waitcnt vmcnt(0)
	v_cmp_eq_u64_e32 vcc, v[4:5], v[10:11]
	v_mov_b32_e32 v11, v5
	s_or_b64 s[18:19], vcc, s[18:19]
	v_mov_b32_e32 v10, v4
	s_andn2_b64 exec, exec, s[18:19]
	s_cbranch_execnz .LBB113_150
; %bb.151:
	s_or_b64 exec, exec, s[18:19]
                                        ; implicit-def: $vgpr2_vgpr3
.LBB113_152:
	s_andn2_saveexec_b64 s[0:1], s[0:1]
	s_cbranch_execz .LBB113_158
; %bb.153:
	v_mov_b32_e32 v4, s23
	v_add_co_u32_e32 v2, vcc, s22, v2
	v_addc_co_u32_e32 v3, vcc, v4, v3, vcc
	global_load_dwordx4 v[2:5], v[2:3], off
	ds_read_b128 v[6:9], v26 offset:12288
	v_subrev_u32_e32 v12, s8, v14
	v_mov_b32_e32 v13, 0x4000
	v_lshl_add_u32 v16, v12, 4, v13
	ds_read_b64 v[12:13], v16
	s_mov_b64 s[0:1], 0
	s_waitcnt vmcnt(0) lgkmcnt(1)
	v_mul_f64 v[10:11], v[4:5], -v[8:9]
	v_fma_f64 v[10:11], v[6:7], v[2:3], v[10:11]
.LBB113_154:                            ; =>This Inner Loop Header: Depth=1
	s_waitcnt lgkmcnt(0)
	v_add_f64 v[17:18], v[12:13], v[10:11]
	ds_cmpst_rtn_b64 v[17:18], v16, v[12:13], v[17:18]
	s_waitcnt lgkmcnt(0)
	v_cmp_eq_u64_e32 vcc, v[17:18], v[12:13]
	v_mov_b32_e32 v12, v17
	s_or_b64 s[0:1], vcc, s[0:1]
	v_mov_b32_e32 v13, v18
	s_andn2_b64 exec, exec, s[0:1]
	s_cbranch_execnz .LBB113_154
; %bb.155:
	s_or_b64 exec, exec, s[0:1]
	v_mul_f64 v[4:5], v[4:5], v[6:7]
	s_mov_b64 s[0:1], 0
	v_fma_f64 v[2:3], v[8:9], v[2:3], v[4:5]
	ds_read_b64 v[4:5], v16 offset:8
.LBB113_156:                            ; =>This Inner Loop Header: Depth=1
	s_waitcnt lgkmcnt(0)
	v_add_f64 v[6:7], v[4:5], v[2:3]
	ds_cmpst_rtn_b64 v[6:7], v16, v[4:5], v[6:7] offset:8
	s_waitcnt lgkmcnt(0)
	v_cmp_eq_u64_e32 vcc, v[6:7], v[4:5]
	v_mov_b32_e32 v4, v6
	s_or_b64 s[0:1], vcc, s[0:1]
	v_mov_b32_e32 v5, v7
	s_andn2_b64 exec, exec, s[0:1]
	s_cbranch_execnz .LBB113_156
; %bb.157:
	s_or_b64 exec, exec, s[0:1]
.LBB113_158:
	s_or_b64 exec, exec, s[2:3]
	v_lshlrev_b64 v[2:3], 4, v[14:15]
	v_mov_b32_e32 v4, s23
	v_add_co_u32_e32 v2, vcc, s22, v2
	v_addc_co_u32_e32 v3, vcc, v4, v3, vcc
	global_load_dwordx4 v[2:5], v[2:3], off
	ds_read_b128 v[6:9], v26 offset:12288
	s_waitcnt vmcnt(0) lgkmcnt(0)
	v_mul_f64 v[10:11], v[4:5], -v[8:9]
	v_mul_f64 v[12:13], v[4:5], v[6:7]
	v_fma_f64 v[4:5], v[6:7], v[2:3], v[10:11]
	v_fma_f64 v[6:7], v[8:9], v[2:3], v[12:13]
	ds_write_b128 v26, v[4:7] offset:12288
.LBB113_159:
	s_or_b64 exec, exec, s[4:5]
	v_mov_b32_e32 v2, s10
	v_mov_b32_e32 v3, s11
	v_cmp_lt_i64_e32 vcc, s[26:27], v[2:3]
	s_waitcnt lgkmcnt(0)
	s_and_b64 s[0:1], vcc, exec
	s_cselect_b32 s10, s26, s10
	s_cselect_b32 s0, s27, s11
	s_sub_u32 s2, s10, s28
	s_subb_u32 s3, s0, s29
	v_cmp_gt_i64_e32 vcc, s[2:3], v[0:1]
	s_barrier
	s_and_saveexec_b64 s[0:1], vcc
	s_cbranch_execz .LBB113_166
; %bb.160:
	s_lshl_b64 s[4:5], s[8:9], 4
	s_add_u32 s11, s14, s4
	s_addc_u32 s8, s15, s5
	v_mov_b32_e32 v11, v1
	s_mov_b64 s[4:5], 0
	v_mov_b32_e32 v14, s8
	v_mov_b32_e32 v15, 0x4000
	;; [unrolled: 1-line block ×3, first 2 shown]
.LBB113_161:                            ; =>This Loop Header: Depth=1
                                        ;     Child Loop BB113_162 Depth 2
                                        ;     Child Loop BB113_164 Depth 2
	v_lshlrev_b64 v[2:3], 4, v[10:11]
	s_mov_b64 s[8:9], 0
	v_add_co_u32_e32 v12, vcc, s11, v2
	v_addc_co_u32_e32 v13, vcc, v14, v3, vcc
	global_load_dwordx2 v[8:9], v[12:13], off
	v_lshl_add_u32 v2, v10, 4, v15
	ds_read2_b64 v[2:5], v2 offset1:1
.LBB113_162:                            ;   Parent Loop BB113_161 Depth=1
                                        ; =>  This Inner Loop Header: Depth=2
	s_waitcnt vmcnt(0) lgkmcnt(0)
	v_add_f64 v[6:7], v[8:9], v[2:3]
	global_atomic_cmpswap_x2 v[6:7], v[12:13], v[6:9], off glc
	s_waitcnt vmcnt(0)
	v_cmp_eq_u64_e32 vcc, v[6:7], v[8:9]
	v_mov_b32_e32 v9, v7
	s_or_b64 s[8:9], vcc, s[8:9]
	v_mov_b32_e32 v8, v6
	s_andn2_b64 exec, exec, s[8:9]
	s_cbranch_execnz .LBB113_162
; %bb.163:                              ;   in Loop: Header=BB113_161 Depth=1
	s_or_b64 exec, exec, s[8:9]
	global_load_dwordx2 v[8:9], v[12:13], off offset:8
	s_mov_b64 s[8:9], 0
.LBB113_164:                            ;   Parent Loop BB113_161 Depth=1
                                        ; =>  This Inner Loop Header: Depth=2
	s_waitcnt vmcnt(0)
	v_add_f64 v[6:7], v[8:9], v[4:5]
	global_atomic_cmpswap_x2 v[2:3], v[12:13], v[6:9], off offset:8 glc
	s_waitcnt vmcnt(0)
	v_cmp_eq_u64_e32 vcc, v[2:3], v[8:9]
	v_mov_b32_e32 v9, v3
	s_or_b64 s[8:9], vcc, s[8:9]
	v_mov_b32_e32 v8, v2
	s_andn2_b64 exec, exec, s[8:9]
	s_cbranch_execnz .LBB113_164
; %bb.165:                              ;   in Loop: Header=BB113_161 Depth=1
	s_or_b64 exec, exec, s[8:9]
	v_add_co_u32_e32 v10, vcc, 0x100, v10
	v_addc_co_u32_e32 v11, vcc, 0, v11, vcc
	v_cmp_le_i64_e32 vcc, s[2:3], v[10:11]
	s_or_b64 s[4:5], vcc, s[4:5]
	s_andn2_b64 exec, exec, s[4:5]
	s_cbranch_execnz .LBB113_161
.LBB113_166:
	s_or_b64 exec, exec, s[0:1]
	s_add_i32 s0, s36, -1
	s_ashr_i32 s1, s0, 1
	s_or_b32 s0, s1, s0
	s_ashr_i32 s1, s0, 2
	s_or_b32 s0, s1, s0
	s_ashr_i32 s1, s0, 4
	s_or_b32 s0, s1, s0
	s_ashr_i32 s1, s0, 8
	s_or_b32 s0, s1, s0
	s_ashr_i32 s1, s0, 16
	s_or_b32 s0, s1, s0
	s_add_i32 s0, s0, 1
	s_ashr_i32 s3, s0, 1
	v_mov_b32_e32 v2, s25
	v_add_co_u32_e32 v10, vcc, s24, v0
	v_addc_co_u32_e32 v11, vcc, 0, v2, vcc
	s_cmp_gt_i32 s3, 1
	s_mov_b64 s[0:1], -1
	s_barrier
	s_cbranch_scc1 .LBB113_179
; %bb.167:
	v_cmp_gt_i64_e32 vcc, s[26:27], v[10:11]
	s_and_saveexec_b64 s[0:1], vcc
	s_cbranch_execz .LBB113_178
; %bb.168:
	s_sub_i32 s4, s10, s26
	s_lshl_b32 s4, s4, 4
	s_add_i32 s13, s4, 0x4000
	s_lshl_b32 s4, s6, 4
	v_mov_b32_e32 v13, v11
	s_sub_i32 s18, 0, s4
	s_mov_b64 s[4:5], 0
	v_mov_b32_e32 v18, s17
	v_mov_b32_e32 v19, s15
	;; [unrolled: 1-line block ×3, first 2 shown]
.LBB113_169:                            ; =>This Loop Header: Depth=1
                                        ;     Child Loop BB113_171 Depth 2
                                        ;     Child Loop BB113_174 Depth 2
	;; [unrolled: 1-line block ×3, first 2 shown]
	v_lshlrev_b64 v[2:3], 3, v[12:13]
	v_mov_b32_e32 v14, 0
	v_add_co_u32_e32 v2, vcc, s16, v2
	v_addc_co_u32_e32 v3, vcc, v18, v3, vcc
	global_load_dwordx4 v[2:5], v[2:3], off
	v_mov_b32_e32 v6, 0
	v_mov_b32_e32 v15, 0
	;; [unrolled: 1-line block ×3, first 2 shown]
	s_waitcnt vmcnt(0)
	v_cmp_lt_i64_e32 vcc, v[2:3], v[4:5]
	s_and_saveexec_b64 s[8:9], vcc
	s_cbranch_execz .LBB113_173
; %bb.170:                              ;   in Loop: Header=BB113_169 Depth=1
	v_mov_b32_e32 v6, s7
	v_subrev_co_u32_e32 v4, vcc, s6, v4
	v_subb_co_u32_e32 v5, vcc, v5, v6, vcc
	v_subrev_co_u32_e32 v8, vcc, s6, v2
	v_subb_co_u32_e32 v9, vcc, v3, v6, vcc
	v_mov_b32_e32 v14, 0
	v_mov_b32_e32 v6, 0
	v_lshl_add_u32 v2, v2, 4, s18
	v_mov_b32_e32 v15, 0
	v_mov_b32_e32 v7, 0
	s_mov_b64 s[10:11], 0
.LBB113_171:                            ;   Parent Loop BB113_169 Depth=1
                                        ; =>  This Inner Loop Header: Depth=2
	ds_read_b128 v[20:23], v2
	v_add_co_u32_e32 v8, vcc, 1, v8
	v_addc_co_u32_e32 v9, vcc, 0, v9, vcc
	s_waitcnt lgkmcnt(0)
	v_add_f64 v[6:7], v[6:7], v[20:21]
	v_add_f64 v[14:15], v[14:15], v[22:23]
	v_cmp_ge_i64_e32 vcc, v[8:9], v[4:5]
	v_add_u32_e32 v2, 16, v2
	s_or_b64 s[10:11], vcc, s[10:11]
	s_andn2_b64 exec, exec, s[10:11]
	s_cbranch_execnz .LBB113_171
; %bb.172:                              ;   in Loop: Header=BB113_169 Depth=1
	s_or_b64 exec, exec, s[10:11]
.LBB113_173:                            ;   in Loop: Header=BB113_169 Depth=1
	s_or_b64 exec, exec, s[8:9]
	v_lshlrev_b64 v[2:3], 4, v[12:13]
	s_mov_b64 s[8:9], 0
	v_add_co_u32_e32 v16, vcc, s14, v2
	v_addc_co_u32_e32 v17, vcc, v19, v3, vcc
	global_load_dwordx2 v[8:9], v[16:17], off
	v_lshl_add_u32 v2, v12, 4, s13
	ds_read2_b64 v[2:5], v2 offset1:1
	s_waitcnt lgkmcnt(0)
	v_add_f64 v[2:3], v[6:7], v[2:3]
.LBB113_174:                            ;   Parent Loop BB113_169 Depth=1
                                        ; =>  This Inner Loop Header: Depth=2
	s_waitcnt vmcnt(0)
	v_add_f64 v[6:7], v[8:9], v[2:3]
	global_atomic_cmpswap_x2 v[6:7], v[16:17], v[6:9], off glc
	s_waitcnt vmcnt(0)
	v_cmp_eq_u64_e32 vcc, v[6:7], v[8:9]
	v_mov_b32_e32 v9, v7
	s_or_b64 s[8:9], vcc, s[8:9]
	v_mov_b32_e32 v8, v6
	s_andn2_b64 exec, exec, s[8:9]
	s_cbranch_execnz .LBB113_174
; %bb.175:                              ;   in Loop: Header=BB113_169 Depth=1
	s_or_b64 exec, exec, s[8:9]
	global_load_dwordx2 v[6:7], v[16:17], off offset:8
	v_add_f64 v[2:3], v[14:15], v[4:5]
	s_mov_b64 s[8:9], 0
.LBB113_176:                            ;   Parent Loop BB113_169 Depth=1
                                        ; =>  This Inner Loop Header: Depth=2
	s_waitcnt vmcnt(0)
	v_add_f64 v[4:5], v[6:7], v[2:3]
	global_atomic_cmpswap_x2 v[4:5], v[16:17], v[4:7], off offset:8 glc
	s_waitcnt vmcnt(0)
	v_cmp_eq_u64_e32 vcc, v[4:5], v[6:7]
	v_mov_b32_e32 v7, v5
	s_or_b64 s[8:9], vcc, s[8:9]
	v_mov_b32_e32 v6, v4
	s_andn2_b64 exec, exec, s[8:9]
	s_cbranch_execnz .LBB113_176
; %bb.177:                              ;   in Loop: Header=BB113_169 Depth=1
	s_or_b64 exec, exec, s[8:9]
	v_add_co_u32_e32 v12, vcc, s12, v12
	v_addc_co_u32_e32 v13, vcc, 0, v13, vcc
	v_cmp_le_i64_e32 vcc, s[26:27], v[12:13]
	s_or_b64 s[4:5], vcc, s[4:5]
	s_andn2_b64 exec, exec, s[4:5]
	s_cbranch_execnz .LBB113_169
.LBB113_178:
	s_or_b64 exec, exec, s[0:1]
	s_mov_b64 s[0:1], 0
.LBB113_179:
	s_andn2_b64 vcc, exec, s[0:1]
	s_cbranch_vccnz .LBB113_199
; %bb.180:
	v_cvt_f32_u32_e32 v2, s3
	s_sub_i32 s8, 0, s3
	v_mov_b32_e32 v6, s35
	v_rcp_iflag_f32_e32 v2, v2
	v_mul_f32_e32 v2, 0x4f7ffffe, v2
	v_cvt_u32_f32_e32 v2, v2
	v_mul_lo_u32 v3, s8, v2
	v_mul_hi_u32 v3, v2, v3
	v_add_u32_e32 v2, v2, v3
	v_mul_hi_u32 v2, v0, v2
	v_mov_b32_e32 v3, 0
	v_mul_lo_u32 v4, v2, s3
	v_add_u32_e32 v5, 1, v2
	v_sub_u32_e32 v4, v0, v4
	v_cmp_le_u32_e32 vcc, s3, v4
	v_cndmask_b32_e32 v2, v2, v5, vcc
	v_subrev_u32_e32 v5, s3, v4
	v_cndmask_b32_e32 v4, v4, v5, vcc
	v_add_u32_e32 v5, 1, v2
	v_cmp_le_u32_e32 vcc, s3, v4
	v_cndmask_b32_e32 v2, v2, v5, vcc
	v_lshlrev_b64 v[4:5], 3, v[2:3]
	v_add_co_u32_e32 v4, vcc, s34, v4
	v_addc_co_u32_e32 v5, vcc, v6, v5, vcc
	global_load_dwordx4 v[6:9], v[4:5], off
	v_mov_b32_e32 v4, s7
	v_mov_b32_e32 v5, s7
	s_waitcnt vmcnt(0)
	v_subrev_co_u32_e32 v6, vcc, s6, v6
	v_subb_co_u32_e32 v7, vcc, v7, v4, vcc
	v_subrev_co_u32_e32 v15, vcc, s6, v8
	v_subb_co_u32_e32 v16, vcc, v9, v5, vcc
	v_sub_co_u32_e32 v12, vcc, v15, v6
	v_subb_co_u32_e32 v5, vcc, v16, v7, vcc
	v_mov_b32_e32 v4, v3
	v_cmp_ne_u64_e32 vcc, 0, v[4:5]
                                        ; implicit-def: $vgpr8_vgpr9
	s_and_saveexec_b64 s[0:1], vcc
	s_xor_b64 s[4:5], exec, s[0:1]
	s_cbranch_execz .LBB113_182
; %bb.181:
	s_add_u32 s0, s3, 0
	s_addc_u32 s1, 0, 0
	s_xor_b64 s[6:7], s[0:1], 0
	v_cvt_f32_u32_e32 v4, s6
	v_cvt_f32_u32_e32 v8, s7
	s_sub_u32 s9, 0, s6
	s_subb_u32 s10, 0, s7
	v_ashrrev_i32_e32 v13, 31, v5
	v_madmk_f32 v4, v8, 0x4f800000, v4
	v_rcp_f32_e32 v4, v4
	v_mul_f32_e32 v4, 0x5f7ffffc, v4
	v_mul_f32_e32 v8, 0x2f800000, v4
	v_trunc_f32_e32 v8, v8
	v_madmk_f32 v4, v8, 0xcf800000, v4
	v_cvt_u32_f32_e32 v8, v8
	v_cvt_u32_f32_e32 v4, v4
	v_readfirstlane_b32 s11, v8
	v_readfirstlane_b32 s0, v4
	s_mul_i32 s1, s9, s11
	s_mul_hi_u32 s13, s9, s0
	s_mul_i32 s12, s10, s0
	s_add_i32 s1, s13, s1
	s_mul_i32 s16, s9, s0
	s_add_i32 s1, s1, s12
	s_mul_i32 s13, s0, s1
	s_mul_hi_u32 s17, s0, s16
	s_mul_hi_u32 s12, s0, s1
	s_add_u32 s13, s17, s13
	s_addc_u32 s12, 0, s12
	s_mul_hi_u32 s18, s11, s16
	s_mul_i32 s16, s11, s16
	s_add_u32 s13, s13, s16
	s_mul_hi_u32 s17, s11, s1
	s_addc_u32 s12, s12, s18
	s_addc_u32 s13, s17, 0
	s_mul_i32 s1, s11, s1
	s_add_u32 s1, s12, s1
	s_addc_u32 s12, 0, s13
	s_add_u32 s13, s0, s1
	s_cselect_b64 s[0:1], -1, 0
	s_cmp_lg_u64 s[0:1], 0
	s_addc_u32 s11, s11, s12
	s_mul_i32 s0, s9, s11
	s_mul_hi_u32 s1, s9, s13
	s_add_i32 s0, s1, s0
	s_mul_i32 s10, s10, s13
	s_add_i32 s0, s0, s10
	s_mul_i32 s9, s9, s13
	s_mul_hi_u32 s10, s11, s9
	s_mul_i32 s12, s11, s9
	s_mul_i32 s17, s13, s0
	s_mul_hi_u32 s9, s13, s9
	s_mul_hi_u32 s16, s13, s0
	s_add_u32 s9, s9, s17
	s_addc_u32 s16, 0, s16
	s_add_u32 s9, s9, s12
	s_mul_hi_u32 s1, s11, s0
	s_addc_u32 s9, s16, s10
	s_addc_u32 s1, s1, 0
	s_mul_i32 s0, s11, s0
	s_add_u32 s0, s9, s0
	s_addc_u32 s9, 0, s1
	s_add_u32 s10, s13, s0
	s_cselect_b64 s[0:1], -1, 0
	s_cmp_lg_u64 s[0:1], 0
	v_add_co_u32_e32 v4, vcc, v12, v13
	s_addc_u32 s9, s11, s9
	v_xor_b32_e32 v12, v4, v13
	v_addc_co_u32_e32 v8, vcc, v5, v13, vcc
	v_mad_u64_u32 v[4:5], s[0:1], v12, s9, 0
	v_mul_hi_u32 v9, v12, s10
	v_xor_b32_e32 v14, v8, v13
	v_add_co_u32_e32 v17, vcc, v9, v4
	v_addc_co_u32_e32 v18, vcc, 0, v5, vcc
	v_mad_u64_u32 v[4:5], s[0:1], v14, s10, 0
	v_mad_u64_u32 v[8:9], s[0:1], v14, s9, 0
	v_add_co_u32_e32 v4, vcc, v17, v4
	v_addc_co_u32_e32 v4, vcc, v18, v5, vcc
	v_addc_co_u32_e32 v5, vcc, 0, v9, vcc
	v_add_co_u32_e32 v8, vcc, v4, v8
	v_addc_co_u32_e32 v9, vcc, 0, v5, vcc
	v_mul_lo_u32 v17, s7, v8
	v_mul_lo_u32 v18, s6, v9
	v_mad_u64_u32 v[4:5], s[0:1], s6, v8, 0
	v_add3_u32 v5, v5, v18, v17
	v_sub_u32_e32 v17, v14, v5
	v_mov_b32_e32 v18, s7
	v_sub_co_u32_e32 v4, vcc, v12, v4
	v_subb_co_u32_e64 v12, s[0:1], v17, v18, vcc
	v_subrev_co_u32_e64 v17, s[0:1], s6, v4
	v_subbrev_co_u32_e64 v12, s[0:1], 0, v12, s[0:1]
	v_cmp_le_u32_e64 s[0:1], s7, v12
	v_cndmask_b32_e64 v18, 0, -1, s[0:1]
	v_cmp_le_u32_e64 s[0:1], s6, v17
	v_cndmask_b32_e64 v17, 0, -1, s[0:1]
	v_cmp_eq_u32_e64 s[0:1], s7, v12
	v_cndmask_b32_e64 v12, v18, v17, s[0:1]
	v_add_co_u32_e64 v17, s[0:1], 2, v8
	v_subb_co_u32_e32 v5, vcc, v14, v5, vcc
	v_addc_co_u32_e64 v18, s[0:1], 0, v9, s[0:1]
	v_cmp_le_u32_e32 vcc, s7, v5
	v_add_co_u32_e64 v19, s[0:1], 1, v8
	v_cndmask_b32_e64 v14, 0, -1, vcc
	v_cmp_le_u32_e32 vcc, s6, v4
	v_addc_co_u32_e64 v20, s[0:1], 0, v9, s[0:1]
	v_cndmask_b32_e64 v4, 0, -1, vcc
	v_cmp_eq_u32_e32 vcc, s7, v5
	v_cmp_ne_u32_e64 s[0:1], 0, v12
	v_cndmask_b32_e32 v4, v14, v4, vcc
	v_cmp_ne_u32_e32 vcc, 0, v4
	v_cndmask_b32_e64 v5, v19, v17, s[0:1]
	v_cndmask_b32_e64 v12, v20, v18, s[0:1]
	v_cndmask_b32_e32 v5, v8, v5, vcc
	v_cndmask_b32_e32 v4, v9, v12, vcc
	v_xor_b32_e32 v5, v5, v13
	v_xor_b32_e32 v4, v4, v13
	v_sub_co_u32_e32 v8, vcc, v5, v13
	v_subb_co_u32_e32 v9, vcc, v4, v13, vcc
                                        ; implicit-def: $vgpr12
.LBB113_182:
	s_andn2_saveexec_b64 s[0:1], s[4:5]
	s_cbranch_execz .LBB113_184
; %bb.183:
	v_cvt_f32_u32_e32 v4, s3
	v_rcp_iflag_f32_e32 v4, v4
	v_mul_f32_e32 v4, 0x4f7ffffe, v4
	v_cvt_u32_f32_e32 v4, v4
	v_mul_lo_u32 v5, s8, v4
	v_mul_hi_u32 v5, v4, v5
	v_add_u32_e32 v4, v4, v5
	v_mul_hi_u32 v4, v12, v4
	v_mul_lo_u32 v5, v4, s3
	v_add_u32_e32 v8, 1, v4
	v_sub_u32_e32 v5, v12, v5
	v_subrev_u32_e32 v9, s3, v5
	v_cmp_le_u32_e32 vcc, s3, v5
	v_cndmask_b32_e32 v5, v5, v9, vcc
	v_cndmask_b32_e32 v4, v4, v8, vcc
	v_add_u32_e32 v8, 1, v4
	v_cmp_le_u32_e32 vcc, s3, v5
	v_cndmask_b32_e32 v8, v4, v8, vcc
	v_mov_b32_e32 v9, 0
.LBB113_184:
	s_or_b64 exec, exec, s[0:1]
	v_cmp_gt_i64_e32 vcc, s[28:29], v[2:3]
	v_mov_b32_e32 v4, 0
	v_mov_b32_e32 v2, 0
	v_mov_b32_e32 v5, 0
	v_mov_b32_e32 v3, 0
	s_and_saveexec_b64 s[0:1], vcc
	s_cbranch_execz .LBB113_192
; %bb.185:
	s_add_i32 s4, s3, -1
	v_and_b32_e32 v12, s4, v0
	v_cmp_lt_i64_e32 vcc, 0, v[8:9]
	v_mov_b32_e32 v4, 0
	v_mov_b32_e32 v2, 0
	s_mov_b64 s[4:5], 0
	v_mov_b32_e32 v5, 0
	v_mov_b32_e32 v3, 0
	v_lshlrev_b32_e32 v17, 4, v12
	s_and_saveexec_b64 s[6:7], vcc
	s_cbranch_execz .LBB113_189
; %bb.186:
	v_mov_b32_e32 v4, 0
	v_mov_b32_e32 v5, 0
	;; [unrolled: 1-line block ×4, first 2 shown]
	v_lshl_add_u32 v18, v6, 4, v17
	s_lshl_b32 s8, s3, 4
	v_mov_b32_e32 v13, v8
	v_mov_b32_e32 v3, v5
.LBB113_187:                            ; =>This Inner Loop Header: Depth=1
	ds_read_b128 v[19:22], v18
	v_add_co_u32_e32 v13, vcc, -1, v13
	v_addc_co_u32_e32 v14, vcc, -1, v14, vcc
	s_waitcnt lgkmcnt(0)
	v_add_f64 v[2:3], v[2:3], v[19:20]
	v_add_f64 v[4:5], v[4:5], v[21:22]
	v_cmp_eq_u64_e32 vcc, 0, v[13:14]
	v_add_u32_e32 v18, s8, v18
	s_or_b64 s[4:5], vcc, s[4:5]
	s_andn2_b64 exec, exec, s[4:5]
	s_cbranch_execnz .LBB113_187
; %bb.188:
	s_or_b64 exec, exec, s[4:5]
.LBB113_189:
	s_or_b64 exec, exec, s[6:7]
	v_mad_u64_u32 v[6:7], s[4:5], v8, s3, v[6:7]
	v_mov_b32_e32 v13, 0
	v_mad_u64_u32 v[7:8], s[4:5], v9, s3, v[7:8]
	v_sub_co_u32_e32 v8, vcc, v15, v6
	v_subb_co_u32_e32 v9, vcc, v16, v7, vcc
	v_cmp_gt_i64_e32 vcc, v[8:9], v[12:13]
	s_and_saveexec_b64 s[4:5], vcc
	s_cbranch_execz .LBB113_191
; %bb.190:
	v_lshl_add_u32 v6, v6, 4, v17
	ds_read_b128 v[6:9], v6
	s_waitcnt lgkmcnt(0)
	v_add_f64 v[2:3], v[2:3], v[6:7]
	v_add_f64 v[4:5], v[4:5], v[8:9]
.LBB113_191:
	s_or_b64 exec, exec, s[4:5]
.LBB113_192:
	s_or_b64 exec, exec, s[0:1]
	v_cmp_gt_i64_e32 vcc, s[28:29], v[0:1]
	s_barrier
	ds_write_b128 v26, v[2:5]
	s_waitcnt lgkmcnt(0)
	s_barrier
	s_and_b64 exec, exec, vcc
	s_cbranch_execz .LBB113_199
; %bb.193:
	v_mul_lo_u32 v1, s3, v0
	v_mov_b32_e32 v8, 0
	v_mov_b32_e32 v4, 0
	;; [unrolled: 1-line block ×4, first 2 shown]
	v_lshlrev_b32_e32 v1, 4, v1
.LBB113_194:                            ; =>This Inner Loop Header: Depth=1
	ds_read_b128 v[12:15], v1
	s_add_i32 s3, s3, -1
	s_cmp_eq_u32 s3, 0
	v_add_u32_e32 v1, 16, v1
	s_waitcnt lgkmcnt(0)
	v_add_f64 v[4:5], v[4:5], v[12:13]
	v_add_f64 v[8:9], v[8:9], v[14:15]
	s_cbranch_scc0 .LBB113_194
; %bb.195:
	v_lshlrev_b64 v[1:2], 4, v[10:11]
	v_mov_b32_e32 v3, s15
	v_add_co_u32_e32 v10, vcc, s14, v1
	v_addc_co_u32_e32 v11, vcc, v3, v2, vcc
	global_load_dwordx2 v[6:7], v[10:11], off
	s_lshl_b32 s0, s2, 4
	s_addk_i32 s0, 0x4000
	v_lshl_add_u32 v0, v0, 4, s0
	ds_read2_b64 v[0:3], v0 offset1:1
	s_mov_b64 s[0:1], 0
	s_waitcnt lgkmcnt(0)
	v_add_f64 v[0:1], v[4:5], v[0:1]
.LBB113_196:                            ; =>This Inner Loop Header: Depth=1
	s_waitcnt vmcnt(0)
	v_add_f64 v[4:5], v[6:7], v[0:1]
	global_atomic_cmpswap_x2 v[4:5], v[10:11], v[4:7], off glc
	s_waitcnt vmcnt(0)
	v_cmp_eq_u64_e32 vcc, v[4:5], v[6:7]
	v_mov_b32_e32 v7, v5
	s_or_b64 s[0:1], vcc, s[0:1]
	v_mov_b32_e32 v6, v4
	s_andn2_b64 exec, exec, s[0:1]
	s_cbranch_execnz .LBB113_196
; %bb.197:
	s_or_b64 exec, exec, s[0:1]
	global_load_dwordx2 v[4:5], v[10:11], off offset:8
	v_add_f64 v[0:1], v[8:9], v[2:3]
	s_mov_b64 s[0:1], 0
.LBB113_198:                            ; =>This Inner Loop Header: Depth=1
	s_waitcnt vmcnt(0)
	v_add_f64 v[2:3], v[4:5], v[0:1]
	global_atomic_cmpswap_x2 v[2:3], v[10:11], v[2:5], off offset:8 glc
	s_waitcnt vmcnt(0)
	v_cmp_eq_u64_e32 vcc, v[2:3], v[4:5]
	v_mov_b32_e32 v5, v3
	s_or_b64 s[0:1], vcc, s[0:1]
	v_mov_b32_e32 v4, v2
	s_andn2_b64 exec, exec, s[0:1]
	s_cbranch_execnz .LBB113_198
.LBB113_199:
	s_endpgm
	.section	.rodata,"a",@progbits
	.p2align	6, 0x0
	.amdhsa_kernel _ZN9rocsparseL27csrmvn_symm_adaptive_kernelIli21rocsparse_complex_numIfES1_IdES3_S3_EEvbT_S4_PKS4_NS_24const_host_device_scalarIT4_EES6_PKT0_PKT1_PKT2_S9_PT3_21rocsparse_index_base_b
		.amdhsa_group_segment_fixed_size 16384
		.amdhsa_private_segment_fixed_size 0
		.amdhsa_kernarg_size 368
		.amdhsa_user_sgpr_count 6
		.amdhsa_user_sgpr_private_segment_buffer 1
		.amdhsa_user_sgpr_dispatch_ptr 0
		.amdhsa_user_sgpr_queue_ptr 0
		.amdhsa_user_sgpr_kernarg_segment_ptr 1
		.amdhsa_user_sgpr_dispatch_id 0
		.amdhsa_user_sgpr_flat_scratch_init 0
		.amdhsa_user_sgpr_private_segment_size 0
		.amdhsa_uses_dynamic_stack 0
		.amdhsa_system_sgpr_private_segment_wavefront_offset 0
		.amdhsa_system_sgpr_workgroup_id_x 1
		.amdhsa_system_sgpr_workgroup_id_y 0
		.amdhsa_system_sgpr_workgroup_id_z 0
		.amdhsa_system_sgpr_workgroup_info 0
		.amdhsa_system_vgpr_workitem_id 0
		.amdhsa_next_free_vgpr 49
		.amdhsa_next_free_sgpr 98
		.amdhsa_reserve_vcc 1
		.amdhsa_reserve_flat_scratch 0
		.amdhsa_float_round_mode_32 0
		.amdhsa_float_round_mode_16_64 0
		.amdhsa_float_denorm_mode_32 3
		.amdhsa_float_denorm_mode_16_64 3
		.amdhsa_dx10_clamp 1
		.amdhsa_ieee_mode 1
		.amdhsa_fp16_overflow 0
		.amdhsa_exception_fp_ieee_invalid_op 0
		.amdhsa_exception_fp_denorm_src 0
		.amdhsa_exception_fp_ieee_div_zero 0
		.amdhsa_exception_fp_ieee_overflow 0
		.amdhsa_exception_fp_ieee_underflow 0
		.amdhsa_exception_fp_ieee_inexact 0
		.amdhsa_exception_int_div_zero 0
	.end_amdhsa_kernel
	.section	.text._ZN9rocsparseL27csrmvn_symm_adaptive_kernelIli21rocsparse_complex_numIfES1_IdES3_S3_EEvbT_S4_PKS4_NS_24const_host_device_scalarIT4_EES6_PKT0_PKT1_PKT2_S9_PT3_21rocsparse_index_base_b,"axG",@progbits,_ZN9rocsparseL27csrmvn_symm_adaptive_kernelIli21rocsparse_complex_numIfES1_IdES3_S3_EEvbT_S4_PKS4_NS_24const_host_device_scalarIT4_EES6_PKT0_PKT1_PKT2_S9_PT3_21rocsparse_index_base_b,comdat
.Lfunc_end113:
	.size	_ZN9rocsparseL27csrmvn_symm_adaptive_kernelIli21rocsparse_complex_numIfES1_IdES3_S3_EEvbT_S4_PKS4_NS_24const_host_device_scalarIT4_EES6_PKT0_PKT1_PKT2_S9_PT3_21rocsparse_index_base_b, .Lfunc_end113-_ZN9rocsparseL27csrmvn_symm_adaptive_kernelIli21rocsparse_complex_numIfES1_IdES3_S3_EEvbT_S4_PKS4_NS_24const_host_device_scalarIT4_EES6_PKT0_PKT1_PKT2_S9_PT3_21rocsparse_index_base_b
                                        ; -- End function
	.set _ZN9rocsparseL27csrmvn_symm_adaptive_kernelIli21rocsparse_complex_numIfES1_IdES3_S3_EEvbT_S4_PKS4_NS_24const_host_device_scalarIT4_EES6_PKT0_PKT1_PKT2_S9_PT3_21rocsparse_index_base_b.num_vgpr, 43
	.set _ZN9rocsparseL27csrmvn_symm_adaptive_kernelIli21rocsparse_complex_numIfES1_IdES3_S3_EEvbT_S4_PKS4_NS_24const_host_device_scalarIT4_EES6_PKT0_PKT1_PKT2_S9_PT3_21rocsparse_index_base_b.num_agpr, 0
	.set _ZN9rocsparseL27csrmvn_symm_adaptive_kernelIli21rocsparse_complex_numIfES1_IdES3_S3_EEvbT_S4_PKS4_NS_24const_host_device_scalarIT4_EES6_PKT0_PKT1_PKT2_S9_PT3_21rocsparse_index_base_b.numbered_sgpr, 52
	.set _ZN9rocsparseL27csrmvn_symm_adaptive_kernelIli21rocsparse_complex_numIfES1_IdES3_S3_EEvbT_S4_PKS4_NS_24const_host_device_scalarIT4_EES6_PKT0_PKT1_PKT2_S9_PT3_21rocsparse_index_base_b.num_named_barrier, 0
	.set _ZN9rocsparseL27csrmvn_symm_adaptive_kernelIli21rocsparse_complex_numIfES1_IdES3_S3_EEvbT_S4_PKS4_NS_24const_host_device_scalarIT4_EES6_PKT0_PKT1_PKT2_S9_PT3_21rocsparse_index_base_b.private_seg_size, 0
	.set _ZN9rocsparseL27csrmvn_symm_adaptive_kernelIli21rocsparse_complex_numIfES1_IdES3_S3_EEvbT_S4_PKS4_NS_24const_host_device_scalarIT4_EES6_PKT0_PKT1_PKT2_S9_PT3_21rocsparse_index_base_b.uses_vcc, 1
	.set _ZN9rocsparseL27csrmvn_symm_adaptive_kernelIli21rocsparse_complex_numIfES1_IdES3_S3_EEvbT_S4_PKS4_NS_24const_host_device_scalarIT4_EES6_PKT0_PKT1_PKT2_S9_PT3_21rocsparse_index_base_b.uses_flat_scratch, 0
	.set _ZN9rocsparseL27csrmvn_symm_adaptive_kernelIli21rocsparse_complex_numIfES1_IdES3_S3_EEvbT_S4_PKS4_NS_24const_host_device_scalarIT4_EES6_PKT0_PKT1_PKT2_S9_PT3_21rocsparse_index_base_b.has_dyn_sized_stack, 0
	.set _ZN9rocsparseL27csrmvn_symm_adaptive_kernelIli21rocsparse_complex_numIfES1_IdES3_S3_EEvbT_S4_PKS4_NS_24const_host_device_scalarIT4_EES6_PKT0_PKT1_PKT2_S9_PT3_21rocsparse_index_base_b.has_recursion, 0
	.set _ZN9rocsparseL27csrmvn_symm_adaptive_kernelIli21rocsparse_complex_numIfES1_IdES3_S3_EEvbT_S4_PKS4_NS_24const_host_device_scalarIT4_EES6_PKT0_PKT1_PKT2_S9_PT3_21rocsparse_index_base_b.has_indirect_call, 0
	.section	.AMDGPU.csdata,"",@progbits
; Kernel info:
; codeLenInByte = 10368
; TotalNumSgprs: 56
; NumVgprs: 43
; ScratchSize: 0
; MemoryBound: 0
; FloatMode: 240
; IeeeMode: 1
; LDSByteSize: 16384 bytes/workgroup (compile time only)
; SGPRBlocks: 12
; VGPRBlocks: 12
; NumSGPRsForWavesPerEU: 102
; NumVGPRsForWavesPerEU: 49
; Occupancy: 4
; WaveLimiterHint : 1
; COMPUTE_PGM_RSRC2:SCRATCH_EN: 0
; COMPUTE_PGM_RSRC2:USER_SGPR: 6
; COMPUTE_PGM_RSRC2:TRAP_HANDLER: 0
; COMPUTE_PGM_RSRC2:TGID_X_EN: 1
; COMPUTE_PGM_RSRC2:TGID_Y_EN: 0
; COMPUTE_PGM_RSRC2:TGID_Z_EN: 0
; COMPUTE_PGM_RSRC2:TIDIG_COMP_CNT: 0
	.section	.text._ZL33csrmvn_symm_large_adaptive_kernelIli21rocsparse_complex_numIfES0_IdES2_S2_EvbT_PKS3_N9rocsparse24const_host_device_scalarIT4_EES5_PKT0_PKT1_PKT2_S9_PT3_21rocsparse_index_base_b,"axG",@progbits,_ZL33csrmvn_symm_large_adaptive_kernelIli21rocsparse_complex_numIfES0_IdES2_S2_EvbT_PKS3_N9rocsparse24const_host_device_scalarIT4_EES5_PKT0_PKT1_PKT2_S9_PT3_21rocsparse_index_base_b,comdat
	.globl	_ZL33csrmvn_symm_large_adaptive_kernelIli21rocsparse_complex_numIfES0_IdES2_S2_EvbT_PKS3_N9rocsparse24const_host_device_scalarIT4_EES5_PKT0_PKT1_PKT2_S9_PT3_21rocsparse_index_base_b ; -- Begin function _ZL33csrmvn_symm_large_adaptive_kernelIli21rocsparse_complex_numIfES0_IdES2_S2_EvbT_PKS3_N9rocsparse24const_host_device_scalarIT4_EES5_PKT0_PKT1_PKT2_S9_PT3_21rocsparse_index_base_b
	.p2align	8
	.type	_ZL33csrmvn_symm_large_adaptive_kernelIli21rocsparse_complex_numIfES0_IdES2_S2_EvbT_PKS3_N9rocsparse24const_host_device_scalarIT4_EES5_PKT0_PKT1_PKT2_S9_PT3_21rocsparse_index_base_b,@function
_ZL33csrmvn_symm_large_adaptive_kernelIli21rocsparse_complex_numIfES0_IdES2_S2_EvbT_PKS3_N9rocsparse24const_host_device_scalarIT4_EES5_PKT0_PKT1_PKT2_S9_PT3_21rocsparse_index_base_b: ; @_ZL33csrmvn_symm_large_adaptive_kernelIli21rocsparse_complex_numIfES0_IdES2_S2_EvbT_PKS3_N9rocsparse24const_host_device_scalarIT4_EES5_PKT0_PKT1_PKT2_S9_PT3_21rocsparse_index_base_b
; %bb.0:
	s_load_dwordx2 s[10:11], s[4:5], 0x60
	s_load_dwordx2 s[0:1], s[4:5], 0x18
	s_add_u32 s7, s4, 24
	s_addc_u32 s12, s5, 0
	s_waitcnt lgkmcnt(0)
	s_bitcmp1_b32 s11, 0
	s_cselect_b64 s[8:9], -1, 0
	s_and_b64 s[2:3], s[8:9], exec
	s_cselect_b32 s1, s12, s1
	s_cselect_b32 s0, s7, s0
	v_mov_b32_e32 v1, s0
	v_mov_b32_e32 v2, s1
	flat_load_dwordx4 v[1:4], v[1:2]
	s_waitcnt vmcnt(0) lgkmcnt(0)
	v_cmp_eq_f64_e32 vcc, 0, v[1:2]
	v_cmp_eq_f64_e64 s[0:1], 0, v[3:4]
	s_and_b64 s[12:13], vcc, s[0:1]
	s_mov_b64 s[0:1], -1
	s_and_saveexec_b64 s[2:3], s[12:13]
	s_cbranch_execz .LBB114_2
; %bb.1:
	s_load_dwordx2 s[0:1], s[4:5], 0x48
	s_add_u32 s7, s4, 0x48
	s_addc_u32 s11, s5, 0
	s_and_b64 s[8:9], s[8:9], exec
	s_waitcnt lgkmcnt(0)
	s_cselect_b32 s1, s11, s1
	s_cselect_b32 s0, s7, s0
	v_mov_b32_e32 v5, s0
	v_mov_b32_e32 v6, s1
	flat_load_dwordx4 v[5:8], v[5:6]
	s_waitcnt vmcnt(0) lgkmcnt(0)
	v_cmp_neq_f64_e32 vcc, 1.0, v[5:6]
	v_cmp_neq_f64_e64 s[0:1], 0, v[7:8]
	s_or_b64 s[0:1], vcc, s[0:1]
	s_orn2_b64 s[0:1], s[0:1], exec
.LBB114_2:
	s_or_b64 exec, exec, s[2:3]
	s_and_saveexec_b64 s[2:3], s[0:1]
	s_cbranch_execz .LBB114_43
; %bb.3:
	s_load_dword s2, s[4:5], 0x0
	s_load_dwordx2 s[8:9], s[4:5], 0x10
	s_mov_b32 s0, 0
	s_mov_b32 s3, s0
	;; [unrolled: 1-line block ×3, first 2 shown]
	s_waitcnt lgkmcnt(0)
	s_bitcmp1_b32 s2, 0
	s_cselect_b64 s[24:25], -1, 0
	s_mov_b32 s2, s0
	v_mov_b32_e32 v8, s3
	s_ashr_i32 s7, s6, 31
	v_mov_b32_e32 v7, s2
	v_mov_b32_e32 v6, s1
	;; [unrolled: 1-line block ×3, first 2 shown]
	s_lshl_b64 s[0:1], s[6:7], 3
	s_add_u32 s0, s8, s0
	v_lshlrev_b32_e32 v17, 4, v0
	s_addc_u32 s1, s9, s1
	ds_write_b128 v17, v[5:8]
	ds_write_b128 v17, v[5:8] offset:4096
	ds_write_b128 v17, v[5:8] offset:8192
	;; [unrolled: 1-line block ×3, first 2 shown]
	s_waitcnt lgkmcnt(0)
	s_barrier
	s_load_dwordx4 s[20:23], s[0:1], 0x0
	s_load_dwordx2 s[26:27], s[4:5], 0x58
	s_load_dwordx8 s[12:19], s[4:5], 0x28
	v_subrev_co_u32_e64 v18, s[0:1], s10, v0
	s_waitcnt lgkmcnt(0)
	v_mov_b32_e32 v5, s22
	v_mov_b32_e32 v6, s23
	v_cmp_ge_i64_e32 vcc, s[20:21], v[5:6]
	v_mov_b32_e32 v20, 0
	v_subb_co_u32_e64 v19, s[0:1], 0, 0, s[0:1]
	s_cbranch_vccnz .LBB114_31
; %bb.4:
	s_add_u32 s11, s16, 4
	v_mov_b32_e32 v13, s22
	v_cmp_gt_u32_e64 s[0:1], 64, v0
	v_cmp_gt_u32_e64 s[2:3], 16, v0
	;; [unrolled: 1-line block ×3, first 2 shown]
	v_cmp_eq_u32_e64 s[6:7], 0, v0
	s_addc_u32 s33, s17, 0
	s_movk_i32 s38, 0x100
	v_mov_b32_e32 v14, s23
	s_mov_b64 s[28:29], s[20:21]
	s_branch .LBB114_6
.LBB114_5:                              ;   in Loop: Header=BB114_6 Depth=1
	s_or_b64 exec, exec, s[8:9]
	s_add_u32 s28, s28, 1
	s_addc_u32 s29, s29, 0
	v_cmp_ge_i64_e32 vcc, s[28:29], v[13:14]
	s_cbranch_vccnz .LBB114_31
.LBB114_6:                              ; =>This Loop Header: Depth=1
                                        ;     Child Loop BB114_8 Depth 2
                                        ;     Child Loop BB114_20 Depth 2
	;; [unrolled: 1-line block ×5, first 2 shown]
	s_lshl_b64 s[8:9], s[28:29], 3
	s_add_u32 s8, s12, s8
	s_addc_u32 s9, s13, s9
	s_load_dwordx4 s[40:43], s[8:9], 0x0
	v_mov_b32_e32 v7, 0
	v_mov_b32_e32 v5, 0
	v_mov_b32_e32 v8, 0
	v_mov_b32_e32 v6, 0
	s_waitcnt lgkmcnt(0)
	s_sub_u32 s30, s42, s10
	v_mov_b32_e32 v0, s41
	v_add_co_u32_e32 v9, vcc, s40, v18
	s_subb_u32 s31, s43, 0
	v_addc_co_u32_e32 v10, vcc, v0, v19, vcc
	v_cmp_gt_i64_e32 vcc, s[30:31], v[9:10]
	s_and_saveexec_b64 s[34:35], vcc
	s_cbranch_execz .LBB114_10
; %bb.7:                                ;   in Loop: Header=BB114_6 Depth=1
	v_lshlrev_b64 v[5:6], 2, v[9:10]
	v_mov_b32_e32 v0, s15
	v_add_co_u32_e32 v11, vcc, s14, v5
	v_addc_co_u32_e32 v12, vcc, v0, v6, vcc
	v_lshlrev_b64 v[5:6], 3, v[9:10]
	v_mov_b32_e32 v0, s33
	v_add_co_u32_e32 v15, vcc, s11, v5
	v_mov_b32_e32 v7, 0
	v_addc_co_u32_e32 v16, vcc, v0, v6, vcc
	v_mov_b32_e32 v8, 0
	v_mov_b32_e32 v5, v7
	s_mov_b64 s[36:37], 0
	v_mov_b32_e32 v6, v8
.LBB114_8:                              ;   Parent Loop BB114_6 Depth=1
                                        ; =>  This Inner Loop Header: Depth=2
	global_load_dword v0, v[11:12], off
	global_load_dwordx2 v[25:26], v[15:16], off offset:-4
	v_mov_b32_e32 v23, s19
	s_waitcnt vmcnt(1)
	v_subrev_u32_e32 v21, s10, v0
	v_ashrrev_i32_e32 v22, 31, v21
	v_lshlrev_b64 v[21:22], 4, v[21:22]
	s_waitcnt vmcnt(0)
	v_cndmask_b32_e64 v0, v26, -v26, s[24:25]
	v_add_co_u32_e32 v21, vcc, s18, v21
	v_addc_co_u32_e32 v22, vcc, v23, v22, vcc
	global_load_dwordx4 v[21:24], v[21:22], off
	v_cvt_f64_f32_e32 v[25:26], v25
	v_cvt_f64_f32_e32 v[27:28], v0
	v_add_co_u32_e32 v9, vcc, s38, v9
	v_addc_co_u32_e32 v10, vcc, 0, v10, vcc
	v_add_co_u32_e32 v11, vcc, 0x400, v11
	v_addc_co_u32_e32 v12, vcc, 0, v12, vcc
	v_cmp_le_i64_e64 s[8:9], s[30:31], v[9:10]
	v_add_co_u32_e32 v15, vcc, 0x800, v15
	s_or_b64 s[36:37], s[8:9], s[36:37]
	v_addc_co_u32_e32 v16, vcc, 0, v16, vcc
	s_waitcnt vmcnt(0)
	v_fma_f64 v[5:6], v[25:26], v[21:22], v[5:6]
	v_fma_f64 v[7:8], v[27:28], v[21:22], v[7:8]
	v_fma_f64 v[5:6], -v[27:28], v[23:24], v[5:6]
	v_fma_f64 v[7:8], v[25:26], v[23:24], v[7:8]
	s_andn2_b64 exec, exec, s[36:37]
	s_cbranch_execnz .LBB114_8
; %bb.9:                                ;   in Loop: Header=BB114_6 Depth=1
	s_or_b64 exec, exec, s[36:37]
.LBB114_10:                             ;   in Loop: Header=BB114_6 Depth=1
	s_or_b64 exec, exec, s[34:35]
	ds_write_b128 v17, v[5:8]
	s_waitcnt lgkmcnt(0)
	s_barrier
	ds_read_b128 v[5:8], v17 offset:4096
	ds_read_b128 v[9:12], v17 offset:8192
	;; [unrolled: 1-line block ×3, first 2 shown]
	ds_read_b128 v[25:28], v17
	s_waitcnt lgkmcnt(2)
	v_add_f64 v[5:6], v[9:10], v[5:6]
	v_add_f64 v[7:8], v[11:12], v[7:8]
	s_waitcnt lgkmcnt(1)
	v_add_f64 v[5:6], v[5:6], v[21:22]
	v_add_f64 v[7:8], v[7:8], v[23:24]
	;; [unrolled: 3-line block ×3, first 2 shown]
	ds_write_b128 v17, v[5:8]
	s_waitcnt lgkmcnt(0)
	s_barrier
	s_and_saveexec_b64 s[8:9], s[0:1]
	s_cbranch_execz .LBB114_12
; %bb.11:                               ;   in Loop: Header=BB114_6 Depth=1
	ds_read_b128 v[5:8], v17 offset:1024
	ds_read_b128 v[9:12], v17 offset:2048
	ds_read_b128 v[21:24], v17 offset:3072
	ds_read_b128 v[25:28], v17
	s_waitcnt lgkmcnt(2)
	v_add_f64 v[5:6], v[9:10], v[5:6]
	v_add_f64 v[7:8], v[11:12], v[7:8]
	s_waitcnt lgkmcnt(1)
	v_add_f64 v[5:6], v[5:6], v[21:22]
	v_add_f64 v[7:8], v[7:8], v[23:24]
	s_waitcnt lgkmcnt(0)
	v_add_f64 v[5:6], v[5:6], v[25:26]
	v_add_f64 v[7:8], v[7:8], v[27:28]
	ds_write_b128 v17, v[5:8]
.LBB114_12:                             ;   in Loop: Header=BB114_6 Depth=1
	s_or_b64 exec, exec, s[8:9]
	s_waitcnt lgkmcnt(0)
	s_barrier
	s_and_saveexec_b64 s[8:9], s[2:3]
	s_cbranch_execz .LBB114_14
; %bb.13:                               ;   in Loop: Header=BB114_6 Depth=1
	ds_read_b128 v[5:8], v17 offset:256
	ds_read_b128 v[9:12], v17 offset:512
	ds_read_b128 v[21:24], v17 offset:768
	ds_read_b128 v[25:28], v17
	s_waitcnt lgkmcnt(2)
	v_add_f64 v[5:6], v[9:10], v[5:6]
	v_add_f64 v[7:8], v[11:12], v[7:8]
	s_waitcnt lgkmcnt(1)
	v_add_f64 v[5:6], v[5:6], v[21:22]
	v_add_f64 v[7:8], v[7:8], v[23:24]
	s_waitcnt lgkmcnt(0)
	v_add_f64 v[5:6], v[5:6], v[25:26]
	v_add_f64 v[7:8], v[7:8], v[27:28]
	ds_write_b128 v17, v[5:8]
.LBB114_14:                             ;   in Loop: Header=BB114_6 Depth=1
	s_or_b64 exec, exec, s[8:9]
	;; [unrolled: 21-line block ×4, first 2 shown]
	s_waitcnt lgkmcnt(0)
	s_barrier
	s_and_saveexec_b64 s[8:9], s[6:7]
	s_cbranch_execz .LBB114_5
; %bb.19:                               ;   in Loop: Header=BB114_6 Depth=1
	ds_read_b128 v[5:8], v20
	v_mov_b32_e32 v15, 0
	s_mov_b64 s[30:31], exec
	v_bfrev_b32_e32 v16, 1
	s_waitcnt lgkmcnt(0)
	v_mul_f64 v[9:10], v[7:8], -v[3:4]
	v_fma_f64 v[9:10], v[1:2], v[5:6], v[9:10]
.LBB114_20:                             ;   Parent Loop BB114_6 Depth=1
                                        ; =>  This Inner Loop Header: Depth=2
	s_ff1_i32_b64 s36, s[30:31]
	v_readlane_b32 s35, v10, s36
	v_readlane_b32 s34, v9, s36
	v_add_f64 v[15:16], v[15:16], s[34:35]
	s_lshl_b64 s[34:35], 1, s36
	s_andn2_b64 s[30:31], s[30:31], s[34:35]
	s_cmp_lg_u64 s[30:31], 0
	s_cbranch_scc1 .LBB114_20
; %bb.21:                               ;   in Loop: Header=BB114_6 Depth=1
	s_lshl_b64 s[30:31], s[28:29], 4
	v_mbcnt_lo_u32_b32 v0, exec_lo, 0
	s_add_u32 s30, s26, s30
	v_mbcnt_hi_u32_b32 v0, exec_hi, v0
	s_addc_u32 s31, s27, s31
	v_cmp_eq_u32_e32 vcc, 0, v0
	s_and_saveexec_b64 s[34:35], vcc
	s_xor_b64 s[34:35], exec, s[34:35]
	s_cbranch_execz .LBB114_25
; %bb.22:                               ;   in Loop: Header=BB114_6 Depth=1
	global_load_dwordx2 v[11:12], v20, s[30:31]
	s_mov_b64 s[36:37], 0
.LBB114_23:                             ;   Parent Loop BB114_6 Depth=1
                                        ; =>  This Inner Loop Header: Depth=2
	s_waitcnt vmcnt(0)
	v_add_f64 v[9:10], v[11:12], v[15:16]
	global_atomic_cmpswap_x2 v[9:10], v20, v[9:12], s[30:31] glc
	s_waitcnt vmcnt(0)
	v_cmp_eq_u64_e32 vcc, v[9:10], v[11:12]
	v_mov_b32_e32 v12, v10
	s_or_b64 s[36:37], vcc, s[36:37]
	v_mov_b32_e32 v11, v9
	s_andn2_b64 exec, exec, s[36:37]
	s_cbranch_execnz .LBB114_23
; %bb.24:                               ;   in Loop: Header=BB114_6 Depth=1
	s_or_b64 exec, exec, s[36:37]
.LBB114_25:                             ;   in Loop: Header=BB114_6 Depth=1
	s_or_b64 exec, exec, s[34:35]
	v_mul_f64 v[7:8], v[1:2], v[7:8]
	v_mov_b32_e32 v9, 0
	s_mov_b64 s[34:35], exec
	v_bfrev_b32_e32 v10, 1
	v_fma_f64 v[5:6], v[3:4], v[5:6], v[7:8]
.LBB114_26:                             ;   Parent Loop BB114_6 Depth=1
                                        ; =>  This Inner Loop Header: Depth=2
	s_ff1_i32_b64 s39, s[34:35]
	v_readlane_b32 s37, v6, s39
	v_readlane_b32 s36, v5, s39
	v_add_f64 v[9:10], v[9:10], s[36:37]
	s_lshl_b64 s[36:37], 1, s39
	s_andn2_b64 s[34:35], s[34:35], s[36:37]
	s_cmp_lg_u64 s[34:35], 0
	s_cbranch_scc1 .LBB114_26
; %bb.27:                               ;   in Loop: Header=BB114_6 Depth=1
	v_mbcnt_lo_u32_b32 v0, exec_lo, 0
	v_mbcnt_hi_u32_b32 v0, exec_hi, v0
	v_cmp_eq_u32_e32 vcc, 0, v0
	s_and_saveexec_b64 s[34:35], vcc
	s_xor_b64 s[34:35], exec, s[34:35]
	s_cbranch_execz .LBB114_5
; %bb.28:                               ;   in Loop: Header=BB114_6 Depth=1
	global_load_dwordx2 v[7:8], v20, s[30:31] offset:8
	s_mov_b64 s[34:35], 0
.LBB114_29:                             ;   Parent Loop BB114_6 Depth=1
                                        ; =>  This Inner Loop Header: Depth=2
	s_waitcnt vmcnt(0)
	v_add_f64 v[5:6], v[7:8], v[9:10]
	global_atomic_cmpswap_x2 v[5:6], v20, v[5:8], s[30:31] offset:8 glc
	s_waitcnt vmcnt(0)
	v_cmp_eq_u64_e32 vcc, v[5:6], v[7:8]
	v_mov_b32_e32 v8, v6
	s_or_b64 s[34:35], vcc, s[34:35]
	v_mov_b32_e32 v7, v5
	s_andn2_b64 exec, exec, s[34:35]
	s_cbranch_execnz .LBB114_29
; %bb.30:                               ;   in Loop: Header=BB114_6 Depth=1
	s_or_b64 exec, exec, s[34:35]
	s_branch .LBB114_5
.LBB114_31:
	s_lshl_b64 s[0:1], s[20:21], 3
	s_add_u32 s0, s12, s0
	s_addc_u32 s1, s13, s1
	s_lshl_b64 s[2:3], s[22:23], 3
	s_add_u32 s2, s12, s2
	s_addc_u32 s3, s13, s3
	s_load_dwordx2 s[6:7], s[0:1], 0x0
	s_load_dwordx2 s[4:5], s[2:3], 0x0
	s_waitcnt lgkmcnt(0)
	v_mov_b32_e32 v0, s7
	s_sub_u32 s4, s4, s10
	v_add_co_u32_e32 v13, vcc, s6, v18
	s_subb_u32 s5, s5, 0
	v_addc_co_u32_e32 v14, vcc, v0, v19, vcc
	v_cmp_gt_i64_e32 vcc, s[4:5], v[13:14]
	s_and_b64 exec, exec, vcc
	s_cbranch_execz .LBB114_43
; %bb.32:
	s_add_u32 s6, s22, -1
	s_addc_u32 s7, s23, -1
	v_mov_b32_e32 v5, s6
	s_add_u32 s0, s22, -2
	v_mov_b32_e32 v6, s7
	s_addc_u32 s1, s23, -1
	v_cmp_lt_i64_e32 vcc, s[20:21], v[5:6]
	s_cmp_lg_u64 s[20:21], s[0:1]
	s_cselect_b64 s[0:1], -1, 0
	s_and_b64 s[0:1], vcc, s[0:1]
	v_cndmask_b32_e64 v0, 0, 1, s[0:1]
	s_mov_b64 s[8:9], 0
	v_cmp_ne_u32_e64 s[0:1], 1, v0
	v_mov_b32_e32 v0, s13
	v_mov_b32_e32 v23, s15
	s_branch .LBB114_34
.LBB114_33:                             ;   in Loop: Header=BB114_34 Depth=1
	s_or_b64 exec, exec, s[2:3]
	v_add_co_u32_e32 v13, vcc, 0x100, v13
	v_addc_co_u32_e32 v14, vcc, 0, v14, vcc
	v_cmp_le_i64_e32 vcc, s[4:5], v[13:14]
	s_or_b64 s[8:9], vcc, s[8:9]
	s_andn2_b64 exec, exec, s[8:9]
	s_cbranch_execz .LBB114_43
.LBB114_34:                             ; =>This Loop Header: Depth=1
                                        ;     Child Loop BB114_36 Depth 2
                                        ;     Child Loop BB114_40 Depth 2
                                        ;     Child Loop BB114_42 Depth 2
	v_mov_b32_e32 v5, s20
	v_mov_b32_e32 v8, s7
	s_and_b64 vcc, exec, s[0:1]
	v_mov_b32_e32 v6, s21
	v_mov_b32_e32 v7, s6
	s_cbranch_vccnz .LBB114_38
; %bb.35:                               ;   in Loop: Header=BB114_34 Depth=1
	v_mov_b32_e32 v5, s20
	v_mov_b32_e32 v8, s7
	s_mov_b64 s[22:23], 0
	v_mov_b32_e32 v6, s21
	v_mov_b32_e32 v7, s6
.LBB114_36:                             ;   Parent Loop BB114_34 Depth=1
                                        ; =>  This Inner Loop Header: Depth=2
	v_add_co_u32_e32 v9, vcc, v7, v5
	v_addc_co_u32_e32 v10, vcc, v8, v6, vcc
	v_lshrrev_b32_e32 v11, 31, v10
	v_add_co_u32_e32 v9, vcc, v9, v11
	v_addc_co_u32_e32 v10, vcc, 0, v10, vcc
	v_ashrrev_i64 v[9:10], 1, v[9:10]
	v_mov_b32_e32 v15, s13
	v_lshlrev_b64 v[11:12], 3, v[9:10]
	v_add_co_u32_e32 v11, vcc, s12, v11
	v_addc_co_u32_e32 v12, vcc, v15, v12, vcc
	global_load_dwordx2 v[11:12], v[11:12], off
	s_waitcnt vmcnt(0)
	v_subrev_co_u32_e32 v11, vcc, s10, v11
	v_subbrev_co_u32_e32 v12, vcc, 0, v12, vcc
	v_cmp_lt_i64_e32 vcc, v[13:14], v[11:12]
	v_cndmask_b32_e32 v7, v7, v9, vcc
	v_cndmask_b32_e32 v8, v8, v10, vcc
	;; [unrolled: 1-line block ×3, first 2 shown]
	v_add_co_u32_e64 v9, s[2:3], -1, v7
	v_cndmask_b32_e32 v6, v10, v6, vcc
	v_addc_co_u32_e64 v10, s[2:3], -1, v8, s[2:3]
	v_cmp_ge_i64_e32 vcc, v[5:6], v[7:8]
	v_cmp_eq_u64_e64 s[2:3], v[5:6], v[9:10]
	s_or_b64 s[2:3], vcc, s[2:3]
	s_and_b64 s[2:3], exec, s[2:3]
	s_or_b64 s[22:23], s[2:3], s[22:23]
	s_andn2_b64 exec, exec, s[22:23]
	s_cbranch_execnz .LBB114_36
; %bb.37:                               ;   in Loop: Header=BB114_34 Depth=1
	s_or_b64 exec, exec, s[22:23]
.LBB114_38:                             ;   in Loop: Header=BB114_34 Depth=1
	v_lshlrev_b64 v[9:10], 3, v[7:8]
	v_lshlrev_b64 v[11:12], 2, v[13:14]
	v_add_co_u32_e32 v9, vcc, s12, v9
	v_addc_co_u32_e32 v10, vcc, v0, v10, vcc
	global_load_dwordx2 v[9:10], v[9:10], off
	v_add_co_u32_e32 v11, vcc, s14, v11
	v_addc_co_u32_e32 v12, vcc, v23, v12, vcc
	global_load_dword v15, v[11:12], off
	s_waitcnt vmcnt(1)
	v_subrev_co_u32_e32 v11, vcc, s10, v9
	v_subbrev_co_u32_e32 v12, vcc, 0, v10, vcc
	v_cmp_lt_i64_e32 vcc, v[13:14], v[11:12]
	s_waitcnt vmcnt(0)
	v_subrev_u32_e32 v9, s10, v15
	v_cndmask_b32_e32 v6, v8, v6, vcc
	v_cndmask_b32_e32 v5, v7, v5, vcc
	v_ashrrev_i32_e32 v10, 31, v9
	v_cmp_ne_u64_e32 vcc, v[5:6], v[9:10]
	s_and_saveexec_b64 s[2:3], vcc
	s_cbranch_execz .LBB114_33
; %bb.39:                               ;   in Loop: Header=BB114_34 Depth=1
	v_lshlrev_b64 v[7:8], 3, v[13:14]
	v_mov_b32_e32 v11, s17
	v_add_co_u32_e32 v7, vcc, s16, v7
	v_addc_co_u32_e32 v8, vcc, v11, v8, vcc
	global_load_dwordx2 v[17:18], v[7:8], off
	v_lshlrev_b64 v[5:6], 4, v[5:6]
	v_mov_b32_e32 v7, s19
	v_add_co_u32_e32 v5, vcc, s18, v5
	v_addc_co_u32_e32 v6, vcc, v7, v6, vcc
	global_load_dwordx4 v[5:8], v[5:6], off
	v_lshlrev_b64 v[9:10], 4, v[9:10]
	v_mov_b32_e32 v11, s27
	v_add_co_u32_e32 v15, vcc, s26, v9
	v_addc_co_u32_e32 v16, vcc, v11, v10, vcc
	global_load_dwordx2 v[11:12], v[15:16], off
	s_mov_b64 s[22:23], 0
	s_waitcnt vmcnt(2)
	v_cndmask_b32_e64 v9, v18, -v18, s[24:25]
	v_cvt_f64_f32_e32 v[9:10], v9
	v_cvt_f64_f32_e32 v[20:21], v17
	v_mul_f64 v[18:19], v[1:2], v[9:10]
	v_mul_f64 v[9:10], -v[3:4], v[9:10]
	v_fma_f64 v[17:18], v[3:4], v[20:21], v[18:19]
	v_fma_f64 v[19:20], v[1:2], v[20:21], v[9:10]
	s_waitcnt vmcnt(1)
	v_mul_f64 v[9:10], v[7:8], -v[17:18]
	v_fma_f64 v[21:22], v[19:20], v[5:6], v[9:10]
.LBB114_40:                             ;   Parent Loop BB114_34 Depth=1
                                        ; =>  This Inner Loop Header: Depth=2
	s_waitcnt vmcnt(0)
	v_add_f64 v[9:10], v[11:12], v[21:22]
	global_atomic_cmpswap_x2 v[9:10], v[15:16], v[9:12], off glc
	s_waitcnt vmcnt(0)
	v_cmp_eq_u64_e32 vcc, v[9:10], v[11:12]
	v_mov_b32_e32 v12, v10
	s_or_b64 s[22:23], vcc, s[22:23]
	v_mov_b32_e32 v11, v9
	s_andn2_b64 exec, exec, s[22:23]
	s_cbranch_execnz .LBB114_40
; %bb.41:                               ;   in Loop: Header=BB114_34 Depth=1
	s_or_b64 exec, exec, s[22:23]
	global_load_dwordx2 v[9:10], v[15:16], off offset:8
	v_mul_f64 v[7:8], v[7:8], v[19:20]
	s_mov_b64 s[22:23], 0
	v_fma_f64 v[5:6], v[17:18], v[5:6], v[7:8]
.LBB114_42:                             ;   Parent Loop BB114_34 Depth=1
                                        ; =>  This Inner Loop Header: Depth=2
	s_waitcnt vmcnt(0)
	v_add_f64 v[7:8], v[9:10], v[5:6]
	global_atomic_cmpswap_x2 v[7:8], v[15:16], v[7:10], off offset:8 glc
	s_waitcnt vmcnt(0)
	v_cmp_eq_u64_e32 vcc, v[7:8], v[9:10]
	v_mov_b32_e32 v10, v8
	s_or_b64 s[22:23], vcc, s[22:23]
	v_mov_b32_e32 v9, v7
	s_andn2_b64 exec, exec, s[22:23]
	s_cbranch_execnz .LBB114_42
	s_branch .LBB114_33
.LBB114_43:
	s_endpgm
	.section	.rodata,"a",@progbits
	.p2align	6, 0x0
	.amdhsa_kernel _ZL33csrmvn_symm_large_adaptive_kernelIli21rocsparse_complex_numIfES0_IdES2_S2_EvbT_PKS3_N9rocsparse24const_host_device_scalarIT4_EES5_PKT0_PKT1_PKT2_S9_PT3_21rocsparse_index_base_b
		.amdhsa_group_segment_fixed_size 16384
		.amdhsa_private_segment_fixed_size 0
		.amdhsa_kernarg_size 104
		.amdhsa_user_sgpr_count 6
		.amdhsa_user_sgpr_private_segment_buffer 1
		.amdhsa_user_sgpr_dispatch_ptr 0
		.amdhsa_user_sgpr_queue_ptr 0
		.amdhsa_user_sgpr_kernarg_segment_ptr 1
		.amdhsa_user_sgpr_dispatch_id 0
		.amdhsa_user_sgpr_flat_scratch_init 0
		.amdhsa_user_sgpr_private_segment_size 0
		.amdhsa_uses_dynamic_stack 0
		.amdhsa_system_sgpr_private_segment_wavefront_offset 0
		.amdhsa_system_sgpr_workgroup_id_x 1
		.amdhsa_system_sgpr_workgroup_id_y 0
		.amdhsa_system_sgpr_workgroup_id_z 0
		.amdhsa_system_sgpr_workgroup_info 0
		.amdhsa_system_vgpr_workitem_id 0
		.amdhsa_next_free_vgpr 49
		.amdhsa_next_free_sgpr 98
		.amdhsa_reserve_vcc 1
		.amdhsa_reserve_flat_scratch 0
		.amdhsa_float_round_mode_32 0
		.amdhsa_float_round_mode_16_64 0
		.amdhsa_float_denorm_mode_32 3
		.amdhsa_float_denorm_mode_16_64 3
		.amdhsa_dx10_clamp 1
		.amdhsa_ieee_mode 1
		.amdhsa_fp16_overflow 0
		.amdhsa_exception_fp_ieee_invalid_op 0
		.amdhsa_exception_fp_denorm_src 0
		.amdhsa_exception_fp_ieee_div_zero 0
		.amdhsa_exception_fp_ieee_overflow 0
		.amdhsa_exception_fp_ieee_underflow 0
		.amdhsa_exception_fp_ieee_inexact 0
		.amdhsa_exception_int_div_zero 0
	.end_amdhsa_kernel
	.section	.text._ZL33csrmvn_symm_large_adaptive_kernelIli21rocsparse_complex_numIfES0_IdES2_S2_EvbT_PKS3_N9rocsparse24const_host_device_scalarIT4_EES5_PKT0_PKT1_PKT2_S9_PT3_21rocsparse_index_base_b,"axG",@progbits,_ZL33csrmvn_symm_large_adaptive_kernelIli21rocsparse_complex_numIfES0_IdES2_S2_EvbT_PKS3_N9rocsparse24const_host_device_scalarIT4_EES5_PKT0_PKT1_PKT2_S9_PT3_21rocsparse_index_base_b,comdat
.Lfunc_end114:
	.size	_ZL33csrmvn_symm_large_adaptive_kernelIli21rocsparse_complex_numIfES0_IdES2_S2_EvbT_PKS3_N9rocsparse24const_host_device_scalarIT4_EES5_PKT0_PKT1_PKT2_S9_PT3_21rocsparse_index_base_b, .Lfunc_end114-_ZL33csrmvn_symm_large_adaptive_kernelIli21rocsparse_complex_numIfES0_IdES2_S2_EvbT_PKS3_N9rocsparse24const_host_device_scalarIT4_EES5_PKT0_PKT1_PKT2_S9_PT3_21rocsparse_index_base_b
                                        ; -- End function
	.set _ZL33csrmvn_symm_large_adaptive_kernelIli21rocsparse_complex_numIfES0_IdES2_S2_EvbT_PKS3_N9rocsparse24const_host_device_scalarIT4_EES5_PKT0_PKT1_PKT2_S9_PT3_21rocsparse_index_base_b.num_vgpr, 29
	.set _ZL33csrmvn_symm_large_adaptive_kernelIli21rocsparse_complex_numIfES0_IdES2_S2_EvbT_PKS3_N9rocsparse24const_host_device_scalarIT4_EES5_PKT0_PKT1_PKT2_S9_PT3_21rocsparse_index_base_b.num_agpr, 0
	.set _ZL33csrmvn_symm_large_adaptive_kernelIli21rocsparse_complex_numIfES0_IdES2_S2_EvbT_PKS3_N9rocsparse24const_host_device_scalarIT4_EES5_PKT0_PKT1_PKT2_S9_PT3_21rocsparse_index_base_b.numbered_sgpr, 44
	.set _ZL33csrmvn_symm_large_adaptive_kernelIli21rocsparse_complex_numIfES0_IdES2_S2_EvbT_PKS3_N9rocsparse24const_host_device_scalarIT4_EES5_PKT0_PKT1_PKT2_S9_PT3_21rocsparse_index_base_b.num_named_barrier, 0
	.set _ZL33csrmvn_symm_large_adaptive_kernelIli21rocsparse_complex_numIfES0_IdES2_S2_EvbT_PKS3_N9rocsparse24const_host_device_scalarIT4_EES5_PKT0_PKT1_PKT2_S9_PT3_21rocsparse_index_base_b.private_seg_size, 0
	.set _ZL33csrmvn_symm_large_adaptive_kernelIli21rocsparse_complex_numIfES0_IdES2_S2_EvbT_PKS3_N9rocsparse24const_host_device_scalarIT4_EES5_PKT0_PKT1_PKT2_S9_PT3_21rocsparse_index_base_b.uses_vcc, 1
	.set _ZL33csrmvn_symm_large_adaptive_kernelIli21rocsparse_complex_numIfES0_IdES2_S2_EvbT_PKS3_N9rocsparse24const_host_device_scalarIT4_EES5_PKT0_PKT1_PKT2_S9_PT3_21rocsparse_index_base_b.uses_flat_scratch, 0
	.set _ZL33csrmvn_symm_large_adaptive_kernelIli21rocsparse_complex_numIfES0_IdES2_S2_EvbT_PKS3_N9rocsparse24const_host_device_scalarIT4_EES5_PKT0_PKT1_PKT2_S9_PT3_21rocsparse_index_base_b.has_dyn_sized_stack, 0
	.set _ZL33csrmvn_symm_large_adaptive_kernelIli21rocsparse_complex_numIfES0_IdES2_S2_EvbT_PKS3_N9rocsparse24const_host_device_scalarIT4_EES5_PKT0_PKT1_PKT2_S9_PT3_21rocsparse_index_base_b.has_recursion, 0
	.set _ZL33csrmvn_symm_large_adaptive_kernelIli21rocsparse_complex_numIfES0_IdES2_S2_EvbT_PKS3_N9rocsparse24const_host_device_scalarIT4_EES5_PKT0_PKT1_PKT2_S9_PT3_21rocsparse_index_base_b.has_indirect_call, 0
	.section	.AMDGPU.csdata,"",@progbits
; Kernel info:
; codeLenInByte = 2488
; TotalNumSgprs: 48
; NumVgprs: 29
; ScratchSize: 0
; MemoryBound: 0
; FloatMode: 240
; IeeeMode: 1
; LDSByteSize: 16384 bytes/workgroup (compile time only)
; SGPRBlocks: 12
; VGPRBlocks: 12
; NumSGPRsForWavesPerEU: 102
; NumVGPRsForWavesPerEU: 49
; Occupancy: 4
; WaveLimiterHint : 1
; COMPUTE_PGM_RSRC2:SCRATCH_EN: 0
; COMPUTE_PGM_RSRC2:USER_SGPR: 6
; COMPUTE_PGM_RSRC2:TRAP_HANDLER: 0
; COMPUTE_PGM_RSRC2:TGID_X_EN: 1
; COMPUTE_PGM_RSRC2:TGID_Y_EN: 0
; COMPUTE_PGM_RSRC2:TGID_Z_EN: 0
; COMPUTE_PGM_RSRC2:TIDIG_COMP_CNT: 0
	.section	.text._ZN9rocsparseL22csrmvn_adaptive_kernelIll21rocsparse_complex_numIfES1_IdES3_S3_EEvbT_PKS4_PjPKT0_NS_24const_host_device_scalarIT4_EES6_SA_PKT1_PKT2_SD_PT3_21rocsparse_index_base_b,"axG",@progbits,_ZN9rocsparseL22csrmvn_adaptive_kernelIll21rocsparse_complex_numIfES1_IdES3_S3_EEvbT_PKS4_PjPKT0_NS_24const_host_device_scalarIT4_EES6_SA_PKT1_PKT2_SD_PT3_21rocsparse_index_base_b,comdat
	.globl	_ZN9rocsparseL22csrmvn_adaptive_kernelIll21rocsparse_complex_numIfES1_IdES3_S3_EEvbT_PKS4_PjPKT0_NS_24const_host_device_scalarIT4_EES6_SA_PKT1_PKT2_SD_PT3_21rocsparse_index_base_b ; -- Begin function _ZN9rocsparseL22csrmvn_adaptive_kernelIll21rocsparse_complex_numIfES1_IdES3_S3_EEvbT_PKS4_PjPKT0_NS_24const_host_device_scalarIT4_EES6_SA_PKT1_PKT2_SD_PT3_21rocsparse_index_base_b
	.p2align	8
	.type	_ZN9rocsparseL22csrmvn_adaptive_kernelIll21rocsparse_complex_numIfES1_IdES3_S3_EEvbT_PKS4_PjPKT0_NS_24const_host_device_scalarIT4_EES6_SA_PKT1_PKT2_SD_PT3_21rocsparse_index_base_b,@function
_ZN9rocsparseL22csrmvn_adaptive_kernelIll21rocsparse_complex_numIfES1_IdES3_S3_EEvbT_PKS4_PjPKT0_NS_24const_host_device_scalarIT4_EES6_SA_PKT1_PKT2_SD_PT3_21rocsparse_index_base_b: ; @_ZN9rocsparseL22csrmvn_adaptive_kernelIll21rocsparse_complex_numIfES1_IdES3_S3_EEvbT_PKS4_PjPKT0_NS_24const_host_device_scalarIT4_EES6_SA_PKT1_PKT2_SD_PT3_21rocsparse_index_base_b
; %bb.0:
	s_load_dwordx2 s[0:1], s[4:5], 0x28
	s_load_dwordx2 s[44:45], s[4:5], 0x70
	s_add_u32 s7, s4, 40
	s_addc_u32 s8, s5, 0
	s_add_u32 s9, s4, 0x58
	s_addc_u32 s10, s5, 0
	s_waitcnt lgkmcnt(0)
	s_bitcmp1_b32 s45, 0
	s_cselect_b32 s1, s8, s1
	s_cselect_b32 s0, s7, s0
	v_mov_b32_e32 v1, s0
	v_mov_b32_e32 v2, s1
	flat_load_dwordx4 v[5:8], v[1:2]
	s_load_dwordx2 s[2:3], s[4:5], 0x58
	s_waitcnt lgkmcnt(0)
	s_cselect_b32 s0, s10, s3
	s_cselect_b32 s1, s9, s2
	v_mov_b32_e32 v1, s1
	v_mov_b32_e32 v2, s0
	flat_load_dwordx4 v[1:4], v[1:2]
	s_waitcnt vmcnt(0)
	v_cmp_eq_f64_e32 vcc, 0, v[5:6]
	v_cmp_eq_f64_e64 s[0:1], 0, v[7:8]
	s_and_b64 s[8:9], vcc, s[0:1]
	s_mov_b64 s[0:1], -1
	s_and_saveexec_b64 s[2:3], s[8:9]
	s_cbranch_execz .LBB115_2
; %bb.1:
	s_waitcnt lgkmcnt(0)
	v_cmp_neq_f64_e32 vcc, 1.0, v[1:2]
	v_cmp_neq_f64_e64 s[0:1], 0, v[3:4]
	s_or_b64 s[0:1], vcc, s[0:1]
	s_orn2_b64 s[0:1], s[0:1], exec
.LBB115_2:
	s_or_b64 exec, exec, s[2:3]
	s_and_saveexec_b64 s[2:3], s[0:1]
	s_cbranch_execz .LBB115_116
; %bb.3:
	s_load_dwordx2 s[2:3], s[4:5], 0x20
	s_load_dword s7, s[4:5], 0x0
	s_load_dwordx2 s[0:1], s[4:5], 0x10
	s_waitcnt lgkmcnt(0)
	s_bitcmp1_b32 s7, 0
	s_cselect_b64 s[46:47], -1, 0
	s_ashr_i32 s7, s6, 31
	s_lshl_b64 s[8:9], s[6:7], 3
	s_add_u32 s0, s0, s8
	s_addc_u32 s1, s1, s9
	s_load_dwordx4 s[36:39], s[0:1], 0x0
	s_load_dwordx2 s[22:23], s[4:5], 0x68
	s_load_dwordx8 s[24:31], s[4:5], 0x38
	s_waitcnt lgkmcnt(0)
	s_sub_u32 s0, s38, s36
	s_subb_u32 s1, s39, s37
	s_add_u32 s2, s2, s8
	s_addc_u32 s3, s3, s9
	s_lshl_b64 s[8:9], s[36:37], 3
	s_add_u32 s42, s24, s8
	s_addc_u32 s43, s25, s9
	s_load_dwordx2 s[34:35], s[2:3], 0x0
	s_load_dwordx2 s[40:41], s[42:43], 0x0
	v_cmp_lt_i64_e64 s[8:9], s[0:1], 2
	s_mov_b64 s[2:3], -1
	s_and_b64 vcc, exec, s[8:9]
	s_cbranch_vccz .LBB115_72
; %bb.4:
	s_cmp_lg_u64 s[0:1], 1
	s_cselect_b64 s[0:1], -1, 0
	s_waitcnt lgkmcnt(0)
	s_cmp_lg_u64 s[34:35], 0
	s_cselect_b64 s[2:3], -1, 0
	s_or_b64 s[0:1], s[0:1], s[2:3]
	s_mov_b64 s[18:19], -1
	s_and_b64 vcc, exec, s[0:1]
	v_cmp_gt_u32_e64 s[0:1], 64, v0
	v_cmp_gt_u32_e64 s[2:3], 32, v0
	;; [unrolled: 1-line block ×6, first 2 shown]
	v_cmp_eq_u32_e64 s[16:17], 0, v0
	s_cbranch_vccnz .LBB115_32
; %bb.5:
	v_cmp_neq_f64_e32 vcc, 0, v[1:2]
	v_cmp_neq_f64_e64 s[20:21], 0, v[3:4]
	v_subrev_co_u32_e64 v22, s[18:19], s44, v0
	v_subb_co_u32_e64 v23, s[18:19], 0, 0, s[18:19]
	s_movk_i32 s18, 0x80
	v_mov_b32_e32 v13, s38
	v_mov_b32_e32 v21, 0
	s_or_b64 s[48:49], vcc, s[20:21]
	s_add_u32 s33, s28, 4
	v_lshlrev_b32_e32 v24, 4, v0
	v_cmp_gt_u32_e64 s[18:19], s18, v0
	s_addc_u32 s45, s29, 0
	s_movk_i32 s58, 0x100
	v_mov_b32_e32 v14, s39
	s_mov_b64 s[50:51], s[36:37]
	s_branch .LBB115_8
.LBB115_6:                              ;   in Loop: Header=BB115_8 Depth=1
	s_or_b64 exec, exec, s[52:53]
	s_lshl_b64 s[52:53], s[50:51], 4
	s_add_u32 s52, s22, s52
	s_addc_u32 s53, s23, s53
	s_waitcnt lgkmcnt(0)
	global_store_dwordx4 v21, v[9:12], s[52:53]
.LBB115_7:                              ;   in Loop: Header=BB115_8 Depth=1
	s_or_b64 exec, exec, s[20:21]
	s_add_u32 s50, s50, 1
	s_addc_u32 s51, s51, 0
	v_cmp_ge_i64_e32 vcc, s[50:51], v[13:14]
	s_cbranch_vccnz .LBB115_31
.LBB115_8:                              ; =>This Loop Header: Depth=1
                                        ;     Child Loop BB115_10 Depth 2
	s_lshl_b64 s[20:21], s[50:51], 3
	s_add_u32 s20, s24, s20
	s_addc_u32 s21, s25, s21
	s_load_dwordx4 s[60:63], s[20:21], 0x0
	v_mov_b32_e32 v11, 0
	v_mov_b32_e32 v12, 0
	s_waitcnt lgkmcnt(0)
	s_sub_u32 s52, s62, s44
	v_mov_b32_e32 v9, s61
	v_add_co_u32_e32 v15, vcc, s60, v22
	s_subb_u32 s53, s63, 0
	v_addc_co_u32_e32 v16, vcc, v9, v23, vcc
	v_cmp_gt_i64_e32 vcc, s[52:53], v[15:16]
	v_mov_b32_e32 v9, 0
	v_mov_b32_e32 v10, 0
	s_and_saveexec_b64 s[54:55], vcc
	s_cbranch_execz .LBB115_12
; %bb.9:                                ;   in Loop: Header=BB115_8 Depth=1
	v_lshlrev_b64 v[9:10], 3, v[15:16]
	v_mov_b32_e32 v11, s45
	v_add_co_u32_e32 v17, vcc, s33, v9
	v_addc_co_u32_e32 v18, vcc, v11, v10, vcc
	v_mov_b32_e32 v11, s27
	v_add_co_u32_e32 v19, vcc, s26, v9
	v_addc_co_u32_e32 v20, vcc, v11, v10, vcc
	v_mov_b32_e32 v11, 0
	v_mov_b32_e32 v12, 0
	;; [unrolled: 1-line block ×3, first 2 shown]
	s_mov_b64 s[56:57], 0
	v_mov_b32_e32 v10, v12
.LBB115_10:                             ;   Parent Loop BB115_8 Depth=1
                                        ; =>  This Inner Loop Header: Depth=2
	global_load_dwordx2 v[25:26], v[19:20], off
	global_load_dwordx2 v[29:30], v[17:18], off offset:-4
	v_mov_b32_e32 v27, s31
	s_waitcnt vmcnt(1)
	v_subrev_co_u32_e32 v25, vcc, s44, v25
	v_subbrev_co_u32_e32 v26, vcc, 0, v26, vcc
	v_lshlrev_b64 v[25:26], 4, v[25:26]
	s_waitcnt vmcnt(0)
	v_cndmask_b32_e64 v30, v30, -v30, s[46:47]
	v_add_co_u32_e32 v25, vcc, s30, v25
	v_addc_co_u32_e32 v26, vcc, v27, v26, vcc
	global_load_dwordx4 v[25:28], v[25:26], off
	v_cvt_f64_f32_e32 v[30:31], v30
	v_cvt_f64_f32_e32 v[34:35], v29
	v_add_co_u32_e32 v15, vcc, s58, v15
	v_mul_f64 v[32:33], -v[7:8], v[30:31]
	v_mul_f64 v[30:31], v[5:6], v[30:31]
	v_addc_co_u32_e32 v16, vcc, 0, v16, vcc
	v_add_co_u32_e32 v17, vcc, 0x800, v17
	v_addc_co_u32_e32 v18, vcc, 0, v18, vcc
	v_fma_f64 v[32:33], v[5:6], v[34:35], v[32:33]
	v_fma_f64 v[29:30], v[7:8], v[34:35], v[30:31]
	v_cmp_le_i64_e64 s[20:21], s[52:53], v[15:16]
	v_add_co_u32_e32 v19, vcc, 0x800, v19
	s_or_b64 s[56:57], s[20:21], s[56:57]
	v_addc_co_u32_e32 v20, vcc, 0, v20, vcc
	s_waitcnt vmcnt(0)
	v_fma_f64 v[9:10], v[32:33], v[25:26], v[9:10]
	v_fma_f64 v[11:12], v[29:30], v[25:26], v[11:12]
	v_fma_f64 v[9:10], -v[29:30], v[27:28], v[9:10]
	v_fma_f64 v[11:12], v[32:33], v[27:28], v[11:12]
	s_andn2_b64 exec, exec, s[56:57]
	s_cbranch_execnz .LBB115_10
; %bb.11:                               ;   in Loop: Header=BB115_8 Depth=1
	s_or_b64 exec, exec, s[56:57]
.LBB115_12:                             ;   in Loop: Header=BB115_8 Depth=1
	s_or_b64 exec, exec, s[54:55]
	ds_write_b128 v24, v[9:12]
	s_waitcnt vmcnt(0) lgkmcnt(0)
	s_barrier
	s_and_saveexec_b64 s[20:21], s[18:19]
	s_cbranch_execz .LBB115_14
; %bb.13:                               ;   in Loop: Header=BB115_8 Depth=1
	ds_read_b128 v[9:12], v24 offset:2048
	ds_read_b128 v[15:18], v24
	s_waitcnt lgkmcnt(0)
	v_add_f64 v[9:10], v[9:10], v[15:16]
	v_add_f64 v[11:12], v[11:12], v[17:18]
	ds_write_b128 v24, v[9:12]
.LBB115_14:                             ;   in Loop: Header=BB115_8 Depth=1
	s_or_b64 exec, exec, s[20:21]
	s_waitcnt lgkmcnt(0)
	s_barrier
	s_and_saveexec_b64 s[20:21], s[0:1]
	s_cbranch_execz .LBB115_16
; %bb.15:                               ;   in Loop: Header=BB115_8 Depth=1
	ds_read_b128 v[9:12], v24 offset:1024
	ds_read_b128 v[15:18], v24
	s_waitcnt lgkmcnt(0)
	v_add_f64 v[9:10], v[9:10], v[15:16]
	v_add_f64 v[11:12], v[11:12], v[17:18]
	ds_write_b128 v24, v[9:12]
.LBB115_16:                             ;   in Loop: Header=BB115_8 Depth=1
	s_or_b64 exec, exec, s[20:21]
	s_waitcnt lgkmcnt(0)
	;; [unrolled: 13-line block ×6, first 2 shown]
	s_barrier
	s_and_saveexec_b64 s[20:21], s[14:15]
	s_cbranch_execz .LBB115_26
; %bb.25:                               ;   in Loop: Header=BB115_8 Depth=1
	ds_read_b128 v[9:12], v24
	ds_read_b128 v[15:18], v24 offset:32
	s_waitcnt lgkmcnt(0)
	v_add_f64 v[9:10], v[15:16], v[9:10]
	v_add_f64 v[11:12], v[17:18], v[11:12]
	ds_write_b128 v24, v[9:12]
.LBB115_26:                             ;   in Loop: Header=BB115_8 Depth=1
	s_or_b64 exec, exec, s[20:21]
	s_waitcnt lgkmcnt(0)
	s_barrier
	s_and_saveexec_b64 s[20:21], s[16:17]
	s_cbranch_execz .LBB115_28
; %bb.27:                               ;   in Loop: Header=BB115_8 Depth=1
	ds_read_b128 v[9:12], v21
	ds_read_b128 v[15:18], v21 offset:16
	s_waitcnt lgkmcnt(0)
	v_add_f64 v[9:10], v[15:16], v[9:10]
	v_add_f64 v[11:12], v[17:18], v[11:12]
	ds_write_b128 v21, v[9:12]
.LBB115_28:                             ;   in Loop: Header=BB115_8 Depth=1
	s_or_b64 exec, exec, s[20:21]
	s_waitcnt lgkmcnt(0)
	s_barrier
	s_and_saveexec_b64 s[20:21], s[16:17]
	s_cbranch_execz .LBB115_7
; %bb.29:                               ;   in Loop: Header=BB115_8 Depth=1
	ds_read_b128 v[9:12], v21
	s_and_saveexec_b64 s[52:53], s[48:49]
	s_cbranch_execz .LBB115_6
; %bb.30:                               ;   in Loop: Header=BB115_8 Depth=1
	s_lshl_b64 s[54:55], s[50:51], 4
	s_add_u32 s54, s22, s54
	s_addc_u32 s55, s23, s55
	global_load_dwordx4 v[15:18], v21, s[54:55]
	s_waitcnt vmcnt(0) lgkmcnt(0)
	v_fma_f64 v[9:10], v[1:2], v[15:16], v[9:10]
	v_fma_f64 v[11:12], v[3:4], v[15:16], v[11:12]
	v_fma_f64 v[9:10], -v[3:4], v[17:18], v[9:10]
	v_fma_f64 v[11:12], v[1:2], v[17:18], v[11:12]
	s_branch .LBB115_6
.LBB115_31:
	s_mov_b64 s[18:19], 0
.LBB115_32:
	s_and_b64 vcc, exec, s[18:19]
	s_cbranch_vccz .LBB115_71
; %bb.33:
	s_load_dwordx2 s[8:9], s[4:5], 0x18
	s_sub_u32 s10, s6, s34
	s_subb_u32 s11, s7, s35
	s_lshl_b64 s[0:1], s[6:7], 2
	v_mov_b32_e32 v13, 0
	s_waitcnt lgkmcnt(0)
	s_add_u32 s6, s8, s0
	s_addc_u32 s7, s9, s1
	global_load_dword v19, v13, s[6:7]
	s_cmp_lg_u64 s[34:35], 0
	s_cselect_b64 s[12:13], -1, 0
	s_cmp_eq_u64 s[34:35], 0
	s_cselect_b64 s[2:3], -1, 0
	v_cmp_eq_u32_e64 s[0:1], 0, v0
	v_mov_b32_e32 v9, 0
	v_mov_b32_e32 v11, 0
	;; [unrolled: 1-line block ×4, first 2 shown]
	s_and_b64 s[14:15], s[0:1], s[2:3]
	s_and_saveexec_b64 s[2:3], s[14:15]
	s_cbranch_execz .LBB115_37
; %bb.34:
	s_lshl_b64 s[16:17], s[36:37], 4
	s_add_u32 s16, s22, s16
	s_addc_u32 s17, s23, s17
	global_load_dwordx4 v[11:14], v13, s[16:17]
	v_add_f64 v[9:10], v[1:2], -1.0
	s_mov_b64 s[14:15], exec
	v_mbcnt_lo_u32_b32 v17, s14, 0
	v_mbcnt_hi_u32_b32 v17, s15, v17
	v_cmp_eq_u32_e32 vcc, 0, v17
	s_waitcnt vmcnt(0) expcnt(0) lgkmcnt(0)
	v_mul_f64 v[15:16], v[13:14], -v[3:4]
	v_mul_f64 v[13:14], v[9:10], v[13:14]
	s_and_saveexec_b64 s[16:17], vcc
	s_cbranch_execz .LBB115_36
; %bb.35:
	s_lshl_b64 s[18:19], s[10:11], 2
	s_add_u32 s18, s8, s18
	s_addc_u32 s19, s9, s19
	s_bcnt1_i32_b64 s14, s[14:15]
	s_and_b32 s14, s14, 1
	v_mov_b32_e32 v17, 0
	v_mov_b32_e32 v18, s14
	global_atomic_xor v17, v18, s[18:19]
.LBB115_36:
	s_or_b64 exec, exec, s[16:17]
	v_fma_f64 v[9:10], v[9:10], v[11:12], v[15:16]
	v_fma_f64 v[11:12], v[3:4], v[11:12], v[13:14]
.LBB115_37:
	s_or_b64 exec, exec, s[2:3]
	s_mul_i32 s2, s35, 0xc00
	s_mul_hi_u32 s3, s34, 0xc00
	s_add_i32 s14, s3, s2
	s_load_dwordx2 s[2:3], s[42:43], 0x8
	s_sub_u32 s16, s40, s44
	s_mul_i32 s15, s34, 0xc00
	s_subb_u32 s17, s41, 0
	s_add_u32 s16, s16, s15
	s_addc_u32 s17, s17, s14
	s_waitcnt lgkmcnt(0)
	s_sub_u32 s2, s2, s44
	v_mov_b32_e32 v14, s17
	v_add_co_u32_e32 v13, vcc, s16, v0
	s_subb_u32 s3, s3, 0
	v_addc_co_u32_e32 v14, vcc, 0, v14, vcc
	v_cmp_gt_i64_e32 vcc, s[2:3], v[13:14]
	s_and_saveexec_b64 s[14:15], vcc
	s_cbranch_execz .LBB115_41
; %bb.38:
	s_add_u32 s16, s16, 0xc00
	v_mov_b32_e32 v16, s3
	s_addc_u32 s17, s17, 0
	v_mov_b32_e32 v15, s2
	v_cmp_lt_i64_e32 vcc, s[16:17], v[15:16]
	v_lshlrev_b64 v[17:18], 3, v[13:14]
	s_and_b64 s[18:19], vcc, exec
	v_mov_b32_e32 v15, s29
	v_add_co_u32_e32 v16, vcc, s28, v17
	v_addc_co_u32_e32 v20, vcc, v15, v18, vcc
	v_add_co_u32_e32 v15, vcc, 4, v16
	v_addc_co_u32_e32 v16, vcc, 0, v20, vcc
	v_mov_b32_e32 v20, s27
	v_add_co_u32_e32 v17, vcc, s26, v17
	s_cselect_b32 s17, s17, s3
	s_cselect_b32 s16, s16, s2
	v_addc_co_u32_e32 v18, vcc, v20, v18, vcc
	s_mov_b64 s[18:19], 0
	v_mov_b32_e32 v20, s31
	s_movk_i32 s20, 0x100
.LBB115_39:                             ; =>This Inner Loop Header: Depth=1
	global_load_dwordx2 v[21:22], v[17:18], off
	global_load_dwordx2 v[25:26], v[15:16], off offset:-4
	s_waitcnt vmcnt(1)
	v_subrev_co_u32_e32 v21, vcc, s44, v21
	v_subbrev_co_u32_e32 v22, vcc, 0, v22, vcc
	v_lshlrev_b64 v[21:22], 4, v[21:22]
	s_waitcnt vmcnt(0)
	v_cndmask_b32_e64 v26, v26, -v26, s[46:47]
	v_add_co_u32_e32 v21, vcc, s30, v21
	v_addc_co_u32_e32 v22, vcc, v20, v22, vcc
	global_load_dwordx4 v[21:24], v[21:22], off
	v_cvt_f64_f32_e32 v[26:27], v26
	v_cvt_f64_f32_e32 v[30:31], v25
	v_add_co_u32_e32 v13, vcc, s20, v13
	v_mul_f64 v[28:29], -v[7:8], v[26:27]
	v_mul_f64 v[26:27], v[5:6], v[26:27]
	v_addc_co_u32_e32 v14, vcc, 0, v14, vcc
	v_add_co_u32_e32 v15, vcc, 0x800, v15
	v_addc_co_u32_e32 v16, vcc, 0, v16, vcc
	v_fma_f64 v[28:29], v[5:6], v[30:31], v[28:29]
	v_fma_f64 v[25:26], v[7:8], v[30:31], v[26:27]
	v_cmp_le_i64_e64 s[2:3], s[16:17], v[13:14]
	v_add_co_u32_e32 v17, vcc, 0x800, v17
	s_or_b64 s[18:19], s[2:3], s[18:19]
	v_addc_co_u32_e32 v18, vcc, 0, v18, vcc
	s_waitcnt vmcnt(0)
	v_fma_f64 v[9:10], v[28:29], v[21:22], v[9:10]
	v_fma_f64 v[11:12], v[25:26], v[21:22], v[11:12]
	v_fma_f64 v[9:10], -v[25:26], v[23:24], v[9:10]
	v_fma_f64 v[11:12], v[28:29], v[23:24], v[11:12]
	s_andn2_b64 exec, exec, s[18:19]
	s_cbranch_execnz .LBB115_39
; %bb.40:
	s_or_b64 exec, exec, s[18:19]
.LBB115_41:
	s_or_b64 exec, exec, s[14:15]
	s_movk_i32 s2, 0x80
	v_lshlrev_b32_e32 v13, 4, v0
	v_cmp_gt_u32_e32 vcc, s2, v0
	ds_write_b128 v13, v[9:12]
	s_waitcnt vmcnt(0) lgkmcnt(0)
	s_barrier
	s_and_saveexec_b64 s[2:3], vcc
	s_cbranch_execz .LBB115_43
; %bb.42:
	ds_read_b128 v[9:12], v13 offset:2048
	ds_read_b128 v[14:17], v13
	s_waitcnt lgkmcnt(0)
	v_add_f64 v[9:10], v[9:10], v[14:15]
	v_add_f64 v[11:12], v[11:12], v[16:17]
	ds_write_b128 v13, v[9:12]
.LBB115_43:
	s_or_b64 exec, exec, s[2:3]
	v_cmp_gt_u32_e32 vcc, 64, v0
	s_waitcnt lgkmcnt(0)
	s_barrier
	s_and_saveexec_b64 s[2:3], vcc
	s_cbranch_execz .LBB115_45
; %bb.44:
	ds_read_b128 v[9:12], v13 offset:1024
	ds_read_b128 v[14:17], v13
	s_waitcnt lgkmcnt(0)
	v_add_f64 v[9:10], v[9:10], v[14:15]
	v_add_f64 v[11:12], v[11:12], v[16:17]
	ds_write_b128 v13, v[9:12]
.LBB115_45:
	s_or_b64 exec, exec, s[2:3]
	v_cmp_gt_u32_e32 vcc, 32, v0
	s_waitcnt lgkmcnt(0)
	;; [unrolled: 14-line block ×6, first 2 shown]
	s_barrier
	s_and_saveexec_b64 s[2:3], vcc
	s_cbranch_execz .LBB115_55
; %bb.54:
	ds_read_b128 v[9:12], v13
	ds_read_b128 v[14:17], v13 offset:32
	s_waitcnt lgkmcnt(0)
	v_add_f64 v[9:10], v[14:15], v[9:10]
	v_add_f64 v[11:12], v[16:17], v[11:12]
	ds_write_b128 v13, v[9:12]
.LBB115_55:
	s_or_b64 exec, exec, s[2:3]
	s_waitcnt lgkmcnt(0)
	s_barrier
	s_and_saveexec_b64 s[2:3], s[0:1]
	s_cbranch_execz .LBB115_57
; %bb.56:
	v_mov_b32_e32 v17, 0
	ds_read_b128 v[9:12], v17
	ds_read_b128 v[13:16], v17 offset:16
	s_waitcnt lgkmcnt(0)
	v_add_f64 v[9:10], v[13:14], v[9:10]
	v_add_f64 v[11:12], v[15:16], v[11:12]
	ds_write_b128 v17, v[9:12]
.LBB115_57:
	s_or_b64 exec, exec, s[2:3]
	s_waitcnt lgkmcnt(0)
	s_barrier
	s_and_saveexec_b64 s[2:3], s[0:1]
	s_cbranch_execz .LBB115_70
; %bb.58:
	s_andn2_b64 vcc, exec, s[12:13]
	s_cbranch_vccnz .LBB115_64
; %bb.59:
	s_lshl_b64 s[0:1], s[10:11], 2
	s_add_u32 s0, s8, s0
	s_addc_u32 s1, s9, s1
	v_mov_b32_e32 v9, 0
	s_branch .LBB115_61
.LBB115_60:                             ;   in Loop: Header=BB115_61 Depth=1
	s_or_b64 exec, exec, s[8:9]
	s_waitcnt vmcnt(0)
	v_readfirstlane_b32 s8, v10
	v_cmp_eq_u32_e32 vcc, s8, v19
	s_cbranch_vccz .LBB115_63
.LBB115_61:                             ; =>This Inner Loop Header: Depth=1
	v_mbcnt_lo_u32_b32 v10, exec_lo, 0
	v_mbcnt_hi_u32_b32 v10, exec_hi, v10
	v_cmp_eq_u32_e32 vcc, 0, v10
                                        ; implicit-def: $vgpr10
	s_and_saveexec_b64 s[8:9], vcc
	s_cbranch_execz .LBB115_60
; %bb.62:                               ;   in Loop: Header=BB115_61 Depth=1
	global_load_dword v10, v9, s[0:1] glc
	s_branch .LBB115_60
.LBB115_63:
	v_mov_b32_e32 v9, 0
	global_load_ushort v10, v9, s[6:7]
	s_waitcnt vmcnt(0)
	v_xor_b32_e32 v10, 1, v10
	global_store_short v9, v10, s[6:7]
.LBB115_64:
	v_mov_b32_e32 v17, 0
	ds_read_b128 v[9:12], v17
	s_mov_b64 s[8:9], exec
	s_lshl_b64 s[0:1], s[36:37], 4
	v_mbcnt_lo_u32_b32 v13, s8, 0
	s_add_u32 s0, s22, s0
	v_mbcnt_hi_u32_b32 v13, s9, v13
	s_addc_u32 s1, s23, s1
	v_cmp_eq_u32_e32 vcc, 0, v13
	s_and_saveexec_b64 s[6:7], vcc
	s_cbranch_execz .LBB115_67
; %bb.65:
	global_load_dwordx2 v[15:16], v17, s[0:1]
	s_bcnt1_i32_b64 s8, s[8:9]
	v_cvt_f64_u32_e32 v[13:14], s8
	s_mov_b64 s[8:9], 0
	s_waitcnt lgkmcnt(0)
	v_mul_f64 v[9:10], v[9:10], v[13:14]
.LBB115_66:                             ; =>This Inner Loop Header: Depth=1
	s_waitcnt vmcnt(0)
	v_add_f64 v[13:14], v[15:16], v[9:10]
	global_atomic_cmpswap_x2 v[13:14], v17, v[13:16], s[0:1] glc
	s_waitcnt vmcnt(0)
	v_cmp_eq_u64_e32 vcc, v[13:14], v[15:16]
	v_mov_b32_e32 v16, v14
	s_or_b64 s[8:9], vcc, s[8:9]
	v_mov_b32_e32 v15, v13
	s_andn2_b64 exec, exec, s[8:9]
	s_cbranch_execnz .LBB115_66
.LBB115_67:
	s_or_b64 exec, exec, s[6:7]
	s_mov_b64 s[6:7], exec
	s_waitcnt lgkmcnt(0)
	v_mbcnt_lo_u32_b32 v9, s6, 0
	v_mbcnt_hi_u32_b32 v9, s7, v9
	v_cmp_eq_u32_e32 vcc, 0, v9
	s_and_b64 s[8:9], exec, vcc
	s_mov_b64 exec, s[8:9]
	s_cbranch_execz .LBB115_70
; %bb.68:
	v_mov_b32_e32 v15, 0
	global_load_dwordx2 v[13:14], v15, s[0:1] offset:8
	s_bcnt1_i32_b64 s6, s[6:7]
	v_cvt_f64_u32_e32 v[9:10], s6
	s_mov_b64 s[6:7], 0
	v_mul_f64 v[9:10], v[11:12], v[9:10]
.LBB115_69:                             ; =>This Inner Loop Header: Depth=1
	s_waitcnt vmcnt(0)
	v_add_f64 v[11:12], v[13:14], v[9:10]
	global_atomic_cmpswap_x2 v[11:12], v15, v[11:14], s[0:1] offset:8 glc
	s_waitcnt vmcnt(0)
	v_cmp_eq_u64_e32 vcc, v[11:12], v[13:14]
	v_mov_b32_e32 v14, v12
	s_or_b64 s[6:7], vcc, s[6:7]
	v_mov_b32_e32 v13, v11
	s_andn2_b64 exec, exec, s[6:7]
	s_cbranch_execnz .LBB115_69
.LBB115_70:
	s_or_b64 exec, exec, s[2:3]
.LBB115_71:
	s_mov_b64 s[2:3], 0
.LBB115_72:
	s_andn2_b64 vcc, exec, s[2:3]
	s_cbranch_vccnz .LBB115_116
; %bb.73:
	s_load_dwordx2 s[0:1], s[4:5], 0x8
	v_subrev_co_u32_e32 v9, vcc, s44, v0
	v_subb_co_u32_e64 v10, s[2:3], 0, 0, vcc
	s_waitcnt lgkmcnt(0)
	v_mov_b32_e32 v11, s41
	v_add_co_u32_e32 v9, vcc, s40, v9
	v_addc_co_u32_e32 v10, vcc, v11, v10, vcc
	v_add_co_u32_e32 v11, vcc, 0x300, v9
	v_addc_co_u32_e32 v12, vcc, 0, v10, vcc
	v_cmp_le_i64_e32 vcc, s[0:1], v[11:12]
	s_and_saveexec_b64 s[0:1], vcc
	s_xor_b64 s[2:3], exec, s[0:1]
	s_cbranch_execz .LBB115_78
; %bb.74:
	s_lshl_b64 s[0:1], s[38:39], 3
	s_add_u32 s0, s24, s0
	s_addc_u32 s1, s25, s1
	s_load_dwordx2 s[0:1], s[0:1], 0x0
	s_waitcnt lgkmcnt(0)
	s_sub_u32 s4, s0, s44
	s_subb_u32 s5, s1, 0
	v_cmp_gt_i64_e32 vcc, s[4:5], v[9:10]
	s_and_saveexec_b64 s[6:7], vcc
	s_cbranch_execz .LBB115_77
; %bb.75:
	v_lshlrev_b64 v[13:14], 3, v[9:10]
	v_mov_b32_e32 v12, s27
	v_add_co_u32_e32 v11, vcc, s26, v13
	v_addc_co_u32_e32 v12, vcc, v12, v14, vcc
	v_mov_b32_e32 v16, s29
	v_add_co_u32_e32 v13, vcc, s28, v13
	v_addc_co_u32_e32 v14, vcc, v16, v14, vcc
	v_add_co_u32_e32 v13, vcc, 4, v13
	v_lshlrev_b32_e32 v15, 4, v0
	v_addc_co_u32_e32 v14, vcc, 0, v14, vcc
	s_mov_b64 s[8:9], 0
	v_mov_b32_e32 v16, s31
	s_movk_i32 s10, 0x100
.LBB115_76:                             ; =>This Inner Loop Header: Depth=1
	global_load_dwordx2 v[17:18], v[11:12], off
	global_load_dwordx2 v[21:22], v[13:14], off offset:-4
	s_waitcnt vmcnt(1)
	v_subrev_co_u32_e32 v17, vcc, s44, v17
	v_subbrev_co_u32_e32 v18, vcc, 0, v18, vcc
	v_lshlrev_b64 v[17:18], 4, v[17:18]
	s_waitcnt vmcnt(0)
	v_cndmask_b32_e64 v22, v22, -v22, s[46:47]
	v_add_co_u32_e32 v17, vcc, s30, v17
	v_addc_co_u32_e32 v18, vcc, v16, v18, vcc
	global_load_dwordx4 v[17:20], v[17:18], off
	v_cvt_f64_f32_e32 v[22:23], v22
	v_cvt_f64_f32_e32 v[26:27], v21
	v_add_co_u32_e32 v9, vcc, s10, v9
	v_mul_f64 v[24:25], v[5:6], v[22:23]
	v_mul_f64 v[22:23], -v[7:8], v[22:23]
	v_addc_co_u32_e32 v10, vcc, 0, v10, vcc
	v_add_co_u32_e32 v11, vcc, 0x800, v11
	v_addc_co_u32_e32 v12, vcc, 0, v12, vcc
	v_fma_f64 v[24:25], v[7:8], v[26:27], v[24:25]
	v_fma_f64 v[21:22], v[5:6], v[26:27], v[22:23]
	v_cmp_le_i64_e64 s[0:1], s[4:5], v[9:10]
	v_add_co_u32_e32 v13, vcc, 0x800, v13
	v_addc_co_u32_e32 v14, vcc, 0, v14, vcc
	s_or_b64 s[8:9], s[0:1], s[8:9]
	s_waitcnt vmcnt(0)
	v_mul_f64 v[26:27], v[19:20], -v[24:25]
	v_mul_f64 v[28:29], v[19:20], v[21:22]
	v_fma_f64 v[19:20], v[21:22], v[17:18], v[26:27]
	v_fma_f64 v[21:22], v[24:25], v[17:18], v[28:29]
	ds_write_b128 v15, v[19:22]
	v_add_u32_e32 v15, 0x1000, v15
	s_andn2_b64 exec, exec, s[8:9]
	s_cbranch_execnz .LBB115_76
.LBB115_77:
	s_or_b64 exec, exec, s[6:7]
                                        ; implicit-def: $vgpr9_vgpr10
                                        ; implicit-def: $vgpr7_vgpr8
.LBB115_78:
	s_or_saveexec_b64 s[0:1], s[2:3]
	v_lshlrev_b32_e32 v17, 4, v0
	s_xor_b64 exec, exec, s[0:1]
	s_cbranch_execz .LBB115_80
; %bb.79:
	v_lshlrev_b64 v[9:10], 3, v[9:10]
	v_mov_b32_e32 v12, s27
	v_add_co_u32_e32 v11, vcc, s26, v9
	v_addc_co_u32_e32 v12, vcc, v12, v10, vcc
	global_load_dwordx2 v[13:14], v[11:12], off
	global_load_dwordx2 v[15:16], v[11:12], off offset:2048
	s_movk_i32 s2, 0x1000
	v_add_co_u32_e32 v11, vcc, s2, v11
	v_addc_co_u32_e32 v12, vcc, 0, v12, vcc
	global_load_dwordx2 v[18:19], v[11:12], off
	global_load_dwordx2 v[20:21], v[11:12], off offset:2048
	v_mov_b32_e32 v11, s29
	v_add_co_u32_e32 v9, vcc, s28, v9
	v_addc_co_u32_e32 v10, vcc, v11, v10, vcc
	global_load_dwordx2 v[26:27], v[9:10], off
	global_load_dwordx2 v[28:29], v[9:10], off offset:2048
	v_add_co_u32_e32 v9, vcc, s2, v9
	v_addc_co_u32_e32 v10, vcc, 0, v10, vcc
	global_load_dwordx2 v[30:31], v[9:10], off
	global_load_dwordx2 v[32:33], v[9:10], off offset:2048
	v_mov_b32_e32 v24, s31
	v_mov_b32_e32 v25, s31
	;; [unrolled: 1-line block ×4, first 2 shown]
	s_waitcnt vmcnt(7)
	v_subrev_co_u32_e32 v9, vcc, s44, v13
	v_subbrev_co_u32_e32 v10, vcc, 0, v14, vcc
	s_waitcnt vmcnt(6)
	v_subrev_co_u32_e32 v11, vcc, s44, v15
	v_subbrev_co_u32_e32 v12, vcc, 0, v16, vcc
	;; [unrolled: 3-line block ×3, first 2 shown]
	v_lshlrev_b64 v[9:10], 4, v[9:10]
	s_waitcnt vmcnt(4)
	v_subrev_co_u32_e32 v15, vcc, s44, v20
	v_subbrev_co_u32_e32 v16, vcc, 0, v21, vcc
	v_lshlrev_b64 v[11:12], 4, v[11:12]
	v_add_co_u32_e32 v20, vcc, s30, v9
	v_addc_co_u32_e32 v21, vcc, v24, v10, vcc
	v_lshlrev_b64 v[18:19], 4, v[13:14]
	v_add_co_u32_e32 v24, vcc, s30, v11
	v_addc_co_u32_e32 v25, vcc, v25, v12, vcc
	;; [unrolled: 3-line block ×3, first 2 shown]
	global_load_dwordx4 v[9:12], v[20:21], off
	global_load_dwordx4 v[13:16], v[24:25], off
	v_add_co_u32_e32 v22, vcc, s30, v22
	global_load_dwordx4 v[18:21], v[18:19], off
	v_addc_co_u32_e32 v23, vcc, v35, v23, vcc
	global_load_dwordx4 v[22:25], v[22:23], off
	s_waitcnt vmcnt(7)
	v_cndmask_b32_e64 v34, v27, -v27, s[46:47]
	s_waitcnt vmcnt(6)
	v_cndmask_b32_e64 v36, v29, -v29, s[46:47]
	v_cvt_f64_f32_e32 v[34:35], v34
	v_cvt_f64_f32_e32 v[36:37], v36
	s_waitcnt vmcnt(5)
	v_cndmask_b32_e64 v38, v31, -v31, s[46:47]
	s_waitcnt vmcnt(4)
	v_cndmask_b32_e64 v40, v33, -v33, s[46:47]
	v_cvt_f64_f32_e32 v[38:39], v38
	v_cvt_f64_f32_e32 v[40:41], v40
	v_mul_f64 v[42:43], v[5:6], v[34:35]
	v_mul_f64 v[34:35], -v[7:8], v[34:35]
	v_mul_f64 v[44:45], v[5:6], v[36:37]
	v_mul_f64 v[36:37], -v[7:8], v[36:37]
	;; [unrolled: 2-line block ×4, first 2 shown]
	v_cvt_f64_f32_e32 v[26:27], v26
	v_cvt_f64_f32_e32 v[28:29], v28
	;; [unrolled: 1-line block ×4, first 2 shown]
	v_fma_f64 v[42:43], v[7:8], v[26:27], v[42:43]
	v_fma_f64 v[26:27], v[5:6], v[26:27], v[34:35]
	;; [unrolled: 1-line block ×8, first 2 shown]
	s_waitcnt vmcnt(3)
	v_mul_f64 v[5:6], v[11:12], -v[42:43]
	v_mul_f64 v[7:8], v[11:12], v[26:27]
	s_waitcnt vmcnt(2)
	v_mul_f64 v[11:12], v[15:16], -v[34:35]
	v_mul_f64 v[15:16], v[15:16], v[28:29]
	;; [unrolled: 3-line block ×4, first 2 shown]
	v_fma_f64 v[5:6], v[26:27], v[9:10], v[5:6]
	v_fma_f64 v[7:8], v[42:43], v[9:10], v[7:8]
	;; [unrolled: 1-line block ×8, first 2 shown]
	ds_write_b128 v17, v[5:8]
	ds_write_b128 v17, v[9:12] offset:4096
	ds_write_b128 v17, v[13:16] offset:8192
	;; [unrolled: 1-line block ×3, first 2 shown]
.LBB115_80:
	s_or_b64 exec, exec, s[0:1]
	v_cmp_lt_i64_e64 s[2:3], s[34:35], 2
	s_mov_b64 s[0:1], -1
	s_and_b64 vcc, exec, s[2:3]
	s_waitcnt vmcnt(0) lgkmcnt(0)
	s_barrier
	s_cbranch_vccz .LBB115_91
; %bb.81:
	v_mov_b32_e32 v5, s37
	v_add_co_u32_e32 v13, vcc, s36, v0
	v_addc_co_u32_e32 v14, vcc, 0, v5, vcc
	v_cmp_gt_i64_e32 vcc, s[38:39], v[13:14]
	s_and_saveexec_b64 s[2:3], vcc
	s_cbranch_execz .LBB115_90
; %bb.82:
	v_cmp_neq_f64_e32 vcc, 0, v[1:2]
	v_cmp_neq_f64_e64 s[0:1], 0, v[3:4]
	s_lshl_b32 s6, s40, 4
	s_mov_b64 s[4:5], 0
	v_mov_b32_e32 v18, s25
	s_sub_i32 s10, 0, s6
	v_mov_b32_e32 v19, s23
	s_or_b64 s[6:7], vcc, s[0:1]
	s_branch .LBB115_84
.LBB115_83:                             ;   in Loop: Header=BB115_84 Depth=1
	s_or_b64 exec, exec, s[0:1]
	v_add_co_u32_e32 v13, vcc, 0x100, v13
	v_addc_co_u32_e32 v14, vcc, 0, v14, vcc
	v_cmp_le_i64_e32 vcc, s[38:39], v[13:14]
	v_add_co_u32_e64 v9, s[0:1], s22, v9
	v_addc_co_u32_e64 v10, s[0:1], v19, v10, s[0:1]
	s_or_b64 s[4:5], vcc, s[4:5]
	global_store_dwordx4 v[9:10], v[5:8], off
	s_andn2_b64 exec, exec, s[4:5]
	s_cbranch_execz .LBB115_90
.LBB115_84:                             ; =>This Loop Header: Depth=1
                                        ;     Child Loop BB115_86 Depth 2
	v_lshlrev_b64 v[5:6], 3, v[13:14]
	v_mov_b32_e32 v7, 0
	v_add_co_u32_e32 v5, vcc, s24, v5
	v_addc_co_u32_e32 v6, vcc, v18, v6, vcc
	global_load_dwordx4 v[9:12], v[5:6], off
	v_mov_b32_e32 v5, 0
	v_mov_b32_e32 v8, 0
	;; [unrolled: 1-line block ×3, first 2 shown]
	s_waitcnt vmcnt(0)
	v_cmp_lt_i64_e32 vcc, v[9:10], v[11:12]
	s_and_saveexec_b64 s[0:1], vcc
	s_cbranch_execz .LBB115_88
; %bb.85:                               ;   in Loop: Header=BB115_84 Depth=1
	v_mov_b32_e32 v5, s41
	v_subrev_co_u32_e32 v11, vcc, s40, v11
	v_subb_co_u32_e32 v12, vcc, v12, v5, vcc
	v_subrev_co_u32_e32 v15, vcc, s40, v9
	v_mov_b32_e32 v7, 0
	v_subb_co_u32_e32 v16, vcc, v10, v5, vcc
	v_mov_b32_e32 v8, 0
	v_mov_b32_e32 v5, v7
	v_lshl_add_u32 v9, v9, 4, s10
	s_mov_b64 s[8:9], 0
	v_mov_b32_e32 v6, v8
.LBB115_86:                             ;   Parent Loop BB115_84 Depth=1
                                        ; =>  This Inner Loop Header: Depth=2
	ds_read_b128 v[20:23], v9
	v_add_co_u32_e32 v15, vcc, 1, v15
	v_addc_co_u32_e32 v16, vcc, 0, v16, vcc
	s_waitcnt lgkmcnt(0)
	v_add_f64 v[5:6], v[5:6], v[20:21]
	v_add_f64 v[7:8], v[7:8], v[22:23]
	v_cmp_ge_i64_e32 vcc, v[15:16], v[11:12]
	v_add_u32_e32 v9, 16, v9
	s_or_b64 s[8:9], vcc, s[8:9]
	s_andn2_b64 exec, exec, s[8:9]
	s_cbranch_execnz .LBB115_86
; %bb.87:                               ;   in Loop: Header=BB115_84 Depth=1
	s_or_b64 exec, exec, s[8:9]
.LBB115_88:                             ;   in Loop: Header=BB115_84 Depth=1
	s_or_b64 exec, exec, s[0:1]
	v_lshlrev_b64 v[9:10], 4, v[13:14]
	s_and_saveexec_b64 s[0:1], s[6:7]
	s_cbranch_execz .LBB115_83
; %bb.89:                               ;   in Loop: Header=BB115_84 Depth=1
	v_mov_b32_e32 v12, s23
	v_add_co_u32_e32 v11, vcc, s22, v9
	v_addc_co_u32_e32 v12, vcc, v12, v10, vcc
	global_load_dwordx4 v[20:23], v[11:12], off
	s_waitcnt vmcnt(0)
	v_fma_f64 v[5:6], v[1:2], v[20:21], v[5:6]
	v_fma_f64 v[7:8], v[3:4], v[20:21], v[7:8]
	v_fma_f64 v[5:6], -v[3:4], v[22:23], v[5:6]
	v_fma_f64 v[7:8], v[1:2], v[22:23], v[7:8]
	s_branch .LBB115_83
.LBB115_90:
	s_or_b64 exec, exec, s[2:3]
	s_mov_b64 s[0:1], 0
.LBB115_91:
	s_andn2_b64 vcc, exec, s[0:1]
	s_cbranch_vccnz .LBB115_116
; %bb.92:
	s_flbit_i32_b32 s0, s34
	s_min_u32 s0, s0, 32
	s_sub_i32 s0, 31, s0
	v_lshrrev_b32_e32 v13, s0, v0
	v_mov_b32_e32 v5, s37
	v_add_co_u32_e32 v9, vcc, s36, v13
	v_addc_co_u32_e32 v10, vcc, 0, v5, vcc
	v_mov_b32_e32 v5, 0
	s_add_i32 s0, s34, -1
	v_mov_b32_e32 v6, 0
	v_and_b32_e32 v11, s0, v0
	v_cmp_le_i64_e64 s[0:1], s[38:39], v[9:10]
	v_cmp_gt_i64_e32 vcc, s[38:39], v[9:10]
	v_mov_b32_e32 v8, v6
	v_mov_b32_e32 v12, 0
	;; [unrolled: 1-line block ×3, first 2 shown]
	s_and_saveexec_b64 s[2:3], vcc
	s_cbranch_execz .LBB115_98
; %bb.93:
	v_lshlrev_b32_e32 v0, 3, v13
	global_load_dwordx4 v[18:21], v0, s[42:43]
	v_mov_b32_e32 v5, s41
	v_subrev_co_u32_e32 v6, vcc, s40, v11
	v_subb_co_u32_e32 v5, vcc, 0, v5, vcc
	v_mov_b32_e32 v0, s41
	v_mov_b32_e32 v7, 0
	;; [unrolled: 1-line block ×3, first 2 shown]
	s_waitcnt vmcnt(0)
	v_subrev_co_u32_e32 v13, vcc, s40, v20
	v_subb_co_u32_e32 v14, vcc, v21, v0, vcc
	v_add_co_u32_e32 v15, vcc, v18, v6
	v_addc_co_u32_e32 v16, vcc, v19, v5, vcc
	v_cmp_lt_i64_e32 vcc, v[15:16], v[13:14]
	v_mov_b32_e32 v5, 0
	v_mov_b32_e32 v6, 0
	s_and_saveexec_b64 s[4:5], vcc
	s_cbranch_execz .LBB115_97
; %bb.94:
	v_mov_b32_e32 v7, 0
	v_mov_b32_e32 v8, 0
	;; [unrolled: 1-line block ×3, first 2 shown]
	v_lshlrev_b32_e32 v0, 4, v15
	s_lshl_b32 s8, s34, 4
	s_mov_b64 s[6:7], 0
	v_mov_b32_e32 v18, s35
	v_mov_b32_e32 v6, v8
.LBB115_95:                             ; =>This Inner Loop Header: Depth=1
	ds_read_b128 v[19:22], v0
	v_add_co_u32_e32 v15, vcc, s34, v15
	v_addc_co_u32_e32 v16, vcc, v16, v18, vcc
	s_waitcnt lgkmcnt(0)
	v_add_f64 v[5:6], v[5:6], v[19:20]
	v_add_f64 v[7:8], v[7:8], v[21:22]
	v_cmp_ge_i64_e32 vcc, v[15:16], v[13:14]
	v_add_u32_e32 v0, s8, v0
	s_or_b64 s[6:7], vcc, s[6:7]
	s_andn2_b64 exec, exec, s[6:7]
	s_cbranch_execnz .LBB115_95
; %bb.96:
	s_or_b64 exec, exec, s[6:7]
.LBB115_97:
	s_or_b64 exec, exec, s[4:5]
.LBB115_98:
	s_or_b64 exec, exec, s[2:3]
	v_mov_b32_e32 v13, 0x81
	v_mov_b32_e32 v14, 0
	v_cmp_lt_u64_e32 vcc, s[34:35], v[13:14]
	s_and_b64 vcc, exec, vcc
	s_waitcnt vmcnt(0)
	s_barrier
	ds_write_b128 v17, v[5:8]
	s_waitcnt lgkmcnt(0)
	s_barrier
	s_cbranch_vccnz .LBB115_100
; %bb.99:
	ds_read_b128 v[13:16], v17 offset:2048
	s_waitcnt lgkmcnt(0)
	s_barrier
	v_add_f64 v[5:6], v[5:6], v[13:14]
	v_add_f64 v[7:8], v[7:8], v[15:16]
	ds_write_b128 v17, v[5:8]
.LBB115_100:
	v_mov_b32_e32 v13, 0x41
	v_mov_b32_e32 v14, 0
	v_cmp_lt_u64_e32 vcc, s[34:35], v[13:14]
	s_waitcnt lgkmcnt(0)
	s_barrier
	s_cbranch_vccnz .LBB115_102
; %bb.101:
	ds_read_b128 v[13:16], v17 offset:1024
	s_waitcnt lgkmcnt(0)
	s_barrier
	v_add_f64 v[5:6], v[5:6], v[13:14]
	v_add_f64 v[7:8], v[7:8], v[15:16]
	ds_write_b128 v17, v[5:8]
.LBB115_102:
	v_cmp_lt_u64_e64 s[2:3], s[34:35], 33
	s_waitcnt lgkmcnt(0)
	s_and_b64 vcc, exec, s[2:3]
	s_barrier
	s_cbranch_vccnz .LBB115_104
; %bb.103:
	ds_read_b128 v[13:16], v17 offset:512
	s_waitcnt lgkmcnt(0)
	s_barrier
	v_add_f64 v[5:6], v[5:6], v[13:14]
	v_add_f64 v[7:8], v[7:8], v[15:16]
	ds_write_b128 v17, v[5:8]
.LBB115_104:
	v_cmp_lt_u64_e64 s[2:3], s[34:35], 17
	s_waitcnt lgkmcnt(0)
	s_and_b64 vcc, exec, s[2:3]
	s_barrier
	s_cbranch_vccnz .LBB115_106
; %bb.105:
	ds_read_b128 v[13:16], v17 offset:256
	s_waitcnt lgkmcnt(0)
	s_barrier
	v_add_f64 v[5:6], v[5:6], v[13:14]
	v_add_f64 v[7:8], v[7:8], v[15:16]
	ds_write_b128 v17, v[5:8]
.LBB115_106:
	v_cmp_lt_u64_e64 s[2:3], s[34:35], 9
	s_waitcnt lgkmcnt(0)
	s_and_b64 vcc, exec, s[2:3]
	s_barrier
	s_cbranch_vccnz .LBB115_108
; %bb.107:
	ds_read_b128 v[13:16], v17 offset:128
	s_waitcnt lgkmcnt(0)
	s_barrier
	v_add_f64 v[5:6], v[5:6], v[13:14]
	v_add_f64 v[7:8], v[7:8], v[15:16]
	ds_write_b128 v17, v[5:8]
.LBB115_108:
	v_cmp_lt_u64_e64 s[2:3], s[34:35], 5
	s_waitcnt lgkmcnt(0)
	s_and_b64 vcc, exec, s[2:3]
	s_barrier
	s_cbranch_vccnz .LBB115_110
; %bb.109:
	ds_read_b128 v[13:16], v17 offset:64
	s_waitcnt lgkmcnt(0)
	s_barrier
	v_add_f64 v[5:6], v[5:6], v[13:14]
	v_add_f64 v[7:8], v[7:8], v[15:16]
	ds_write_b128 v17, v[5:8]
.LBB115_110:
	s_cmp_eq_u64 s[34:35], 2
	s_waitcnt lgkmcnt(0)
	s_barrier
	s_cbranch_scc1 .LBB115_112
; %bb.111:
	ds_read_b128 v[13:16], v17 offset:32
	s_waitcnt lgkmcnt(0)
	s_barrier
	v_add_f64 v[5:6], v[5:6], v[13:14]
	v_add_f64 v[7:8], v[7:8], v[15:16]
	ds_write_b128 v17, v[5:8]
.LBB115_112:
	s_waitcnt lgkmcnt(0)
	s_barrier
	ds_read_b128 v[13:16], v17 offset:16
	v_cmp_eq_u64_e32 vcc, 0, v[11:12]
	s_xor_b64 s[0:1], s[0:1], -1
	s_and_b64 s[0:1], vcc, s[0:1]
	s_waitcnt lgkmcnt(0)
	v_add_f64 v[5:6], v[5:6], v[13:14]
	v_add_f64 v[7:8], v[7:8], v[15:16]
	s_barrier
	ds_write_b128 v17, v[5:8]
	s_and_b64 exec, exec, s[0:1]
	s_cbranch_execz .LBB115_116
; %bb.113:
	v_cmp_neq_f64_e32 vcc, 0, v[1:2]
	v_cmp_neq_f64_e64 s[0:1], 0, v[3:4]
	v_lshlrev_b64 v[9:10], 4, v[9:10]
	s_or_b64 s[2:3], vcc, s[0:1]
	s_and_saveexec_b64 s[0:1], s[2:3]
	s_cbranch_execz .LBB115_115
; %bb.114:
	v_mov_b32_e32 v0, s23
	v_add_co_u32_e32 v11, vcc, s22, v9
	v_addc_co_u32_e32 v12, vcc, v0, v10, vcc
	global_load_dwordx4 v[11:14], v[11:12], off
	s_waitcnt vmcnt(0)
	v_fma_f64 v[5:6], v[1:2], v[11:12], v[5:6]
	v_fma_f64 v[7:8], v[3:4], v[11:12], v[7:8]
	v_fma_f64 v[5:6], -v[3:4], v[13:14], v[5:6]
	v_fma_f64 v[7:8], v[1:2], v[13:14], v[7:8]
.LBB115_115:
	s_or_b64 exec, exec, s[0:1]
	v_mov_b32_e32 v1, s23
	v_add_co_u32_e32 v0, vcc, s22, v9
	v_addc_co_u32_e32 v1, vcc, v1, v10, vcc
	global_store_dwordx4 v[0:1], v[5:8], off
.LBB115_116:
	s_endpgm
	.section	.rodata,"a",@progbits
	.p2align	6, 0x0
	.amdhsa_kernel _ZN9rocsparseL22csrmvn_adaptive_kernelIll21rocsparse_complex_numIfES1_IdES3_S3_EEvbT_PKS4_PjPKT0_NS_24const_host_device_scalarIT4_EES6_SA_PKT1_PKT2_SD_PT3_21rocsparse_index_base_b
		.amdhsa_group_segment_fixed_size 16384
		.amdhsa_private_segment_fixed_size 0
		.amdhsa_kernarg_size 120
		.amdhsa_user_sgpr_count 6
		.amdhsa_user_sgpr_private_segment_buffer 1
		.amdhsa_user_sgpr_dispatch_ptr 0
		.amdhsa_user_sgpr_queue_ptr 0
		.amdhsa_user_sgpr_kernarg_segment_ptr 1
		.amdhsa_user_sgpr_dispatch_id 0
		.amdhsa_user_sgpr_flat_scratch_init 0
		.amdhsa_user_sgpr_private_segment_size 0
		.amdhsa_uses_dynamic_stack 0
		.amdhsa_system_sgpr_private_segment_wavefront_offset 0
		.amdhsa_system_sgpr_workgroup_id_x 1
		.amdhsa_system_sgpr_workgroup_id_y 0
		.amdhsa_system_sgpr_workgroup_id_z 0
		.amdhsa_system_sgpr_workgroup_info 0
		.amdhsa_system_vgpr_workitem_id 0
		.amdhsa_next_free_vgpr 50
		.amdhsa_next_free_sgpr 98
		.amdhsa_reserve_vcc 1
		.amdhsa_reserve_flat_scratch 0
		.amdhsa_float_round_mode_32 0
		.amdhsa_float_round_mode_16_64 0
		.amdhsa_float_denorm_mode_32 3
		.amdhsa_float_denorm_mode_16_64 3
		.amdhsa_dx10_clamp 1
		.amdhsa_ieee_mode 1
		.amdhsa_fp16_overflow 0
		.amdhsa_exception_fp_ieee_invalid_op 0
		.amdhsa_exception_fp_denorm_src 0
		.amdhsa_exception_fp_ieee_div_zero 0
		.amdhsa_exception_fp_ieee_overflow 0
		.amdhsa_exception_fp_ieee_underflow 0
		.amdhsa_exception_fp_ieee_inexact 0
		.amdhsa_exception_int_div_zero 0
	.end_amdhsa_kernel
	.section	.text._ZN9rocsparseL22csrmvn_adaptive_kernelIll21rocsparse_complex_numIfES1_IdES3_S3_EEvbT_PKS4_PjPKT0_NS_24const_host_device_scalarIT4_EES6_SA_PKT1_PKT2_SD_PT3_21rocsparse_index_base_b,"axG",@progbits,_ZN9rocsparseL22csrmvn_adaptive_kernelIll21rocsparse_complex_numIfES1_IdES3_S3_EEvbT_PKS4_PjPKT0_NS_24const_host_device_scalarIT4_EES6_SA_PKT1_PKT2_SD_PT3_21rocsparse_index_base_b,comdat
.Lfunc_end115:
	.size	_ZN9rocsparseL22csrmvn_adaptive_kernelIll21rocsparse_complex_numIfES1_IdES3_S3_EEvbT_PKS4_PjPKT0_NS_24const_host_device_scalarIT4_EES6_SA_PKT1_PKT2_SD_PT3_21rocsparse_index_base_b, .Lfunc_end115-_ZN9rocsparseL22csrmvn_adaptive_kernelIll21rocsparse_complex_numIfES1_IdES3_S3_EEvbT_PKS4_PjPKT0_NS_24const_host_device_scalarIT4_EES6_SA_PKT1_PKT2_SD_PT3_21rocsparse_index_base_b
                                        ; -- End function
	.set _ZN9rocsparseL22csrmvn_adaptive_kernelIll21rocsparse_complex_numIfES1_IdES3_S3_EEvbT_PKS4_PjPKT0_NS_24const_host_device_scalarIT4_EES6_SA_PKT1_PKT2_SD_PT3_21rocsparse_index_base_b.num_vgpr, 50
	.set _ZN9rocsparseL22csrmvn_adaptive_kernelIll21rocsparse_complex_numIfES1_IdES3_S3_EEvbT_PKS4_PjPKT0_NS_24const_host_device_scalarIT4_EES6_SA_PKT1_PKT2_SD_PT3_21rocsparse_index_base_b.num_agpr, 0
	.set _ZN9rocsparseL22csrmvn_adaptive_kernelIll21rocsparse_complex_numIfES1_IdES3_S3_EEvbT_PKS4_PjPKT0_NS_24const_host_device_scalarIT4_EES6_SA_PKT1_PKT2_SD_PT3_21rocsparse_index_base_b.numbered_sgpr, 64
	.set _ZN9rocsparseL22csrmvn_adaptive_kernelIll21rocsparse_complex_numIfES1_IdES3_S3_EEvbT_PKS4_PjPKT0_NS_24const_host_device_scalarIT4_EES6_SA_PKT1_PKT2_SD_PT3_21rocsparse_index_base_b.num_named_barrier, 0
	.set _ZN9rocsparseL22csrmvn_adaptive_kernelIll21rocsparse_complex_numIfES1_IdES3_S3_EEvbT_PKS4_PjPKT0_NS_24const_host_device_scalarIT4_EES6_SA_PKT1_PKT2_SD_PT3_21rocsparse_index_base_b.private_seg_size, 0
	.set _ZN9rocsparseL22csrmvn_adaptive_kernelIll21rocsparse_complex_numIfES1_IdES3_S3_EEvbT_PKS4_PjPKT0_NS_24const_host_device_scalarIT4_EES6_SA_PKT1_PKT2_SD_PT3_21rocsparse_index_base_b.uses_vcc, 1
	.set _ZN9rocsparseL22csrmvn_adaptive_kernelIll21rocsparse_complex_numIfES1_IdES3_S3_EEvbT_PKS4_PjPKT0_NS_24const_host_device_scalarIT4_EES6_SA_PKT1_PKT2_SD_PT3_21rocsparse_index_base_b.uses_flat_scratch, 0
	.set _ZN9rocsparseL22csrmvn_adaptive_kernelIll21rocsparse_complex_numIfES1_IdES3_S3_EEvbT_PKS4_PjPKT0_NS_24const_host_device_scalarIT4_EES6_SA_PKT1_PKT2_SD_PT3_21rocsparse_index_base_b.has_dyn_sized_stack, 0
	.set _ZN9rocsparseL22csrmvn_adaptive_kernelIll21rocsparse_complex_numIfES1_IdES3_S3_EEvbT_PKS4_PjPKT0_NS_24const_host_device_scalarIT4_EES6_SA_PKT1_PKT2_SD_PT3_21rocsparse_index_base_b.has_recursion, 0
	.set _ZN9rocsparseL22csrmvn_adaptive_kernelIll21rocsparse_complex_numIfES1_IdES3_S3_EEvbT_PKS4_PjPKT0_NS_24const_host_device_scalarIT4_EES6_SA_PKT1_PKT2_SD_PT3_21rocsparse_index_base_b.has_indirect_call, 0
	.section	.AMDGPU.csdata,"",@progbits
; Kernel info:
; codeLenInByte = 5436
; TotalNumSgprs: 68
; NumVgprs: 50
; ScratchSize: 0
; MemoryBound: 0
; FloatMode: 240
; IeeeMode: 1
; LDSByteSize: 16384 bytes/workgroup (compile time only)
; SGPRBlocks: 12
; VGPRBlocks: 12
; NumSGPRsForWavesPerEU: 102
; NumVGPRsForWavesPerEU: 50
; Occupancy: 4
; WaveLimiterHint : 1
; COMPUTE_PGM_RSRC2:SCRATCH_EN: 0
; COMPUTE_PGM_RSRC2:USER_SGPR: 6
; COMPUTE_PGM_RSRC2:TRAP_HANDLER: 0
; COMPUTE_PGM_RSRC2:TGID_X_EN: 1
; COMPUTE_PGM_RSRC2:TGID_Y_EN: 0
; COMPUTE_PGM_RSRC2:TGID_Z_EN: 0
; COMPUTE_PGM_RSRC2:TIDIG_COMP_CNT: 0
	.section	.text._ZN9rocsparseL27csrmvn_symm_adaptive_kernelIll21rocsparse_complex_numIfES1_IdES3_S3_EEvbT_S4_PKS4_NS_24const_host_device_scalarIT4_EES6_PKT0_PKT1_PKT2_S9_PT3_21rocsparse_index_base_b,"axG",@progbits,_ZN9rocsparseL27csrmvn_symm_adaptive_kernelIll21rocsparse_complex_numIfES1_IdES3_S3_EEvbT_S4_PKS4_NS_24const_host_device_scalarIT4_EES6_PKT0_PKT1_PKT2_S9_PT3_21rocsparse_index_base_b,comdat
	.globl	_ZN9rocsparseL27csrmvn_symm_adaptive_kernelIll21rocsparse_complex_numIfES1_IdES3_S3_EEvbT_S4_PKS4_NS_24const_host_device_scalarIT4_EES6_PKT0_PKT1_PKT2_S9_PT3_21rocsparse_index_base_b ; -- Begin function _ZN9rocsparseL27csrmvn_symm_adaptive_kernelIll21rocsparse_complex_numIfES1_IdES3_S3_EEvbT_S4_PKS4_NS_24const_host_device_scalarIT4_EES6_PKT0_PKT1_PKT2_S9_PT3_21rocsparse_index_base_b
	.p2align	8
	.type	_ZN9rocsparseL27csrmvn_symm_adaptive_kernelIll21rocsparse_complex_numIfES1_IdES3_S3_EEvbT_S4_PKS4_NS_24const_host_device_scalarIT4_EES6_PKT0_PKT1_PKT2_S9_PT3_21rocsparse_index_base_b,@function
_ZN9rocsparseL27csrmvn_symm_adaptive_kernelIll21rocsparse_complex_numIfES1_IdES3_S3_EEvbT_S4_PKS4_NS_24const_host_device_scalarIT4_EES6_PKT0_PKT1_PKT2_S9_PT3_21rocsparse_index_base_b: ; @_ZN9rocsparseL27csrmvn_symm_adaptive_kernelIll21rocsparse_complex_numIfES1_IdES3_S3_EEvbT_S4_PKS4_NS_24const_host_device_scalarIT4_EES6_PKT0_PKT1_PKT2_S9_PT3_21rocsparse_index_base_b
; %bb.0:
	s_load_dwordx2 s[30:31], s[4:5], 0x68
	s_load_dwordx2 s[0:1], s[4:5], 0x20
	s_add_u32 s7, s4, 32
	s_addc_u32 s10, s5, 0
	s_waitcnt lgkmcnt(0)
	s_bitcmp1_b32 s31, 0
	s_cselect_b64 s[8:9], -1, 0
	s_and_b64 s[2:3], s[8:9], exec
	s_cselect_b32 s1, s10, s1
	s_cselect_b32 s0, s7, s0
	v_mov_b32_e32 v1, s0
	v_mov_b32_e32 v2, s1
	flat_load_dwordx4 v[2:5], v[1:2]
	s_waitcnt vmcnt(0) lgkmcnt(0)
	v_cmp_eq_f64_e32 vcc, 0, v[2:3]
	v_cmp_eq_f64_e64 s[0:1], 0, v[4:5]
	s_and_b64 s[10:11], vcc, s[0:1]
	s_mov_b64 s[0:1], -1
	s_and_saveexec_b64 s[2:3], s[10:11]
	s_cbranch_execz .LBB116_2
; %bb.1:
	s_load_dwordx2 s[0:1], s[4:5], 0x50
	s_add_u32 s7, s4, 0x50
	s_addc_u32 s10, s5, 0
	s_and_b64 s[8:9], s[8:9], exec
	s_waitcnt lgkmcnt(0)
	s_cselect_b32 s1, s10, s1
	s_cselect_b32 s0, s7, s0
	v_mov_b32_e32 v6, s0
	v_mov_b32_e32 v7, s1
	flat_load_dwordx4 v[6:9], v[6:7]
	s_waitcnt vmcnt(0) lgkmcnt(0)
	v_cmp_neq_f64_e32 vcc, 1.0, v[6:7]
	v_cmp_neq_f64_e64 s[0:1], 0, v[8:9]
	s_or_b64 s[0:1], vcc, s[0:1]
	s_orn2_b64 s[0:1], s[0:1], exec
.LBB116_2:
	s_or_b64 exec, exec, s[2:3]
	s_and_saveexec_b64 s[2:3], s[0:1]
	s_cbranch_execz .LBB116_199
; %bb.3:
	s_load_dword s2, s[4:5], 0x0
	s_load_dwordx2 s[8:9], s[4:5], 0x18
	s_mov_b32 s0, 0
	s_mov_b32 s3, s0
	;; [unrolled: 1-line block ×3, first 2 shown]
	s_waitcnt lgkmcnt(0)
	s_bitcmp1_b32 s2, 0
	s_cselect_b64 s[38:39], -1, 0
	s_mov_b32 s2, s0
	v_mov_b32_e32 v9, s3
	s_ashr_i32 s7, s6, 31
	v_mov_b32_e32 v8, s2
	v_mov_b32_e32 v7, s1
	;; [unrolled: 1-line block ×3, first 2 shown]
	s_lshl_b64 s[0:1], s[6:7], 3
	s_add_u32 s0, s8, s0
	v_lshlrev_b32_e32 v26, 4, v0
	s_addc_u32 s1, s9, s1
	ds_write_b128 v26, v[6:9]
	ds_write_b128 v26, v[6:9] offset:4096
	ds_write_b128 v26, v[6:9] offset:8192
	;; [unrolled: 1-line block ×3, first 2 shown]
	s_waitcnt lgkmcnt(0)
	s_barrier
	s_load_dwordx4 s[24:27], s[0:1], 0x0
	s_load_dwordx2 s[14:15], s[4:5], 0x60
	s_load_dwordx8 s[16:23], s[4:5], 0x30
	s_mov_b64 s[0:1], -1
	s_waitcnt lgkmcnt(0)
	s_sub_u32 s28, s26, s24
	s_subb_u32 s29, s27, s25
	v_cmp_gt_i64_e64 s[2:3], s[28:29], 2
	s_and_b64 vcc, exec, s[2:3]
	s_cbranch_vccnz .LBB116_47
; %bb.4:
	v_mov_b32_e32 v6, s24
	v_mov_b32_e32 v7, s25
	v_cmp_le_i64_e32 vcc, s[26:27], v[6:7]
	v_subrev_co_u32_e64 v1, s[0:1], s30, v0
	v_mov_b32_e32 v19, 0
	v_subb_co_u32_e64 v18, s[0:1], 0, 0, s[0:1]
	s_cbranch_vccnz .LBB116_34
; %bb.5:
	s_movk_i32 s31, 0x100
	s_add_u32 s33, s20, 4
	v_mov_b32_e32 v14, s26
	v_cmp_gt_u32_e64 s[0:1], s31, v0
	v_cmp_gt_u32_e64 s[2:3], 64, v0
	;; [unrolled: 1-line block ×4, first 2 shown]
	v_cmp_eq_u32_e64 s[10:11], 0, v0
	s_addc_u32 s44, s21, 0
	v_mov_b32_e32 v15, s27
	s_mov_b64 s[34:35], s[24:25]
	s_branch .LBB116_7
.LBB116_6:                              ;   in Loop: Header=BB116_7 Depth=1
	s_or_b64 exec, exec, s[12:13]
	s_add_u32 s34, s34, 1
	s_addc_u32 s35, s35, 0
	v_cmp_ge_i64_e32 vcc, s[34:35], v[14:15]
	s_cbranch_vccnz .LBB116_34
.LBB116_7:                              ; =>This Loop Header: Depth=1
                                        ;     Child Loop BB116_9 Depth 2
                                        ;     Child Loop BB116_23 Depth 2
	;; [unrolled: 1-line block ×5, first 2 shown]
	s_lshl_b64 s[12:13], s[34:35], 3
	s_add_u32 s12, s16, s12
	s_addc_u32 s13, s17, s13
	s_load_dwordx4 s[40:43], s[12:13], 0x0
	v_mov_b32_e32 v8, 0
	v_mov_b32_e32 v9, 0
	s_waitcnt lgkmcnt(0)
	s_sub_u32 s36, s42, s30
	v_mov_b32_e32 v6, s41
	v_add_co_u32_e32 v10, vcc, s40, v1
	s_subb_u32 s37, s43, 0
	v_addc_co_u32_e32 v11, vcc, v6, v18, vcc
	v_cmp_gt_i64_e32 vcc, s[36:37], v[10:11]
	v_mov_b32_e32 v6, 0
	v_mov_b32_e32 v7, 0
	s_and_saveexec_b64 s[40:41], vcc
	s_cbranch_execz .LBB116_11
; %bb.8:                                ;   in Loop: Header=BB116_7 Depth=1
	v_lshlrev_b64 v[6:7], 3, v[10:11]
	v_mov_b32_e32 v8, s19
	v_add_co_u32_e32 v12, vcc, s18, v6
	v_addc_co_u32_e32 v13, vcc, v8, v7, vcc
	v_mov_b32_e32 v8, s44
	v_add_co_u32_e32 v16, vcc, s33, v6
	v_addc_co_u32_e32 v17, vcc, v8, v7, vcc
	v_mov_b32_e32 v8, 0
	v_mov_b32_e32 v9, 0
	;; [unrolled: 1-line block ×3, first 2 shown]
	s_mov_b64 s[42:43], 0
	v_mov_b32_e32 v7, v9
.LBB116_9:                              ;   Parent Loop BB116_7 Depth=1
                                        ; =>  This Inner Loop Header: Depth=2
	global_load_dwordx2 v[20:21], v[12:13], off
	global_load_dwordx2 v[24:25], v[16:17], off offset:-4
	v_mov_b32_e32 v22, s23
	s_waitcnt vmcnt(1)
	v_subrev_co_u32_e32 v20, vcc, s30, v20
	v_subbrev_co_u32_e32 v21, vcc, 0, v21, vcc
	v_lshlrev_b64 v[20:21], 4, v[20:21]
	s_waitcnt vmcnt(0)
	v_cndmask_b32_e64 v27, v25, -v25, s[38:39]
	v_add_co_u32_e32 v20, vcc, s22, v20
	v_addc_co_u32_e32 v21, vcc, v22, v21, vcc
	global_load_dwordx4 v[20:23], v[20:21], off
	v_cvt_f64_f32_e32 v[24:25], v24
	v_cvt_f64_f32_e32 v[27:28], v27
	v_add_co_u32_e32 v10, vcc, s31, v10
	v_addc_co_u32_e32 v11, vcc, 0, v11, vcc
	v_add_co_u32_e32 v12, vcc, 0x800, v12
	v_addc_co_u32_e32 v13, vcc, 0, v13, vcc
	v_cmp_le_i64_e64 s[12:13], s[36:37], v[10:11]
	v_add_co_u32_e32 v16, vcc, 0x800, v16
	s_or_b64 s[42:43], s[12:13], s[42:43]
	v_addc_co_u32_e32 v17, vcc, 0, v17, vcc
	s_waitcnt vmcnt(0)
	v_fma_f64 v[6:7], v[24:25], v[20:21], v[6:7]
	v_fma_f64 v[8:9], v[27:28], v[20:21], v[8:9]
	v_fma_f64 v[6:7], -v[27:28], v[22:23], v[6:7]
	v_fma_f64 v[8:9], v[24:25], v[22:23], v[8:9]
	s_andn2_b64 exec, exec, s[42:43]
	s_cbranch_execnz .LBB116_9
; %bb.10:                               ;   in Loop: Header=BB116_7 Depth=1
	s_or_b64 exec, exec, s[42:43]
.LBB116_11:                             ;   in Loop: Header=BB116_7 Depth=1
	s_or_b64 exec, exec, s[40:41]
	ds_write_b128 v26, v[6:9]
	s_waitcnt lgkmcnt(0)
	s_barrier
	s_and_saveexec_b64 s[12:13], s[0:1]
	s_cbranch_execz .LBB116_13
; %bb.12:                               ;   in Loop: Header=BB116_7 Depth=1
	ds_read_b128 v[6:9], v26 offset:4096
	ds_read_b128 v[10:13], v26 offset:8192
	ds_read_b128 v[20:23], v26 offset:12288
	ds_read_b128 v[27:30], v26
	s_waitcnt lgkmcnt(2)
	v_add_f64 v[6:7], v[10:11], v[6:7]
	v_add_f64 v[8:9], v[12:13], v[8:9]
	s_waitcnt lgkmcnt(1)
	v_add_f64 v[6:7], v[6:7], v[20:21]
	v_add_f64 v[8:9], v[8:9], v[22:23]
	s_waitcnt lgkmcnt(0)
	v_add_f64 v[6:7], v[6:7], v[27:28]
	v_add_f64 v[8:9], v[8:9], v[29:30]
	ds_write_b128 v26, v[6:9]
.LBB116_13:                             ;   in Loop: Header=BB116_7 Depth=1
	s_or_b64 exec, exec, s[12:13]
	s_waitcnt lgkmcnt(0)
	s_barrier
	s_and_saveexec_b64 s[12:13], s[2:3]
	s_cbranch_execz .LBB116_15
; %bb.14:                               ;   in Loop: Header=BB116_7 Depth=1
	ds_read_b128 v[6:9], v26 offset:1024
	ds_read_b128 v[10:13], v26 offset:2048
	ds_read_b128 v[20:23], v26 offset:3072
	ds_read_b128 v[27:30], v26
	s_waitcnt lgkmcnt(2)
	v_add_f64 v[6:7], v[10:11], v[6:7]
	v_add_f64 v[8:9], v[12:13], v[8:9]
	s_waitcnt lgkmcnt(1)
	v_add_f64 v[6:7], v[6:7], v[20:21]
	v_add_f64 v[8:9], v[8:9], v[22:23]
	s_waitcnt lgkmcnt(0)
	v_add_f64 v[6:7], v[6:7], v[27:28]
	v_add_f64 v[8:9], v[8:9], v[29:30]
	ds_write_b128 v26, v[6:9]
.LBB116_15:                             ;   in Loop: Header=BB116_7 Depth=1
	s_or_b64 exec, exec, s[12:13]
	;; [unrolled: 21-line block ×5, first 2 shown]
	s_waitcnt lgkmcnt(0)
	s_barrier
	s_and_saveexec_b64 s[12:13], s[10:11]
	s_cbranch_execz .LBB116_6
; %bb.22:                               ;   in Loop: Header=BB116_7 Depth=1
	ds_read_b128 v[6:9], v19
	v_mov_b32_e32 v16, 0
	s_mov_b64 s[36:37], exec
	v_bfrev_b32_e32 v17, 1
	s_waitcnt lgkmcnt(0)
	v_mul_f64 v[10:11], v[8:9], -v[4:5]
	v_fma_f64 v[10:11], v[2:3], v[6:7], v[10:11]
.LBB116_23:                             ;   Parent Loop BB116_7 Depth=1
                                        ; =>  This Inner Loop Header: Depth=2
	s_ff1_i32_b64 s42, s[36:37]
	v_readlane_b32 s41, v11, s42
	v_readlane_b32 s40, v10, s42
	v_add_f64 v[16:17], v[16:17], s[40:41]
	s_lshl_b64 s[40:41], 1, s42
	s_andn2_b64 s[36:37], s[36:37], s[40:41]
	s_cmp_lg_u64 s[36:37], 0
	s_cbranch_scc1 .LBB116_23
; %bb.24:                               ;   in Loop: Header=BB116_7 Depth=1
	s_lshl_b64 s[36:37], s[34:35], 4
	v_mbcnt_lo_u32_b32 v10, exec_lo, 0
	s_add_u32 s36, s14, s36
	v_mbcnt_hi_u32_b32 v10, exec_hi, v10
	s_addc_u32 s37, s15, s37
	v_cmp_eq_u32_e32 vcc, 0, v10
	s_and_saveexec_b64 s[40:41], vcc
	s_xor_b64 s[40:41], exec, s[40:41]
	s_cbranch_execz .LBB116_28
; %bb.25:                               ;   in Loop: Header=BB116_7 Depth=1
	global_load_dwordx2 v[12:13], v19, s[36:37]
	s_mov_b64 s[42:43], 0
.LBB116_26:                             ;   Parent Loop BB116_7 Depth=1
                                        ; =>  This Inner Loop Header: Depth=2
	s_waitcnt vmcnt(0)
	v_add_f64 v[10:11], v[12:13], v[16:17]
	global_atomic_cmpswap_x2 v[10:11], v19, v[10:13], s[36:37] glc
	s_waitcnt vmcnt(0)
	v_cmp_eq_u64_e32 vcc, v[10:11], v[12:13]
	v_mov_b32_e32 v13, v11
	s_or_b64 s[42:43], vcc, s[42:43]
	v_mov_b32_e32 v12, v10
	s_andn2_b64 exec, exec, s[42:43]
	s_cbranch_execnz .LBB116_26
; %bb.27:                               ;   in Loop: Header=BB116_7 Depth=1
	s_or_b64 exec, exec, s[42:43]
.LBB116_28:                             ;   in Loop: Header=BB116_7 Depth=1
	s_or_b64 exec, exec, s[40:41]
	v_mul_f64 v[8:9], v[2:3], v[8:9]
	v_mov_b32_e32 v10, 0
	s_mov_b64 s[40:41], exec
	v_bfrev_b32_e32 v11, 1
	v_fma_f64 v[6:7], v[4:5], v[6:7], v[8:9]
.LBB116_29:                             ;   Parent Loop BB116_7 Depth=1
                                        ; =>  This Inner Loop Header: Depth=2
	s_ff1_i32_b64 s45, s[40:41]
	v_readlane_b32 s43, v7, s45
	v_readlane_b32 s42, v6, s45
	v_add_f64 v[10:11], v[10:11], s[42:43]
	s_lshl_b64 s[42:43], 1, s45
	s_andn2_b64 s[40:41], s[40:41], s[42:43]
	s_cmp_lg_u64 s[40:41], 0
	s_cbranch_scc1 .LBB116_29
; %bb.30:                               ;   in Loop: Header=BB116_7 Depth=1
	v_mbcnt_lo_u32_b32 v6, exec_lo, 0
	v_mbcnt_hi_u32_b32 v6, exec_hi, v6
	v_cmp_eq_u32_e32 vcc, 0, v6
	s_and_saveexec_b64 s[40:41], vcc
	s_xor_b64 s[40:41], exec, s[40:41]
	s_cbranch_execz .LBB116_6
; %bb.31:                               ;   in Loop: Header=BB116_7 Depth=1
	global_load_dwordx2 v[8:9], v19, s[36:37] offset:8
	s_mov_b64 s[40:41], 0
.LBB116_32:                             ;   Parent Loop BB116_7 Depth=1
                                        ; =>  This Inner Loop Header: Depth=2
	s_waitcnt vmcnt(0)
	v_add_f64 v[6:7], v[8:9], v[10:11]
	global_atomic_cmpswap_x2 v[6:7], v19, v[6:9], s[36:37] offset:8 glc
	s_waitcnt vmcnt(0)
	v_cmp_eq_u64_e32 vcc, v[6:7], v[8:9]
	v_mov_b32_e32 v9, v7
	s_or_b64 s[40:41], vcc, s[40:41]
	v_mov_b32_e32 v8, v6
	s_andn2_b64 exec, exec, s[40:41]
	s_cbranch_execnz .LBB116_32
; %bb.33:                               ;   in Loop: Header=BB116_7 Depth=1
	s_or_b64 exec, exec, s[40:41]
	s_branch .LBB116_6
.LBB116_34:
	s_lshl_b64 s[0:1], s[24:25], 3
	s_add_u32 s0, s16, s0
	s_addc_u32 s1, s17, s1
	s_lshl_b64 s[2:3], s[26:27], 3
	s_add_u32 s2, s16, s2
	s_addc_u32 s3, s17, s3
	s_load_dwordx2 s[8:9], s[0:1], 0x0
	s_load_dwordx2 s[6:7], s[2:3], 0x0
	s_waitcnt lgkmcnt(0)
	v_mov_b32_e32 v6, s9
	s_sub_u32 s6, s6, s30
	v_add_co_u32_e32 v14, vcc, s8, v1
	s_subb_u32 s7, s7, 0
	v_addc_co_u32_e32 v15, vcc, v6, v18, vcc
	v_cmp_gt_i64_e32 vcc, s[6:7], v[14:15]
	s_and_saveexec_b64 s[8:9], vcc
	s_cbranch_execz .LBB116_46
; %bb.35:
	s_add_u32 s10, s26, -1
	s_addc_u32 s11, s27, -1
	v_mov_b32_e32 v6, s10
	s_add_u32 s0, s26, -2
	v_mov_b32_e32 v7, s11
	s_addc_u32 s1, s27, -1
	v_cmp_lt_i64_e32 vcc, s[24:25], v[6:7]
	s_cmp_lg_u64 s[24:25], s[0:1]
	s_cselect_b64 s[0:1], -1, 0
	s_and_b64 s[0:1], vcc, s[0:1]
	v_cndmask_b32_e64 v1, 0, 1, s[0:1]
	s_mov_b64 s[12:13], 0
	v_cmp_ne_u32_e64 s[0:1], 1, v1
	v_mov_b32_e32 v1, s17
	v_mov_b32_e32 v24, s19
	s_branch .LBB116_37
.LBB116_36:                             ;   in Loop: Header=BB116_37 Depth=1
	s_or_b64 exec, exec, s[2:3]
	v_add_co_u32_e32 v14, vcc, 0x100, v14
	v_addc_co_u32_e32 v15, vcc, 0, v15, vcc
	v_cmp_le_i64_e32 vcc, s[6:7], v[14:15]
	s_or_b64 s[12:13], vcc, s[12:13]
	s_andn2_b64 exec, exec, s[12:13]
	s_cbranch_execz .LBB116_46
.LBB116_37:                             ; =>This Loop Header: Depth=1
                                        ;     Child Loop BB116_39 Depth 2
                                        ;     Child Loop BB116_43 Depth 2
	;; [unrolled: 1-line block ×3, first 2 shown]
	v_mov_b32_e32 v6, s24
	v_mov_b32_e32 v8, s10
	s_and_b64 vcc, exec, s[0:1]
	v_mov_b32_e32 v7, s25
	v_mov_b32_e32 v9, s11
	s_cbranch_vccnz .LBB116_41
; %bb.38:                               ;   in Loop: Header=BB116_37 Depth=1
	v_mov_b32_e32 v6, s24
	v_mov_b32_e32 v8, s10
	s_mov_b64 s[34:35], 0
	v_mov_b32_e32 v7, s25
	v_mov_b32_e32 v9, s11
.LBB116_39:                             ;   Parent Loop BB116_37 Depth=1
                                        ; =>  This Inner Loop Header: Depth=2
	v_add_co_u32_e32 v10, vcc, v8, v6
	v_addc_co_u32_e32 v11, vcc, v9, v7, vcc
	v_lshrrev_b32_e32 v12, 31, v11
	v_add_co_u32_e32 v10, vcc, v10, v12
	v_addc_co_u32_e32 v11, vcc, 0, v11, vcc
	v_ashrrev_i64 v[10:11], 1, v[10:11]
	v_mov_b32_e32 v16, s17
	v_lshlrev_b64 v[12:13], 3, v[10:11]
	v_add_co_u32_e32 v12, vcc, s16, v12
	v_addc_co_u32_e32 v13, vcc, v16, v13, vcc
	global_load_dwordx2 v[12:13], v[12:13], off
	s_waitcnt vmcnt(0)
	v_subrev_co_u32_e32 v12, vcc, s30, v12
	v_subbrev_co_u32_e32 v13, vcc, 0, v13, vcc
	v_cmp_lt_i64_e32 vcc, v[14:15], v[12:13]
	v_cndmask_b32_e32 v8, v8, v10, vcc
	v_cndmask_b32_e32 v9, v9, v11, vcc
	v_cndmask_b32_e32 v6, v10, v6, vcc
	v_add_co_u32_e64 v10, s[2:3], -1, v8
	v_cndmask_b32_e32 v7, v11, v7, vcc
	v_addc_co_u32_e64 v11, s[2:3], -1, v9, s[2:3]
	v_cmp_ge_i64_e32 vcc, v[6:7], v[8:9]
	v_cmp_eq_u64_e64 s[2:3], v[6:7], v[10:11]
	s_or_b64 s[2:3], vcc, s[2:3]
	s_and_b64 s[2:3], exec, s[2:3]
	s_or_b64 s[34:35], s[2:3], s[34:35]
	s_andn2_b64 exec, exec, s[34:35]
	s_cbranch_execnz .LBB116_39
; %bb.40:                               ;   in Loop: Header=BB116_37 Depth=1
	s_or_b64 exec, exec, s[34:35]
.LBB116_41:                             ;   in Loop: Header=BB116_37 Depth=1
	v_lshlrev_b64 v[10:11], 3, v[8:9]
	v_lshlrev_b64 v[12:13], 3, v[14:15]
	v_add_co_u32_e32 v10, vcc, s16, v10
	v_addc_co_u32_e32 v11, vcc, v1, v11, vcc
	global_load_dwordx2 v[10:11], v[10:11], off
	v_add_co_u32_e32 v16, vcc, s18, v12
	v_addc_co_u32_e32 v17, vcc, v24, v13, vcc
	global_load_dwordx2 v[16:17], v[16:17], off
	s_waitcnt vmcnt(1)
	v_subrev_co_u32_e32 v10, vcc, s30, v10
	v_subbrev_co_u32_e32 v11, vcc, 0, v11, vcc
	v_cmp_lt_i64_e32 vcc, v[14:15], v[10:11]
	v_cndmask_b32_e32 v7, v9, v7, vcc
	v_cndmask_b32_e32 v6, v8, v6, vcc
	s_waitcnt vmcnt(0)
	v_subrev_co_u32_e32 v10, vcc, s30, v16
	v_subbrev_co_u32_e32 v11, vcc, 0, v17, vcc
	v_cmp_ne_u64_e32 vcc, v[10:11], v[6:7]
	s_and_saveexec_b64 s[2:3], vcc
	s_cbranch_execz .LBB116_36
; %bb.42:                               ;   in Loop: Header=BB116_37 Depth=1
	v_mov_b32_e32 v9, s21
	v_add_co_u32_e32 v8, vcc, s20, v12
	v_addc_co_u32_e32 v9, vcc, v9, v13, vcc
	global_load_dwordx2 v[18:19], v[8:9], off
	v_lshlrev_b64 v[6:7], 4, v[6:7]
	v_mov_b32_e32 v8, s23
	v_add_co_u32_e32 v6, vcc, s22, v6
	v_addc_co_u32_e32 v7, vcc, v8, v7, vcc
	global_load_dwordx4 v[6:9], v[6:7], off
	v_lshlrev_b64 v[10:11], 4, v[10:11]
	v_mov_b32_e32 v12, s15
	v_add_co_u32_e32 v16, vcc, s14, v10
	v_addc_co_u32_e32 v17, vcc, v12, v11, vcc
	global_load_dwordx2 v[12:13], v[16:17], off
	s_mov_b64 s[34:35], 0
	s_waitcnt vmcnt(2)
	v_cndmask_b32_e64 v10, v19, -v19, s[38:39]
	v_cvt_f64_f32_e32 v[10:11], v10
	v_cvt_f64_f32_e32 v[21:22], v18
	v_mul_f64 v[19:20], v[2:3], v[10:11]
	v_mul_f64 v[10:11], -v[4:5], v[10:11]
	v_fma_f64 v[18:19], v[4:5], v[21:22], v[19:20]
	v_fma_f64 v[20:21], v[2:3], v[21:22], v[10:11]
	s_waitcnt vmcnt(1)
	v_mul_f64 v[10:11], v[8:9], -v[18:19]
	v_fma_f64 v[22:23], v[20:21], v[6:7], v[10:11]
.LBB116_43:                             ;   Parent Loop BB116_37 Depth=1
                                        ; =>  This Inner Loop Header: Depth=2
	s_waitcnt vmcnt(0)
	v_add_f64 v[10:11], v[12:13], v[22:23]
	global_atomic_cmpswap_x2 v[10:11], v[16:17], v[10:13], off glc
	s_waitcnt vmcnt(0)
	v_cmp_eq_u64_e32 vcc, v[10:11], v[12:13]
	v_mov_b32_e32 v13, v11
	s_or_b64 s[34:35], vcc, s[34:35]
	v_mov_b32_e32 v12, v10
	s_andn2_b64 exec, exec, s[34:35]
	s_cbranch_execnz .LBB116_43
; %bb.44:                               ;   in Loop: Header=BB116_37 Depth=1
	s_or_b64 exec, exec, s[34:35]
	global_load_dwordx2 v[10:11], v[16:17], off offset:8
	v_mul_f64 v[8:9], v[8:9], v[20:21]
	s_mov_b64 s[34:35], 0
	v_fma_f64 v[6:7], v[18:19], v[6:7], v[8:9]
.LBB116_45:                             ;   Parent Loop BB116_37 Depth=1
                                        ; =>  This Inner Loop Header: Depth=2
	s_waitcnt vmcnt(0)
	v_add_f64 v[8:9], v[10:11], v[6:7]
	global_atomic_cmpswap_x2 v[8:9], v[16:17], v[8:11], off offset:8 glc
	s_waitcnt vmcnt(0)
	v_cmp_eq_u64_e32 vcc, v[8:9], v[10:11]
	v_mov_b32_e32 v11, v9
	s_or_b64 s[34:35], vcc, s[34:35]
	v_mov_b32_e32 v10, v8
	s_andn2_b64 exec, exec, s[34:35]
	s_cbranch_execnz .LBB116_45
	s_branch .LBB116_36
.LBB116_46:
	s_or_b64 exec, exec, s[8:9]
	s_mov_b64 s[0:1], 0
.LBB116_47:
	s_and_b64 vcc, exec, s[0:1]
	s_cbranch_vccz .LBB116_199
; %bb.48:
	s_load_dword s0, s[4:5], 0x7c
	v_mov_b32_e32 v6, s28
	s_mov_b32 s13, 0
	v_mov_b32_e32 v7, s29
	s_mov_b64 s[36:37], 0
	s_waitcnt lgkmcnt(0)
	s_and_b32 s12, s0, 0xffff
	v_cmp_lt_u64_e32 vcc, s[12:13], v[6:7]
	s_cbranch_vccnz .LBB116_50
; %bb.49:
	v_cvt_f32_u32_e32 v1, s28
	s_sub_i32 s0, 0, s28
	v_rcp_iflag_f32_e32 v1, v1
	v_mul_f32_e32 v1, 0x4f7ffffe, v1
	v_cvt_u32_f32_e32 v1, v1
	v_readfirstlane_b32 s1, v1
	s_mul_i32 s0, s0, s1
	s_mul_hi_u32 s0, s1, s0
	s_add_i32 s1, s1, s0
	s_mul_hi_u32 s0, s12, s1
	s_mul_i32 s2, s0, s28
	s_sub_i32 s2, s12, s2
	s_add_i32 s1, s0, 1
	s_sub_i32 s3, s2, s28
	s_cmp_ge_u32 s2, s28
	s_cselect_b32 s0, s1, s0
	s_cselect_b32 s2, s3, s2
	s_add_i32 s1, s0, 1
	s_cmp_ge_u32 s2, s28
	s_cselect_b32 s36, s1, s0
.LBB116_50:
	s_lshl_b64 s[0:1], s[24:25], 3
	s_add_u32 s34, s16, s0
	s_addc_u32 s35, s17, s1
	s_load_dwordx2 s[6:7], s[34:35], 0x0
	s_load_dwordx4 s[8:11], s[4:5], 0x8
	v_subrev_co_u32_e32 v1, vcc, s30, v0
	v_subb_co_u32_e64 v6, s[0:1], 0, 0, vcc
	s_waitcnt lgkmcnt(0)
	v_mov_b32_e32 v7, s7
	v_add_co_u32_e32 v14, vcc, s6, v1
	v_addc_co_u32_e32 v15, vcc, v7, v6, vcc
	v_add_co_u32_e32 v16, vcc, 0x300, v14
	v_addc_co_u32_e32 v17, vcc, 0, v15, vcc
	v_cmp_le_i64_e64 s[0:1], s[8:9], v[16:17]
	v_mov_b32_e32 v1, 0
	s_and_saveexec_b64 s[2:3], s[0:1]
	s_xor_b64 s[2:3], exec, s[2:3]
	s_cbranch_execnz .LBB116_53
; %bb.51:
	s_or_saveexec_b64 s[2:3], s[2:3]
	v_lshlrev_b64 v[6:7], 3, v[14:15]
	s_xor_b64 exec, exec, s[2:3]
	s_cbranch_execnz .LBB116_57
.LBB116_52:
	s_or_b64 exec, exec, s[2:3]
	v_cmp_gt_i64_e32 vcc, s[10:11], v[0:1]
	s_and_saveexec_b64 s[2:3], vcc
	s_cbranch_execnz .LBB116_58
	s_branch .LBB116_60
.LBB116_53:
	s_lshl_b64 s[4:5], s[26:27], 3
	s_add_u32 s4, s16, s4
	s_addc_u32 s5, s17, s5
	s_load_dwordx2 s[4:5], s[4:5], 0x0
	s_waitcnt lgkmcnt(0)
	s_sub_u32 s4, s4, s6
	s_subb_u32 s5, s5, s7
	v_cmp_gt_i64_e32 vcc, s[4:5], v[0:1]
	s_and_saveexec_b64 s[8:9], vcc
	s_cbranch_execz .LBB116_56
; %bb.54:
	v_lshlrev_b64 v[6:7], 3, v[14:15]
	v_mov_b32_e32 v8, s21
	v_add_co_u32_e32 v6, vcc, s20, v6
	v_addc_co_u32_e32 v7, vcc, v8, v7, vcc
	v_add_co_u32_e32 v6, vcc, 4, v6
	v_mov_b32_e32 v9, v1
	v_addc_co_u32_e32 v7, vcc, 0, v7, vcc
	s_mov_b64 s[40:41], 0
	v_mov_b32_e32 v10, v26
	v_mov_b32_e32 v8, v0
.LBB116_55:                             ; =>This Inner Loop Header: Depth=1
	global_load_dwordx2 v[11:12], v[6:7], off offset:-4
	v_add_co_u32_e32 v6, vcc, 0x800, v6
	v_addc_co_u32_e32 v7, vcc, 0, v7, vcc
	v_add_co_u32_e32 v8, vcc, 0x100, v8
	v_addc_co_u32_e32 v9, vcc, 0, v9, vcc
	v_cmp_le_i64_e32 vcc, s[4:5], v[8:9]
	s_or_b64 s[40:41], vcc, s[40:41]
	s_waitcnt vmcnt(0)
	v_cndmask_b32_e64 v12, v12, -v12, s[38:39]
	v_cvt_f64_f32_e32 v[12:13], v12
	v_cvt_f64_f32_e32 v[20:21], v11
	v_mul_f64 v[18:19], -v[4:5], v[12:13]
	v_mul_f64 v[12:13], v[2:3], v[12:13]
	v_fma_f64 v[18:19], v[2:3], v[20:21], v[18:19]
	v_fma_f64 v[20:21], v[4:5], v[20:21], v[12:13]
	ds_write_b128 v10, v[18:21]
	v_add_u32_e32 v10, 0x1000, v10
	s_andn2_b64 exec, exec, s[40:41]
	s_cbranch_execnz .LBB116_55
.LBB116_56:
	s_or_b64 exec, exec, s[8:9]
                                        ; implicit-def: $vgpr4_vgpr5
	s_or_saveexec_b64 s[2:3], s[2:3]
	v_lshlrev_b64 v[6:7], 3, v[14:15]
	s_xor_b64 exec, exec, s[2:3]
	s_cbranch_execz .LBB116_52
.LBB116_57:
	v_mov_b32_e32 v9, s21
	v_add_co_u32_e32 v8, vcc, s20, v6
	v_addc_co_u32_e32 v9, vcc, v9, v7, vcc
	s_movk_i32 s4, 0x1000
	global_load_dwordx2 v[10:11], v[8:9], off
	global_load_dwordx2 v[12:13], v[8:9], off offset:2048
	v_add_co_u32_e32 v8, vcc, s4, v8
	v_addc_co_u32_e32 v9, vcc, 0, v9, vcc
	global_load_dwordx2 v[18:19], v[8:9], off
	global_load_dwordx2 v[20:21], v[8:9], off offset:2048
	s_waitcnt vmcnt(3)
	v_cndmask_b32_e64 v8, v11, -v11, s[38:39]
	s_waitcnt vmcnt(2)
	v_cndmask_b32_e64 v22, v13, -v13, s[38:39]
	v_cvt_f64_f32_e32 v[8:9], v8
	v_cvt_f64_f32_e32 v[22:23], v22
	;; [unrolled: 1-line block ×3, first 2 shown]
	s_waitcnt vmcnt(1)
	v_cndmask_b32_e64 v19, v19, -v19, s[38:39]
	v_cvt_f64_f32_e32 v[24:25], v18
	s_waitcnt vmcnt(0)
	v_cndmask_b32_e64 v21, v21, -v21, s[38:39]
	v_cvt_f64_f32_e32 v[18:19], v19
	v_cvt_f64_f32_e32 v[27:28], v20
	;; [unrolled: 1-line block ×3, first 2 shown]
	v_mul_f64 v[29:30], -v[4:5], v[8:9]
	v_mul_f64 v[31:32], v[2:3], v[8:9]
	v_mul_f64 v[33:34], -v[4:5], v[22:23]
	v_mul_f64 v[22:23], v[2:3], v[22:23]
	;; [unrolled: 2-line block ×4, first 2 shown]
	v_cvt_f64_f32_e32 v[12:13], v12
	v_fma_f64 v[8:9], v[2:3], v[10:11], v[29:30]
	v_fma_f64 v[10:11], v[4:5], v[10:11], v[31:32]
	;; [unrolled: 1-line block ×8, first 2 shown]
	ds_write_b128 v26, v[8:11]
	ds_write_b128 v26, v[18:21] offset:4096
	ds_write_b128 v26, v[22:25] offset:8192
	;; [unrolled: 1-line block ×3, first 2 shown]
	s_or_b64 exec, exec, s[2:3]
	v_cmp_gt_i64_e32 vcc, s[10:11], v[0:1]
	s_and_saveexec_b64 s[2:3], vcc
	s_cbranch_execz .LBB116_60
.LBB116_58:
	s_mov_b32 s8, 0
	v_mov_b32_e32 v2, 0x4000
	s_mov_b32 s20, s8
	v_lshl_add_u32 v10, v0, 4, v2
	s_mov_b32 s9, s8
	s_mov_b32 s21, s8
	v_mov_b32_e32 v2, s8
	v_mov_b32_e32 v4, s20
	;; [unrolled: 1-line block ×3, first 2 shown]
	s_mov_b64 s[4:5], 0
	v_mov_b32_e32 v3, s9
	v_mov_b32_e32 v5, s21
	;; [unrolled: 1-line block ×3, first 2 shown]
.LBB116_59:                             ; =>This Inner Loop Header: Depth=1
	v_add_co_u32_e32 v8, vcc, 0x100, v8
	v_addc_co_u32_e32 v9, vcc, 0, v9, vcc
	v_cmp_le_i64_e32 vcc, s[10:11], v[8:9]
	ds_write2_b64 v10, v[2:3], v[4:5] offset1:1
	s_or_b64 s[4:5], vcc, s[4:5]
	v_add_u32_e32 v10, 0x1000, v10
	s_andn2_b64 exec, exec, s[4:5]
	s_cbranch_execnz .LBB116_59
.LBB116_60:
	s_or_b64 exec, exec, s[2:3]
	v_mov_b32_e32 v2, s10
	v_mov_b32_e32 v3, s11
	s_sub_u32 s4, s26, s10
	v_cmp_ge_i64_e32 vcc, s[26:27], v[2:3]
	s_subb_u32 s5, s27, s11
	s_and_b64 s[2:3], vcc, exec
	s_cselect_b32 s9, s5, 0
	s_cselect_b32 s8, s4, 0
	s_waitcnt lgkmcnt(0)
	s_barrier
	s_and_saveexec_b64 s[2:3], s[0:1]
	s_xor_b64 s[20:21], exec, s[2:3]
	s_cbranch_execz .LBB116_85
; %bb.61:
	s_lshl_b64 s[0:1], s[26:27], 3
	s_add_u32 s0, s16, s0
	s_addc_u32 s1, s17, s1
	s_load_dwordx2 s[0:1], s[0:1], 0x0
	s_waitcnt lgkmcnt(0)
	s_sub_u32 s38, s0, s6
	s_subb_u32 s39, s1, s7
	v_cmp_gt_i64_e32 vcc, s[38:39], v[0:1]
	s_and_saveexec_b64 s[40:41], vcc
	s_cbranch_execz .LBB116_84
; %bb.62:
	s_add_u32 s42, s26, -1
	s_addc_u32 s43, s27, -1
	s_add_u32 s2, s26, -2
	s_addc_u32 s3, s27, -1
	s_cmp_lg_u64 s[24:25], s[2:3]
	s_cselect_b64 s[2:3], -1, 0
	s_sub_u32 s44, s0, s30
	v_cndmask_b32_e64 v2, 0, 1, s[2:3]
	s_subb_u32 s45, s1, 0
	s_mov_b64 s[46:47], 0
	v_cmp_ne_u32_e64 s[0:1], 1, v2
	v_mov_b32_e32 v24, s17
	v_mov_b32_e32 v25, s19
	;; [unrolled: 1-line block ×4, first 2 shown]
	s_mov_b64 s[48:49], 0
	s_branch .LBB116_65
.LBB116_63:                             ;   in Loop: Header=BB116_65 Depth=1
	s_or_b64 exec, exec, s[2:3]
.LBB116_64:                             ;   in Loop: Header=BB116_65 Depth=1
	s_or_b64 exec, exec, s[4:5]
	v_lshlrev_b64 v[6:7], 4, v[16:17]
	s_add_u32 s48, s48, 0x100
	v_add_co_u32_e32 v6, vcc, s22, v6
	v_addc_co_u32_e32 v7, vcc, v27, v7, vcc
	global_load_dwordx4 v[6:9], v[6:7], off
	s_addc_u32 s49, s49, 0
	s_waitcnt vmcnt(0)
	v_mul_f64 v[10:11], v[8:9], v[18:19]
	v_mul_f64 v[8:9], v[8:9], v[2:3]
	v_fma_f64 v[2:3], v[2:3], v[6:7], v[10:11]
	v_fma_f64 v[4:5], v[4:5], v[6:7], v[8:9]
	v_mov_b32_e32 v7, s49
	v_add_co_u32_e32 v6, vcc, s48, v0
	v_addc_co_u32_e32 v7, vcc, 0, v7, vcc
	v_cmp_le_i64_e32 vcc, s[38:39], v[6:7]
	v_lshlrev_b32_e32 v6, 4, v29
	s_or_b64 s[46:47], vcc, s[46:47]
	ds_write_b128 v6, v[2:5]
	s_andn2_b64 exec, exec, s[46:47]
	s_cbranch_execz .LBB116_84
.LBB116_65:                             ; =>This Loop Header: Depth=1
                                        ;     Child Loop BB116_67 Depth 2
                                        ;     Child Loop BB116_74 Depth 2
	;; [unrolled: 1-line block ×5, first 2 shown]
	v_mov_b32_e32 v3, s49
	v_add_co_u32_e32 v2, vcc, s48, v14
	v_addc_co_u32_e32 v3, vcc, v3, v15, vcc
	v_mov_b32_e32 v4, s24
	v_mov_b32_e32 v6, s42
	s_and_b64 vcc, exec, s[0:1]
	v_mov_b32_e32 v5, s25
	v_mov_b32_e32 v7, s43
	s_cbranch_vccnz .LBB116_69
; %bb.66:                               ;   in Loop: Header=BB116_65 Depth=1
	v_mov_b32_e32 v4, s24
	v_mov_b32_e32 v6, s42
	s_mov_b64 s[4:5], 0
	v_mov_b32_e32 v5, s25
	v_mov_b32_e32 v7, s43
.LBB116_67:                             ;   Parent Loop BB116_65 Depth=1
                                        ; =>  This Inner Loop Header: Depth=2
	v_add_co_u32_e32 v8, vcc, v6, v4
	v_addc_co_u32_e32 v9, vcc, v7, v5, vcc
	v_lshrrev_b32_e32 v10, 31, v9
	v_add_co_u32_e32 v8, vcc, v8, v10
	v_addc_co_u32_e32 v9, vcc, 0, v9, vcc
	v_ashrrev_i64 v[8:9], 1, v[8:9]
	v_mov_b32_e32 v12, s17
	v_lshlrev_b64 v[10:11], 3, v[8:9]
	v_add_co_u32_e32 v10, vcc, s16, v10
	v_addc_co_u32_e32 v11, vcc, v12, v11, vcc
	global_load_dwordx2 v[10:11], v[10:11], off
	s_waitcnt vmcnt(0)
	v_subrev_co_u32_e32 v10, vcc, s30, v10
	v_subbrev_co_u32_e32 v11, vcc, 0, v11, vcc
	v_cmp_lt_i64_e32 vcc, v[2:3], v[10:11]
	v_cndmask_b32_e32 v6, v6, v8, vcc
	v_cndmask_b32_e32 v7, v7, v9, vcc
	;; [unrolled: 1-line block ×3, first 2 shown]
	v_add_co_u32_e64 v8, s[2:3], -1, v6
	v_cndmask_b32_e32 v5, v9, v5, vcc
	v_addc_co_u32_e64 v9, s[2:3], -1, v7, s[2:3]
	v_cmp_ge_i64_e32 vcc, v[4:5], v[6:7]
	v_cmp_eq_u64_e64 s[2:3], v[4:5], v[8:9]
	s_or_b64 s[2:3], vcc, s[2:3]
	s_and_b64 s[2:3], exec, s[2:3]
	s_or_b64 s[4:5], s[2:3], s[4:5]
	s_andn2_b64 exec, exec, s[4:5]
	s_cbranch_execnz .LBB116_67
; %bb.68:                               ;   in Loop: Header=BB116_65 Depth=1
	s_or_b64 exec, exec, s[4:5]
.LBB116_69:                             ;   in Loop: Header=BB116_65 Depth=1
	v_lshlrev_b64 v[8:9], 3, v[6:7]
	v_lshlrev_b64 v[10:11], 3, v[2:3]
	v_add_co_u32_e32 v8, vcc, s16, v8
	v_addc_co_u32_e32 v9, vcc, v24, v9, vcc
	global_load_dwordx2 v[8:9], v[8:9], off
	v_add_co_u32_e32 v10, vcc, s18, v10
	v_addc_co_u32_e32 v11, vcc, v25, v11, vcc
	global_load_dwordx2 v[10:11], v[10:11], off
	v_cmp_le_i64_e32 vcc, s[44:45], v[2:3]
	v_add_co_u32_e64 v29, s[4:5], s48, v0
                                        ; implicit-def: $vgpr18_vgpr19
	s_waitcnt vmcnt(1)
	v_subrev_co_u32_e64 v8, s[2:3], s30, v8
	v_subbrev_co_u32_e64 v9, s[2:3], 0, v9, s[2:3]
	s_waitcnt vmcnt(0)
	v_subrev_co_u32_e64 v16, s[2:3], s30, v10
	v_subbrev_co_u32_e64 v17, s[2:3], 0, v11, s[2:3]
	v_cmp_lt_i64_e64 s[2:3], v[2:3], v[8:9]
	v_lshlrev_b32_e32 v10, 4, v29
	v_cndmask_b32_e64 v7, v7, v5, s[2:3]
	v_cndmask_b32_e64 v6, v6, v4, s[2:3]
	v_cmp_eq_u64_e64 s[2:3], v[16:17], v[6:7]
                                        ; implicit-def: $vgpr2_vgpr3
	s_or_b64 s[2:3], s[2:3], vcc
	s_and_saveexec_b64 s[4:5], s[2:3]
	s_xor_b64 s[2:3], exec, s[4:5]
	s_cbranch_execz .LBB116_71
; %bb.70:                               ;   in Loop: Header=BB116_65 Depth=1
	ds_read_b128 v[2:5], v10
                                        ; implicit-def: $vgpr6_vgpr7
                                        ; implicit-def: $vgpr10
	s_waitcnt lgkmcnt(0)
	v_xor_b32_e32 v19, 0x80000000, v5
	v_mov_b32_e32 v18, v4
.LBB116_71:                             ;   in Loop: Header=BB116_65 Depth=1
	s_andn2_saveexec_b64 s[4:5], s[2:3]
	s_cbranch_execz .LBB116_64
; %bb.72:                               ;   in Loop: Header=BB116_65 Depth=1
	v_cmp_gt_i64_e32 vcc, s[8:9], v[16:17]
	v_cmp_le_i64_e64 s[2:3], s[26:27], v[16:17]
	v_lshlrev_b64 v[6:7], 4, v[6:7]
	s_or_b64 s[2:3], vcc, s[2:3]
                                        ; implicit-def: $vgpr2_vgpr3
                                        ; implicit-def: $vgpr18_vgpr19
	s_and_saveexec_b64 s[50:51], s[2:3]
	s_xor_b64 s[2:3], exec, s[50:51]
	s_cbranch_execz .LBB116_78
; %bb.73:                               ;   in Loop: Header=BB116_65 Depth=1
	v_mov_b32_e32 v3, s23
	v_add_co_u32_e32 v2, vcc, s22, v6
	v_addc_co_u32_e32 v3, vcc, v3, v7, vcc
	global_load_dwordx4 v[6:9], v[2:3], off
	v_lshlrev_b64 v[2:3], 4, v[16:17]
	v_mov_b32_e32 v4, s15
	v_add_co_u32_e32 v20, vcc, s14, v2
	v_addc_co_u32_e32 v21, vcc, v4, v3, vcc
	global_load_dwordx2 v[12:13], v[20:21], off
	ds_read_b128 v[2:5], v10
	s_mov_b64 s[50:51], 0
	s_waitcnt lgkmcnt(0)
	v_xor_b32_e32 v19, 0x80000000, v5
	v_mov_b32_e32 v18, v4
	s_waitcnt vmcnt(1)
	v_mul_f64 v[10:11], v[8:9], -v[4:5]
	v_fma_f64 v[22:23], v[2:3], v[6:7], v[10:11]
.LBB116_74:                             ;   Parent Loop BB116_65 Depth=1
                                        ; =>  This Inner Loop Header: Depth=2
	s_waitcnt vmcnt(0)
	v_add_f64 v[10:11], v[12:13], v[22:23]
	global_atomic_cmpswap_x2 v[10:11], v[20:21], v[10:13], off glc
	s_waitcnt vmcnt(0)
	v_cmp_eq_u64_e32 vcc, v[10:11], v[12:13]
	v_mov_b32_e32 v13, v11
	s_or_b64 s[50:51], vcc, s[50:51]
	v_mov_b32_e32 v12, v10
	s_andn2_b64 exec, exec, s[50:51]
	s_cbranch_execnz .LBB116_74
; %bb.75:                               ;   in Loop: Header=BB116_65 Depth=1
	s_or_b64 exec, exec, s[50:51]
	global_load_dwordx2 v[10:11], v[20:21], off offset:8
	v_mul_f64 v[8:9], v[8:9], v[2:3]
	s_mov_b64 s[50:51], 0
	v_fma_f64 v[6:7], v[4:5], v[6:7], v[8:9]
.LBB116_76:                             ;   Parent Loop BB116_65 Depth=1
                                        ; =>  This Inner Loop Header: Depth=2
	s_waitcnt vmcnt(0)
	v_add_f64 v[8:9], v[10:11], v[6:7]
	global_atomic_cmpswap_x2 v[8:9], v[20:21], v[8:11], off offset:8 glc
	s_waitcnt vmcnt(0)
	v_cmp_eq_u64_e32 vcc, v[8:9], v[10:11]
	v_mov_b32_e32 v11, v9
	s_or_b64 s[50:51], vcc, s[50:51]
	v_mov_b32_e32 v10, v8
	s_andn2_b64 exec, exec, s[50:51]
	s_cbranch_execnz .LBB116_76
; %bb.77:                               ;   in Loop: Header=BB116_65 Depth=1
	s_or_b64 exec, exec, s[50:51]
                                        ; implicit-def: $vgpr6_vgpr7
                                        ; implicit-def: $vgpr10
.LBB116_78:                             ;   in Loop: Header=BB116_65 Depth=1
	s_andn2_saveexec_b64 s[2:3], s[2:3]
	s_cbranch_execz .LBB116_63
; %bb.79:                               ;   in Loop: Header=BB116_65 Depth=1
	v_add_co_u32_e32 v2, vcc, s22, v6
	v_addc_co_u32_e32 v3, vcc, v27, v7, vcc
	global_load_dwordx4 v[6:9], v[2:3], off
	ds_read_b128 v[2:5], v10
	v_subrev_u32_e32 v12, s8, v16
	v_lshl_add_u32 v20, v12, 4, v28
	ds_read_b64 v[12:13], v20
	s_mov_b64 s[50:51], 0
	s_waitcnt lgkmcnt(1)
	v_xor_b32_e32 v19, 0x80000000, v5
	v_mov_b32_e32 v18, v4
	s_waitcnt vmcnt(0)
	v_mul_f64 v[10:11], v[8:9], -v[4:5]
	v_fma_f64 v[10:11], v[2:3], v[6:7], v[10:11]
.LBB116_80:                             ;   Parent Loop BB116_65 Depth=1
                                        ; =>  This Inner Loop Header: Depth=2
	s_waitcnt lgkmcnt(0)
	v_add_f64 v[21:22], v[12:13], v[10:11]
	ds_cmpst_rtn_b64 v[21:22], v20, v[12:13], v[21:22]
	s_waitcnt lgkmcnt(0)
	v_cmp_eq_u64_e32 vcc, v[21:22], v[12:13]
	v_mov_b32_e32 v12, v21
	s_or_b64 s[50:51], vcc, s[50:51]
	v_mov_b32_e32 v13, v22
	s_andn2_b64 exec, exec, s[50:51]
	s_cbranch_execnz .LBB116_80
; %bb.81:                               ;   in Loop: Header=BB116_65 Depth=1
	s_or_b64 exec, exec, s[50:51]
	v_mul_f64 v[8:9], v[8:9], v[2:3]
	s_mov_b64 s[50:51], 0
	v_fma_f64 v[6:7], v[4:5], v[6:7], v[8:9]
	ds_read_b64 v[8:9], v20 offset:8
.LBB116_82:                             ;   Parent Loop BB116_65 Depth=1
                                        ; =>  This Inner Loop Header: Depth=2
	s_waitcnt lgkmcnt(0)
	v_add_f64 v[10:11], v[8:9], v[6:7]
	ds_cmpst_rtn_b64 v[10:11], v20, v[8:9], v[10:11] offset:8
	s_waitcnt lgkmcnt(0)
	v_cmp_eq_u64_e32 vcc, v[10:11], v[8:9]
	v_mov_b32_e32 v8, v10
	s_or_b64 s[50:51], vcc, s[50:51]
	v_mov_b32_e32 v9, v11
	s_andn2_b64 exec, exec, s[50:51]
	s_cbranch_execnz .LBB116_82
; %bb.83:                               ;   in Loop: Header=BB116_65 Depth=1
	s_or_b64 exec, exec, s[50:51]
	s_branch .LBB116_63
.LBB116_84:
	s_or_b64 exec, exec, s[40:41]
                                        ; implicit-def: $vgpr16_vgpr17
                                        ; implicit-def: $vgpr14
                                        ; implicit-def: $vgpr6_vgpr7
.LBB116_85:
	s_andn2_saveexec_b64 s[4:5], s[20:21]
	s_cbranch_execz .LBB116_159
; %bb.86:
	s_add_u32 s20, s26, -1
	s_addc_u32 s21, s27, -1
	s_add_u32 s0, s26, -2
	s_addc_u32 s1, s27, -1
	s_cmp_lg_u64 s[24:25], s[0:1]
	v_mov_b32_e32 v2, s24
	v_mov_b32_e32 v4, s20
	s_cselect_b64 s[2:3], -1, 0
	s_cmp_eq_u64 s[24:25], s[0:1]
	v_mov_b32_e32 v3, s25
	v_mov_b32_e32 v5, s21
	s_cbranch_scc1 .LBB116_90
; %bb.87:
	v_mov_b32_e32 v2, s24
	v_mov_b32_e32 v4, s20
	s_mov_b64 s[38:39], 0
	v_mov_b32_e32 v3, s25
	v_mov_b32_e32 v5, s21
	;; [unrolled: 1-line block ×3, first 2 shown]
.LBB116_88:                             ; =>This Inner Loop Header: Depth=1
	v_add_co_u32_e32 v9, vcc, v4, v2
	v_addc_co_u32_e32 v10, vcc, v5, v3, vcc
	v_lshrrev_b32_e32 v11, 31, v10
	v_add_co_u32_e32 v9, vcc, v9, v11
	v_addc_co_u32_e32 v10, vcc, 0, v10, vcc
	v_ashrrev_i64 v[9:10], 1, v[9:10]
	v_lshlrev_b64 v[11:12], 3, v[9:10]
	v_add_co_u32_e32 v11, vcc, s16, v11
	v_addc_co_u32_e32 v12, vcc, v8, v12, vcc
	global_load_dwordx2 v[11:12], v[11:12], off
	s_waitcnt vmcnt(0)
	v_subrev_co_u32_e32 v11, vcc, s30, v11
	v_subbrev_co_u32_e32 v12, vcc, 0, v12, vcc
	v_cmp_lt_i64_e32 vcc, v[14:15], v[11:12]
	v_cndmask_b32_e32 v4, v4, v9, vcc
	v_cndmask_b32_e32 v5, v5, v10, vcc
	;; [unrolled: 1-line block ×3, first 2 shown]
	v_add_co_u32_e64 v9, s[0:1], -1, v4
	v_cndmask_b32_e32 v3, v10, v3, vcc
	v_addc_co_u32_e64 v10, s[0:1], -1, v5, s[0:1]
	v_cmp_ge_i64_e32 vcc, v[2:3], v[4:5]
	v_cmp_eq_u64_e64 s[0:1], v[2:3], v[9:10]
	s_or_b64 s[0:1], vcc, s[0:1]
	s_and_b64 s[0:1], exec, s[0:1]
	s_or_b64 s[38:39], s[0:1], s[38:39]
	s_andn2_b64 exec, exec, s[38:39]
	s_cbranch_execnz .LBB116_88
; %bb.89:
	s_or_b64 exec, exec, s[38:39]
.LBB116_90:
	v_lshlrev_b64 v[8:9], 3, v[4:5]
	v_mov_b32_e32 v10, s17
	v_add_co_u32_e32 v8, vcc, s16, v8
	v_addc_co_u32_e32 v9, vcc, v10, v9, vcc
	global_load_dwordx2 v[8:9], v[8:9], off
	v_mov_b32_e32 v10, s19
	v_add_co_u32_e32 v18, vcc, s18, v6
	v_addc_co_u32_e32 v19, vcc, v10, v7, vcc
	global_load_dwordx2 v[6:7], v[18:19], off
	s_lshl_b64 s[0:1], s[26:27], 3
	s_add_u32 s18, s16, s0
	s_addc_u32 s19, s17, s1
	s_waitcnt vmcnt(1)
	v_subrev_co_u32_e32 v8, vcc, s30, v8
	v_subbrev_co_u32_e32 v9, vcc, 0, v9, vcc
	v_cmp_lt_i64_e32 vcc, v[14:15], v[8:9]
	v_cndmask_b32_e32 v3, v5, v3, vcc
	v_cndmask_b32_e32 v2, v4, v2, vcc
	s_waitcnt vmcnt(0)
	v_subrev_co_u32_e32 v20, vcc, s30, v6
	v_subbrev_co_u32_e32 v21, vcc, 0, v7, vcc
	v_cmp_ne_u64_e32 vcc, v[20:21], v[2:3]
	s_and_saveexec_b64 s[38:39], vcc
	s_cbranch_execz .LBB116_104
; %bb.91:
	s_load_dwordx2 s[0:1], s[18:19], 0x0
	s_waitcnt lgkmcnt(0)
	s_sub_u32 s0, s0, s30
	s_subb_u32 s1, s1, 0
	v_cmp_gt_i64_e32 vcc, s[0:1], v[14:15]
	s_and_b64 exec, exec, vcc
	s_cbranch_execz .LBB116_104
; %bb.92:
	v_cmp_gt_i64_e32 vcc, s[8:9], v[20:21]
	v_cmp_le_i64_e64 s[0:1], s[26:27], v[20:21]
	v_lshlrev_b64 v[2:3], 4, v[2:3]
	s_or_b64 s[0:1], vcc, s[0:1]
	s_and_saveexec_b64 s[40:41], s[0:1]
	s_xor_b64 s[0:1], exec, s[40:41]
	s_cbranch_execz .LBB116_98
; %bb.93:
	v_mov_b32_e32 v4, s23
	v_add_co_u32_e32 v2, vcc, s22, v2
	v_addc_co_u32_e32 v3, vcc, v4, v3, vcc
	global_load_dwordx4 v[2:5], v[2:3], off
	v_lshlrev_b64 v[6:7], 4, v[20:21]
	v_mov_b32_e32 v8, s15
	v_add_co_u32_e32 v22, vcc, s14, v6
	v_addc_co_u32_e32 v23, vcc, v8, v7, vcc
	global_load_dwordx2 v[12:13], v[22:23], off
	ds_read_b128 v[6:9], v26
	s_mov_b64 s[40:41], 0
	s_waitcnt vmcnt(1) lgkmcnt(0)
	v_mul_f64 v[10:11], v[4:5], -v[8:9]
	v_fma_f64 v[24:25], v[6:7], v[2:3], v[10:11]
.LBB116_94:                             ; =>This Inner Loop Header: Depth=1
	s_waitcnt vmcnt(0)
	v_add_f64 v[10:11], v[12:13], v[24:25]
	global_atomic_cmpswap_x2 v[10:11], v[22:23], v[10:13], off glc
	s_waitcnt vmcnt(0)
	v_cmp_eq_u64_e32 vcc, v[10:11], v[12:13]
	v_mov_b32_e32 v13, v11
	s_or_b64 s[40:41], vcc, s[40:41]
	v_mov_b32_e32 v12, v10
	s_andn2_b64 exec, exec, s[40:41]
	s_cbranch_execnz .LBB116_94
; %bb.95:
	s_or_b64 exec, exec, s[40:41]
	global_load_dwordx2 v[10:11], v[22:23], off offset:8
	v_mul_f64 v[4:5], v[4:5], v[6:7]
	s_mov_b64 s[40:41], 0
	v_fma_f64 v[2:3], v[8:9], v[2:3], v[4:5]
.LBB116_96:                             ; =>This Inner Loop Header: Depth=1
	s_waitcnt vmcnt(0)
	v_add_f64 v[8:9], v[10:11], v[2:3]
	global_atomic_cmpswap_x2 v[4:5], v[22:23], v[8:11], off offset:8 glc
	s_waitcnt vmcnt(0)
	v_cmp_eq_u64_e32 vcc, v[4:5], v[10:11]
	v_mov_b32_e32 v11, v5
	s_or_b64 s[40:41], vcc, s[40:41]
	v_mov_b32_e32 v10, v4
	s_andn2_b64 exec, exec, s[40:41]
	s_cbranch_execnz .LBB116_96
; %bb.97:
	s_or_b64 exec, exec, s[40:41]
                                        ; implicit-def: $vgpr2_vgpr3
.LBB116_98:
	s_andn2_saveexec_b64 s[0:1], s[0:1]
	s_cbranch_execz .LBB116_104
; %bb.99:
	v_mov_b32_e32 v4, s23
	v_add_co_u32_e32 v2, vcc, s22, v2
	v_addc_co_u32_e32 v3, vcc, v4, v3, vcc
	global_load_dwordx4 v[2:5], v[2:3], off
	ds_read_b128 v[6:9], v26
	v_subrev_u32_e32 v12, s8, v20
	v_mov_b32_e32 v13, 0x4000
	v_lshl_add_u32 v22, v12, 4, v13
	ds_read_b64 v[12:13], v22
	s_mov_b64 s[0:1], 0
	s_waitcnt vmcnt(0) lgkmcnt(1)
	v_mul_f64 v[10:11], v[4:5], -v[8:9]
	v_fma_f64 v[10:11], v[6:7], v[2:3], v[10:11]
.LBB116_100:                            ; =>This Inner Loop Header: Depth=1
	s_waitcnt lgkmcnt(0)
	v_add_f64 v[23:24], v[12:13], v[10:11]
	ds_cmpst_rtn_b64 v[23:24], v22, v[12:13], v[23:24]
	s_waitcnt lgkmcnt(0)
	v_cmp_eq_u64_e32 vcc, v[23:24], v[12:13]
	v_mov_b32_e32 v12, v23
	s_or_b64 s[0:1], vcc, s[0:1]
	v_mov_b32_e32 v13, v24
	s_andn2_b64 exec, exec, s[0:1]
	s_cbranch_execnz .LBB116_100
; %bb.101:
	s_or_b64 exec, exec, s[0:1]
	v_mul_f64 v[4:5], v[4:5], v[6:7]
	s_mov_b64 s[0:1], 0
	v_fma_f64 v[2:3], v[8:9], v[2:3], v[4:5]
	ds_read_b64 v[4:5], v22 offset:8
.LBB116_102:                            ; =>This Inner Loop Header: Depth=1
	s_waitcnt lgkmcnt(0)
	v_add_f64 v[6:7], v[4:5], v[2:3]
	ds_cmpst_rtn_b64 v[6:7], v22, v[4:5], v[6:7] offset:8
	s_waitcnt lgkmcnt(0)
	v_cmp_eq_u64_e32 vcc, v[6:7], v[4:5]
	v_mov_b32_e32 v4, v6
	s_or_b64 s[0:1], vcc, s[0:1]
	v_mov_b32_e32 v5, v7
	s_andn2_b64 exec, exec, s[0:1]
	s_cbranch_execnz .LBB116_102
; %bb.103:
	s_or_b64 exec, exec, s[0:1]
.LBB116_104:
	s_or_b64 exec, exec, s[38:39]
	v_lshlrev_b64 v[2:3], 4, v[20:21]
	v_mov_b32_e32 v4, s23
	v_add_co_u32_e32 v2, vcc, s22, v2
	v_addc_co_u32_e32 v3, vcc, v4, v3, vcc
	global_load_dwordx4 v[3:6], v[2:3], off
	ds_read_b128 v[7:10], v26
	v_add_co_u32_e32 v2, vcc, 0x100, v14
	s_waitcnt vmcnt(0) lgkmcnt(0)
	v_mul_f64 v[11:12], v[5:6], -v[9:10]
	v_mul_f64 v[20:21], v[5:6], v[7:8]
	v_fma_f64 v[6:7], v[7:8], v[3:4], v[11:12]
	v_fma_f64 v[8:9], v[9:10], v[3:4], v[20:21]
	v_cndmask_b32_e64 v10, 0, 1, s[2:3]
	v_mov_b32_e32 v4, s24
	v_addc_co_u32_e32 v3, vcc, 0, v15, vcc
	v_mov_b32_e32 v5, s25
	v_cmp_ne_u32_e64 s[0:1], 1, v10
	s_andn2_b64 vcc, exec, s[2:3]
	ds_write_b128 v26, v[6:9]
	v_mov_b32_e32 v6, s20
	v_mov_b32_e32 v7, s21
	s_cbranch_vccnz .LBB116_108
; %bb.105:
	v_mov_b32_e32 v4, s24
	v_mov_b32_e32 v6, s20
	s_mov_b64 s[38:39], 0
	v_mov_b32_e32 v5, s25
	v_mov_b32_e32 v7, s21
	;; [unrolled: 1-line block ×3, first 2 shown]
.LBB116_106:                            ; =>This Inner Loop Header: Depth=1
	v_add_co_u32_e32 v9, vcc, v6, v4
	v_addc_co_u32_e32 v10, vcc, v7, v5, vcc
	v_lshrrev_b32_e32 v11, 31, v10
	v_add_co_u32_e32 v9, vcc, v9, v11
	v_addc_co_u32_e32 v10, vcc, 0, v10, vcc
	v_ashrrev_i64 v[9:10], 1, v[9:10]
	v_lshlrev_b64 v[11:12], 3, v[9:10]
	v_add_co_u32_e32 v11, vcc, s16, v11
	v_addc_co_u32_e32 v12, vcc, v8, v12, vcc
	global_load_dwordx2 v[11:12], v[11:12], off
	s_waitcnt vmcnt(0)
	v_subrev_co_u32_e32 v11, vcc, s30, v11
	v_subbrev_co_u32_e32 v12, vcc, 0, v12, vcc
	v_cmp_lt_i64_e32 vcc, v[2:3], v[11:12]
	v_cndmask_b32_e32 v6, v6, v9, vcc
	v_cndmask_b32_e32 v7, v7, v10, vcc
	;; [unrolled: 1-line block ×3, first 2 shown]
	v_add_co_u32_e64 v9, s[2:3], -1, v6
	v_cndmask_b32_e32 v5, v10, v5, vcc
	v_addc_co_u32_e64 v10, s[2:3], -1, v7, s[2:3]
	v_cmp_ge_i64_e32 vcc, v[4:5], v[6:7]
	v_cmp_eq_u64_e64 s[2:3], v[4:5], v[9:10]
	s_or_b64 s[2:3], vcc, s[2:3]
	s_and_b64 s[2:3], exec, s[2:3]
	s_or_b64 s[38:39], s[2:3], s[38:39]
	s_andn2_b64 exec, exec, s[38:39]
	s_cbranch_execnz .LBB116_106
; %bb.107:
	s_or_b64 exec, exec, s[38:39]
.LBB116_108:
	v_lshlrev_b64 v[8:9], 3, v[6:7]
	v_mov_b32_e32 v10, s17
	v_add_co_u32_e32 v8, vcc, s16, v8
	v_addc_co_u32_e32 v9, vcc, v10, v9, vcc
	global_load_dwordx2 v[10:11], v[8:9], off
	global_load_dwordx2 v[12:13], v[18:19], off offset:2048
	s_waitcnt vmcnt(1)
	v_subrev_co_u32_e32 v8, vcc, s30, v10
	v_subbrev_co_u32_e32 v9, vcc, 0, v11, vcc
	v_cmp_lt_i64_e32 vcc, v[2:3], v[8:9]
	v_cndmask_b32_e32 v5, v7, v5, vcc
	v_cndmask_b32_e32 v4, v6, v4, vcc
	s_waitcnt vmcnt(0)
	v_subrev_co_u32_e32 v20, vcc, s30, v12
	v_subbrev_co_u32_e32 v21, vcc, 0, v13, vcc
	v_cmp_ne_u64_e32 vcc, v[20:21], v[4:5]
	s_and_saveexec_b64 s[38:39], vcc
	s_cbranch_execz .LBB116_122
; %bb.109:
	s_load_dwordx2 s[2:3], s[18:19], 0x0
	s_waitcnt lgkmcnt(0)
	s_sub_u32 s2, s2, s30
	s_subb_u32 s3, s3, 0
	v_cmp_gt_i64_e32 vcc, s[2:3], v[2:3]
	s_and_b64 exec, exec, vcc
	s_cbranch_execz .LBB116_122
; %bb.110:
	v_cmp_gt_i64_e32 vcc, s[8:9], v[20:21]
	v_cmp_le_i64_e64 s[2:3], s[26:27], v[20:21]
	v_lshlrev_b64 v[2:3], 4, v[4:5]
	s_or_b64 s[2:3], vcc, s[2:3]
	s_and_saveexec_b64 s[40:41], s[2:3]
	s_xor_b64 s[2:3], exec, s[40:41]
	s_cbranch_execz .LBB116_116
; %bb.111:
	v_mov_b32_e32 v4, s23
	v_add_co_u32_e32 v2, vcc, s22, v2
	v_addc_co_u32_e32 v3, vcc, v4, v3, vcc
	global_load_dwordx4 v[2:5], v[2:3], off
	v_lshlrev_b64 v[6:7], 4, v[20:21]
	v_mov_b32_e32 v8, s15
	v_add_co_u32_e32 v22, vcc, s14, v6
	v_addc_co_u32_e32 v23, vcc, v8, v7, vcc
	global_load_dwordx2 v[12:13], v[22:23], off
	ds_read_b128 v[6:9], v26 offset:4096
	s_mov_b64 s[40:41], 0
	s_waitcnt vmcnt(1) lgkmcnt(0)
	v_mul_f64 v[10:11], v[4:5], -v[8:9]
	v_fma_f64 v[24:25], v[6:7], v[2:3], v[10:11]
.LBB116_112:                            ; =>This Inner Loop Header: Depth=1
	s_waitcnt vmcnt(0)
	v_add_f64 v[10:11], v[12:13], v[24:25]
	global_atomic_cmpswap_x2 v[10:11], v[22:23], v[10:13], off glc
	s_waitcnt vmcnt(0)
	v_cmp_eq_u64_e32 vcc, v[10:11], v[12:13]
	v_mov_b32_e32 v13, v11
	s_or_b64 s[40:41], vcc, s[40:41]
	v_mov_b32_e32 v12, v10
	s_andn2_b64 exec, exec, s[40:41]
	s_cbranch_execnz .LBB116_112
; %bb.113:
	s_or_b64 exec, exec, s[40:41]
	global_load_dwordx2 v[10:11], v[22:23], off offset:8
	v_mul_f64 v[4:5], v[4:5], v[6:7]
	s_mov_b64 s[40:41], 0
	v_fma_f64 v[2:3], v[8:9], v[2:3], v[4:5]
.LBB116_114:                            ; =>This Inner Loop Header: Depth=1
	s_waitcnt vmcnt(0)
	v_add_f64 v[8:9], v[10:11], v[2:3]
	global_atomic_cmpswap_x2 v[4:5], v[22:23], v[8:11], off offset:8 glc
	s_waitcnt vmcnt(0)
	v_cmp_eq_u64_e32 vcc, v[4:5], v[10:11]
	v_mov_b32_e32 v11, v5
	s_or_b64 s[40:41], vcc, s[40:41]
	v_mov_b32_e32 v10, v4
	s_andn2_b64 exec, exec, s[40:41]
	s_cbranch_execnz .LBB116_114
; %bb.115:
	s_or_b64 exec, exec, s[40:41]
                                        ; implicit-def: $vgpr2_vgpr3
.LBB116_116:
	s_andn2_saveexec_b64 s[2:3], s[2:3]
	s_cbranch_execz .LBB116_122
; %bb.117:
	v_mov_b32_e32 v4, s23
	v_add_co_u32_e32 v2, vcc, s22, v2
	v_addc_co_u32_e32 v3, vcc, v4, v3, vcc
	global_load_dwordx4 v[2:5], v[2:3], off
	ds_read_b128 v[6:9], v26 offset:4096
	v_subrev_u32_e32 v12, s8, v20
	v_mov_b32_e32 v13, 0x4000
	v_lshl_add_u32 v22, v12, 4, v13
	ds_read_b64 v[12:13], v22
	s_mov_b64 s[2:3], 0
	s_waitcnt vmcnt(0) lgkmcnt(1)
	v_mul_f64 v[10:11], v[4:5], -v[8:9]
	v_fma_f64 v[10:11], v[6:7], v[2:3], v[10:11]
.LBB116_118:                            ; =>This Inner Loop Header: Depth=1
	s_waitcnt lgkmcnt(0)
	v_add_f64 v[23:24], v[12:13], v[10:11]
	ds_cmpst_rtn_b64 v[23:24], v22, v[12:13], v[23:24]
	s_waitcnt lgkmcnt(0)
	v_cmp_eq_u64_e32 vcc, v[23:24], v[12:13]
	v_mov_b32_e32 v12, v23
	s_or_b64 s[2:3], vcc, s[2:3]
	v_mov_b32_e32 v13, v24
	s_andn2_b64 exec, exec, s[2:3]
	s_cbranch_execnz .LBB116_118
; %bb.119:
	s_or_b64 exec, exec, s[2:3]
	v_mul_f64 v[4:5], v[4:5], v[6:7]
	s_mov_b64 s[2:3], 0
	v_fma_f64 v[2:3], v[8:9], v[2:3], v[4:5]
	ds_read_b64 v[4:5], v22 offset:8
.LBB116_120:                            ; =>This Inner Loop Header: Depth=1
	s_waitcnt lgkmcnt(0)
	v_add_f64 v[6:7], v[4:5], v[2:3]
	ds_cmpst_rtn_b64 v[6:7], v22, v[4:5], v[6:7] offset:8
	s_waitcnt lgkmcnt(0)
	v_cmp_eq_u64_e32 vcc, v[6:7], v[4:5]
	v_mov_b32_e32 v4, v6
	s_or_b64 s[2:3], vcc, s[2:3]
	v_mov_b32_e32 v5, v7
	s_andn2_b64 exec, exec, s[2:3]
	s_cbranch_execnz .LBB116_120
; %bb.121:
	s_or_b64 exec, exec, s[2:3]
.LBB116_122:
	s_or_b64 exec, exec, s[38:39]
	v_lshlrev_b64 v[2:3], 4, v[20:21]
	v_mov_b32_e32 v4, s23
	v_add_co_u32_e32 v2, vcc, s22, v2
	v_addc_co_u32_e32 v3, vcc, v4, v3, vcc
	global_load_dwordx4 v[2:5], v[2:3], off
	ds_read_b128 v[6:9], v26 offset:4096
	s_waitcnt vmcnt(0) lgkmcnt(0)
	v_mul_f64 v[10:11], v[4:5], -v[8:9]
	v_mul_f64 v[4:5], v[4:5], v[6:7]
	v_fma_f64 v[6:7], v[6:7], v[2:3], v[10:11]
	v_fma_f64 v[8:9], v[8:9], v[2:3], v[4:5]
	v_add_co_u32_e32 v2, vcc, 0x200, v14
	v_mov_b32_e32 v4, s24
	v_addc_co_u32_e32 v3, vcc, 0, v15, vcc
	v_mov_b32_e32 v5, s25
	s_and_b64 vcc, exec, s[0:1]
	ds_write_b128 v26, v[6:9] offset:4096
	v_mov_b32_e32 v6, s20
	v_mov_b32_e32 v7, s21
	s_cbranch_vccnz .LBB116_126
; %bb.123:
	v_mov_b32_e32 v4, s24
	v_mov_b32_e32 v6, s20
	s_mov_b64 s[38:39], 0
	v_mov_b32_e32 v5, s25
	v_mov_b32_e32 v7, s21
	;; [unrolled: 1-line block ×3, first 2 shown]
.LBB116_124:                            ; =>This Inner Loop Header: Depth=1
	v_add_co_u32_e32 v9, vcc, v6, v4
	v_addc_co_u32_e32 v10, vcc, v7, v5, vcc
	v_lshrrev_b32_e32 v11, 31, v10
	v_add_co_u32_e32 v9, vcc, v9, v11
	v_addc_co_u32_e32 v10, vcc, 0, v10, vcc
	v_ashrrev_i64 v[9:10], 1, v[9:10]
	v_lshlrev_b64 v[11:12], 3, v[9:10]
	v_add_co_u32_e32 v11, vcc, s16, v11
	v_addc_co_u32_e32 v12, vcc, v8, v12, vcc
	global_load_dwordx2 v[11:12], v[11:12], off
	s_waitcnt vmcnt(0)
	v_subrev_co_u32_e32 v11, vcc, s30, v11
	v_subbrev_co_u32_e32 v12, vcc, 0, v12, vcc
	v_cmp_lt_i64_e32 vcc, v[2:3], v[11:12]
	v_cndmask_b32_e32 v6, v6, v9, vcc
	v_cndmask_b32_e32 v7, v7, v10, vcc
	;; [unrolled: 1-line block ×3, first 2 shown]
	v_add_co_u32_e64 v9, s[2:3], -1, v6
	v_cndmask_b32_e32 v5, v10, v5, vcc
	v_addc_co_u32_e64 v10, s[2:3], -1, v7, s[2:3]
	v_cmp_ge_i64_e32 vcc, v[4:5], v[6:7]
	v_cmp_eq_u64_e64 s[2:3], v[4:5], v[9:10]
	s_or_b64 s[2:3], vcc, s[2:3]
	s_and_b64 s[2:3], exec, s[2:3]
	s_or_b64 s[38:39], s[2:3], s[38:39]
	s_andn2_b64 exec, exec, s[38:39]
	s_cbranch_execnz .LBB116_124
; %bb.125:
	s_or_b64 exec, exec, s[38:39]
.LBB116_126:
	v_lshlrev_b64 v[8:9], 3, v[6:7]
	v_mov_b32_e32 v10, s17
	v_add_co_u32_e32 v8, vcc, s16, v8
	v_addc_co_u32_e32 v9, vcc, v10, v9, vcc
	global_load_dwordx2 v[8:9], v[8:9], off
	v_add_co_u32_e32 v10, vcc, 0x1000, v18
	v_addc_co_u32_e32 v11, vcc, 0, v19, vcc
	global_load_dwordx2 v[10:11], v[10:11], off
	s_waitcnt vmcnt(1)
	v_subrev_co_u32_e32 v8, vcc, s30, v8
	v_subbrev_co_u32_e32 v9, vcc, 0, v9, vcc
	v_cmp_lt_i64_e32 vcc, v[2:3], v[8:9]
	v_cndmask_b32_e32 v5, v7, v5, vcc
	v_cndmask_b32_e32 v4, v6, v4, vcc
	s_waitcnt vmcnt(0)
	v_subrev_co_u32_e32 v14, vcc, s30, v10
	v_subbrev_co_u32_e32 v15, vcc, 0, v11, vcc
	v_cmp_ne_u64_e32 vcc, v[14:15], v[4:5]
	s_and_saveexec_b64 s[38:39], vcc
	s_cbranch_execz .LBB116_140
; %bb.127:
	s_load_dwordx2 s[2:3], s[18:19], 0x0
	s_waitcnt lgkmcnt(0)
	s_sub_u32 s2, s2, s30
	s_subb_u32 s3, s3, 0
	v_cmp_gt_i64_e32 vcc, s[2:3], v[2:3]
	s_and_b64 exec, exec, vcc
	s_cbranch_execz .LBB116_140
; %bb.128:
	v_cmp_gt_i64_e32 vcc, s[8:9], v[14:15]
	v_cmp_le_i64_e64 s[2:3], s[26:27], v[14:15]
	v_lshlrev_b64 v[2:3], 4, v[4:5]
	s_or_b64 s[2:3], vcc, s[2:3]
	s_and_saveexec_b64 s[40:41], s[2:3]
	s_xor_b64 s[2:3], exec, s[40:41]
	s_cbranch_execz .LBB116_134
; %bb.129:
	v_mov_b32_e32 v4, s23
	v_add_co_u32_e32 v2, vcc, s22, v2
	v_addc_co_u32_e32 v3, vcc, v4, v3, vcc
	global_load_dwordx4 v[2:5], v[2:3], off
	v_lshlrev_b64 v[6:7], 4, v[14:15]
	v_mov_b32_e32 v8, s15
	v_add_co_u32_e32 v20, vcc, s14, v6
	v_addc_co_u32_e32 v21, vcc, v8, v7, vcc
	global_load_dwordx2 v[12:13], v[20:21], off
	ds_read_b128 v[6:9], v26 offset:8192
	s_mov_b64 s[40:41], 0
	s_waitcnt vmcnt(1) lgkmcnt(0)
	v_mul_f64 v[10:11], v[4:5], -v[8:9]
	v_fma_f64 v[22:23], v[6:7], v[2:3], v[10:11]
.LBB116_130:                            ; =>This Inner Loop Header: Depth=1
	s_waitcnt vmcnt(0)
	v_add_f64 v[10:11], v[12:13], v[22:23]
	global_atomic_cmpswap_x2 v[10:11], v[20:21], v[10:13], off glc
	s_waitcnt vmcnt(0)
	v_cmp_eq_u64_e32 vcc, v[10:11], v[12:13]
	v_mov_b32_e32 v13, v11
	s_or_b64 s[40:41], vcc, s[40:41]
	v_mov_b32_e32 v12, v10
	s_andn2_b64 exec, exec, s[40:41]
	s_cbranch_execnz .LBB116_130
; %bb.131:
	s_or_b64 exec, exec, s[40:41]
	global_load_dwordx2 v[10:11], v[20:21], off offset:8
	v_mul_f64 v[4:5], v[4:5], v[6:7]
	s_mov_b64 s[40:41], 0
	v_fma_f64 v[2:3], v[8:9], v[2:3], v[4:5]
.LBB116_132:                            ; =>This Inner Loop Header: Depth=1
	s_waitcnt vmcnt(0)
	v_add_f64 v[8:9], v[10:11], v[2:3]
	global_atomic_cmpswap_x2 v[4:5], v[20:21], v[8:11], off offset:8 glc
	s_waitcnt vmcnt(0)
	v_cmp_eq_u64_e32 vcc, v[4:5], v[10:11]
	v_mov_b32_e32 v11, v5
	s_or_b64 s[40:41], vcc, s[40:41]
	v_mov_b32_e32 v10, v4
	s_andn2_b64 exec, exec, s[40:41]
	s_cbranch_execnz .LBB116_132
; %bb.133:
	s_or_b64 exec, exec, s[40:41]
                                        ; implicit-def: $vgpr2_vgpr3
.LBB116_134:
	s_andn2_saveexec_b64 s[2:3], s[2:3]
	s_cbranch_execz .LBB116_140
; %bb.135:
	v_mov_b32_e32 v4, s23
	v_add_co_u32_e32 v2, vcc, s22, v2
	v_addc_co_u32_e32 v3, vcc, v4, v3, vcc
	global_load_dwordx4 v[2:5], v[2:3], off
	ds_read_b128 v[6:9], v26 offset:8192
	v_subrev_u32_e32 v12, s8, v14
	v_mov_b32_e32 v13, 0x4000
	v_lshl_add_u32 v20, v12, 4, v13
	ds_read_b64 v[12:13], v20
	s_mov_b64 s[2:3], 0
	s_waitcnt vmcnt(0) lgkmcnt(1)
	v_mul_f64 v[10:11], v[4:5], -v[8:9]
	v_fma_f64 v[10:11], v[6:7], v[2:3], v[10:11]
.LBB116_136:                            ; =>This Inner Loop Header: Depth=1
	s_waitcnt lgkmcnt(0)
	v_add_f64 v[21:22], v[12:13], v[10:11]
	ds_cmpst_rtn_b64 v[21:22], v20, v[12:13], v[21:22]
	s_waitcnt lgkmcnt(0)
	v_cmp_eq_u64_e32 vcc, v[21:22], v[12:13]
	v_mov_b32_e32 v12, v21
	s_or_b64 s[2:3], vcc, s[2:3]
	v_mov_b32_e32 v13, v22
	s_andn2_b64 exec, exec, s[2:3]
	s_cbranch_execnz .LBB116_136
; %bb.137:
	s_or_b64 exec, exec, s[2:3]
	v_mul_f64 v[4:5], v[4:5], v[6:7]
	s_mov_b64 s[2:3], 0
	v_fma_f64 v[2:3], v[8:9], v[2:3], v[4:5]
	ds_read_b64 v[4:5], v20 offset:8
.LBB116_138:                            ; =>This Inner Loop Header: Depth=1
	s_waitcnt lgkmcnt(0)
	v_add_f64 v[6:7], v[4:5], v[2:3]
	ds_cmpst_rtn_b64 v[6:7], v20, v[4:5], v[6:7] offset:8
	s_waitcnt lgkmcnt(0)
	v_cmp_eq_u64_e32 vcc, v[6:7], v[4:5]
	v_mov_b32_e32 v4, v6
	s_or_b64 s[2:3], vcc, s[2:3]
	v_mov_b32_e32 v5, v7
	s_andn2_b64 exec, exec, s[2:3]
	s_cbranch_execnz .LBB116_138
; %bb.139:
	s_or_b64 exec, exec, s[2:3]
.LBB116_140:
	s_or_b64 exec, exec, s[38:39]
	v_lshlrev_b64 v[2:3], 4, v[14:15]
	v_mov_b32_e32 v4, s23
	v_add_co_u32_e32 v2, vcc, s22, v2
	v_addc_co_u32_e32 v3, vcc, v4, v3, vcc
	global_load_dwordx4 v[2:5], v[2:3], off
	ds_read_b128 v[6:9], v26 offset:8192
	s_and_b64 vcc, exec, s[0:1]
	s_waitcnt vmcnt(0) lgkmcnt(0)
	v_mul_f64 v[10:11], v[4:5], -v[8:9]
	v_mul_f64 v[12:13], v[4:5], v[6:7]
	v_fma_f64 v[4:5], v[6:7], v[2:3], v[10:11]
	v_fma_f64 v[6:7], v[8:9], v[2:3], v[12:13]
	v_mov_b32_e32 v2, s24
	v_mov_b32_e32 v3, s25
	ds_write_b128 v26, v[4:7] offset:8192
	v_mov_b32_e32 v4, s20
	v_mov_b32_e32 v5, s21
	s_cbranch_vccnz .LBB116_144
; %bb.141:
	v_mov_b32_e32 v2, s24
	v_mov_b32_e32 v4, s20
	s_mov_b64 s[2:3], 0
	v_mov_b32_e32 v3, s25
	v_mov_b32_e32 v5, s21
	;; [unrolled: 1-line block ×3, first 2 shown]
.LBB116_142:                            ; =>This Inner Loop Header: Depth=1
	v_add_co_u32_e32 v7, vcc, v4, v2
	v_addc_co_u32_e32 v8, vcc, v5, v3, vcc
	v_lshrrev_b32_e32 v9, 31, v8
	v_add_co_u32_e32 v7, vcc, v7, v9
	v_addc_co_u32_e32 v8, vcc, 0, v8, vcc
	v_ashrrev_i64 v[7:8], 1, v[7:8]
	v_lshlrev_b64 v[9:10], 3, v[7:8]
	v_add_co_u32_e32 v9, vcc, s16, v9
	v_addc_co_u32_e32 v10, vcc, v6, v10, vcc
	global_load_dwordx2 v[9:10], v[9:10], off
	s_waitcnt vmcnt(0)
	v_subrev_co_u32_e32 v9, vcc, s30, v9
	v_subbrev_co_u32_e32 v10, vcc, 0, v10, vcc
	v_cmp_lt_i64_e32 vcc, v[16:17], v[9:10]
	v_cndmask_b32_e32 v4, v4, v7, vcc
	v_cndmask_b32_e32 v5, v5, v8, vcc
	;; [unrolled: 1-line block ×3, first 2 shown]
	v_add_co_u32_e64 v7, s[0:1], -1, v4
	v_cndmask_b32_e32 v3, v8, v3, vcc
	v_addc_co_u32_e64 v8, s[0:1], -1, v5, s[0:1]
	v_cmp_ge_i64_e32 vcc, v[2:3], v[4:5]
	v_cmp_eq_u64_e64 s[0:1], v[2:3], v[7:8]
	s_or_b64 s[0:1], vcc, s[0:1]
	s_and_b64 s[0:1], exec, s[0:1]
	s_or_b64 s[2:3], s[0:1], s[2:3]
	s_andn2_b64 exec, exec, s[2:3]
	s_cbranch_execnz .LBB116_142
; %bb.143:
	s_or_b64 exec, exec, s[2:3]
.LBB116_144:
	v_lshlrev_b64 v[6:7], 3, v[4:5]
	v_mov_b32_e32 v8, s17
	v_add_co_u32_e32 v6, vcc, s16, v6
	v_addc_co_u32_e32 v7, vcc, v8, v7, vcc
	global_load_dwordx2 v[6:7], v[6:7], off
	v_add_co_u32_e32 v8, vcc, 0x1000, v18
	v_addc_co_u32_e32 v9, vcc, 0, v19, vcc
	global_load_dwordx2 v[8:9], v[8:9], off offset:2048
	s_waitcnt vmcnt(1)
	v_subrev_co_u32_e32 v6, vcc, s30, v6
	v_subbrev_co_u32_e32 v7, vcc, 0, v7, vcc
	v_cmp_lt_i64_e32 vcc, v[16:17], v[6:7]
	v_cndmask_b32_e32 v3, v5, v3, vcc
	v_cndmask_b32_e32 v2, v4, v2, vcc
	s_waitcnt vmcnt(0)
	v_subrev_co_u32_e32 v14, vcc, s30, v8
	v_subbrev_co_u32_e32 v15, vcc, 0, v9, vcc
	v_cmp_ne_u64_e32 vcc, v[14:15], v[2:3]
	s_and_saveexec_b64 s[2:3], vcc
	s_cbranch_execz .LBB116_158
; %bb.145:
	s_load_dwordx2 s[0:1], s[18:19], 0x0
	s_waitcnt lgkmcnt(0)
	s_sub_u32 s0, s0, s30
	s_subb_u32 s1, s1, 0
	v_cmp_gt_i64_e32 vcc, s[0:1], v[16:17]
	s_and_b64 exec, exec, vcc
	s_cbranch_execz .LBB116_158
; %bb.146:
	v_cmp_gt_i64_e32 vcc, s[8:9], v[14:15]
	v_cmp_le_i64_e64 s[0:1], s[26:27], v[14:15]
	v_lshlrev_b64 v[2:3], 4, v[2:3]
	s_or_b64 s[0:1], vcc, s[0:1]
	s_and_saveexec_b64 s[18:19], s[0:1]
	s_xor_b64 s[0:1], exec, s[18:19]
	s_cbranch_execz .LBB116_152
; %bb.147:
	v_mov_b32_e32 v4, s23
	v_add_co_u32_e32 v2, vcc, s22, v2
	v_addc_co_u32_e32 v3, vcc, v4, v3, vcc
	global_load_dwordx4 v[2:5], v[2:3], off
	v_lshlrev_b64 v[6:7], 4, v[14:15]
	v_mov_b32_e32 v8, s15
	v_add_co_u32_e32 v16, vcc, s14, v6
	v_addc_co_u32_e32 v17, vcc, v8, v7, vcc
	global_load_dwordx2 v[12:13], v[16:17], off
	ds_read_b128 v[6:9], v26 offset:12288
	s_mov_b64 s[18:19], 0
	s_waitcnt vmcnt(1) lgkmcnt(0)
	v_mul_f64 v[10:11], v[4:5], -v[8:9]
	v_fma_f64 v[18:19], v[6:7], v[2:3], v[10:11]
.LBB116_148:                            ; =>This Inner Loop Header: Depth=1
	s_waitcnt vmcnt(0)
	v_add_f64 v[10:11], v[12:13], v[18:19]
	global_atomic_cmpswap_x2 v[10:11], v[16:17], v[10:13], off glc
	s_waitcnt vmcnt(0)
	v_cmp_eq_u64_e32 vcc, v[10:11], v[12:13]
	v_mov_b32_e32 v13, v11
	s_or_b64 s[18:19], vcc, s[18:19]
	v_mov_b32_e32 v12, v10
	s_andn2_b64 exec, exec, s[18:19]
	s_cbranch_execnz .LBB116_148
; %bb.149:
	s_or_b64 exec, exec, s[18:19]
	global_load_dwordx2 v[10:11], v[16:17], off offset:8
	v_mul_f64 v[4:5], v[4:5], v[6:7]
	s_mov_b64 s[18:19], 0
	v_fma_f64 v[2:3], v[8:9], v[2:3], v[4:5]
.LBB116_150:                            ; =>This Inner Loop Header: Depth=1
	s_waitcnt vmcnt(0)
	v_add_f64 v[8:9], v[10:11], v[2:3]
	global_atomic_cmpswap_x2 v[4:5], v[16:17], v[8:11], off offset:8 glc
	s_waitcnt vmcnt(0)
	v_cmp_eq_u64_e32 vcc, v[4:5], v[10:11]
	v_mov_b32_e32 v11, v5
	s_or_b64 s[18:19], vcc, s[18:19]
	v_mov_b32_e32 v10, v4
	s_andn2_b64 exec, exec, s[18:19]
	s_cbranch_execnz .LBB116_150
; %bb.151:
	s_or_b64 exec, exec, s[18:19]
                                        ; implicit-def: $vgpr2_vgpr3
.LBB116_152:
	s_andn2_saveexec_b64 s[0:1], s[0:1]
	s_cbranch_execz .LBB116_158
; %bb.153:
	v_mov_b32_e32 v4, s23
	v_add_co_u32_e32 v2, vcc, s22, v2
	v_addc_co_u32_e32 v3, vcc, v4, v3, vcc
	global_load_dwordx4 v[2:5], v[2:3], off
	ds_read_b128 v[6:9], v26 offset:12288
	v_subrev_u32_e32 v12, s8, v14
	v_mov_b32_e32 v13, 0x4000
	v_lshl_add_u32 v16, v12, 4, v13
	ds_read_b64 v[12:13], v16
	s_mov_b64 s[0:1], 0
	s_waitcnt vmcnt(0) lgkmcnt(1)
	v_mul_f64 v[10:11], v[4:5], -v[8:9]
	v_fma_f64 v[10:11], v[6:7], v[2:3], v[10:11]
.LBB116_154:                            ; =>This Inner Loop Header: Depth=1
	s_waitcnt lgkmcnt(0)
	v_add_f64 v[17:18], v[12:13], v[10:11]
	ds_cmpst_rtn_b64 v[17:18], v16, v[12:13], v[17:18]
	s_waitcnt lgkmcnt(0)
	v_cmp_eq_u64_e32 vcc, v[17:18], v[12:13]
	v_mov_b32_e32 v12, v17
	s_or_b64 s[0:1], vcc, s[0:1]
	v_mov_b32_e32 v13, v18
	s_andn2_b64 exec, exec, s[0:1]
	s_cbranch_execnz .LBB116_154
; %bb.155:
	s_or_b64 exec, exec, s[0:1]
	v_mul_f64 v[4:5], v[4:5], v[6:7]
	s_mov_b64 s[0:1], 0
	v_fma_f64 v[2:3], v[8:9], v[2:3], v[4:5]
	ds_read_b64 v[4:5], v16 offset:8
.LBB116_156:                            ; =>This Inner Loop Header: Depth=1
	s_waitcnt lgkmcnt(0)
	v_add_f64 v[6:7], v[4:5], v[2:3]
	ds_cmpst_rtn_b64 v[6:7], v16, v[4:5], v[6:7] offset:8
	s_waitcnt lgkmcnt(0)
	v_cmp_eq_u64_e32 vcc, v[6:7], v[4:5]
	v_mov_b32_e32 v4, v6
	s_or_b64 s[0:1], vcc, s[0:1]
	v_mov_b32_e32 v5, v7
	s_andn2_b64 exec, exec, s[0:1]
	s_cbranch_execnz .LBB116_156
; %bb.157:
	s_or_b64 exec, exec, s[0:1]
.LBB116_158:
	s_or_b64 exec, exec, s[2:3]
	v_lshlrev_b64 v[2:3], 4, v[14:15]
	v_mov_b32_e32 v4, s23
	v_add_co_u32_e32 v2, vcc, s22, v2
	v_addc_co_u32_e32 v3, vcc, v4, v3, vcc
	global_load_dwordx4 v[2:5], v[2:3], off
	ds_read_b128 v[6:9], v26 offset:12288
	s_waitcnt vmcnt(0) lgkmcnt(0)
	v_mul_f64 v[10:11], v[4:5], -v[8:9]
	v_mul_f64 v[12:13], v[4:5], v[6:7]
	v_fma_f64 v[4:5], v[6:7], v[2:3], v[10:11]
	v_fma_f64 v[6:7], v[8:9], v[2:3], v[12:13]
	ds_write_b128 v26, v[4:7] offset:12288
.LBB116_159:
	s_or_b64 exec, exec, s[4:5]
	v_mov_b32_e32 v2, s10
	v_mov_b32_e32 v3, s11
	v_cmp_lt_i64_e32 vcc, s[26:27], v[2:3]
	s_waitcnt lgkmcnt(0)
	s_and_b64 s[0:1], vcc, exec
	s_cselect_b32 s10, s26, s10
	s_cselect_b32 s0, s27, s11
	s_sub_u32 s2, s10, s28
	s_subb_u32 s3, s0, s29
	v_cmp_gt_i64_e32 vcc, s[2:3], v[0:1]
	s_barrier
	s_and_saveexec_b64 s[0:1], vcc
	s_cbranch_execz .LBB116_166
; %bb.160:
	s_lshl_b64 s[4:5], s[8:9], 4
	s_add_u32 s11, s14, s4
	s_addc_u32 s8, s15, s5
	v_mov_b32_e32 v11, v1
	s_mov_b64 s[4:5], 0
	v_mov_b32_e32 v14, s8
	v_mov_b32_e32 v15, 0x4000
	;; [unrolled: 1-line block ×3, first 2 shown]
.LBB116_161:                            ; =>This Loop Header: Depth=1
                                        ;     Child Loop BB116_162 Depth 2
                                        ;     Child Loop BB116_164 Depth 2
	v_lshlrev_b64 v[2:3], 4, v[10:11]
	s_mov_b64 s[8:9], 0
	v_add_co_u32_e32 v12, vcc, s11, v2
	v_addc_co_u32_e32 v13, vcc, v14, v3, vcc
	global_load_dwordx2 v[8:9], v[12:13], off
	v_lshl_add_u32 v2, v10, 4, v15
	ds_read2_b64 v[2:5], v2 offset1:1
.LBB116_162:                            ;   Parent Loop BB116_161 Depth=1
                                        ; =>  This Inner Loop Header: Depth=2
	s_waitcnt vmcnt(0) lgkmcnt(0)
	v_add_f64 v[6:7], v[8:9], v[2:3]
	global_atomic_cmpswap_x2 v[6:7], v[12:13], v[6:9], off glc
	s_waitcnt vmcnt(0)
	v_cmp_eq_u64_e32 vcc, v[6:7], v[8:9]
	v_mov_b32_e32 v9, v7
	s_or_b64 s[8:9], vcc, s[8:9]
	v_mov_b32_e32 v8, v6
	s_andn2_b64 exec, exec, s[8:9]
	s_cbranch_execnz .LBB116_162
; %bb.163:                              ;   in Loop: Header=BB116_161 Depth=1
	s_or_b64 exec, exec, s[8:9]
	global_load_dwordx2 v[8:9], v[12:13], off offset:8
	s_mov_b64 s[8:9], 0
.LBB116_164:                            ;   Parent Loop BB116_161 Depth=1
                                        ; =>  This Inner Loop Header: Depth=2
	s_waitcnt vmcnt(0)
	v_add_f64 v[6:7], v[8:9], v[4:5]
	global_atomic_cmpswap_x2 v[2:3], v[12:13], v[6:9], off offset:8 glc
	s_waitcnt vmcnt(0)
	v_cmp_eq_u64_e32 vcc, v[2:3], v[8:9]
	v_mov_b32_e32 v9, v3
	s_or_b64 s[8:9], vcc, s[8:9]
	v_mov_b32_e32 v8, v2
	s_andn2_b64 exec, exec, s[8:9]
	s_cbranch_execnz .LBB116_164
; %bb.165:                              ;   in Loop: Header=BB116_161 Depth=1
	s_or_b64 exec, exec, s[8:9]
	v_add_co_u32_e32 v10, vcc, 0x100, v10
	v_addc_co_u32_e32 v11, vcc, 0, v11, vcc
	v_cmp_le_i64_e32 vcc, s[2:3], v[10:11]
	s_or_b64 s[4:5], vcc, s[4:5]
	s_andn2_b64 exec, exec, s[4:5]
	s_cbranch_execnz .LBB116_161
.LBB116_166:
	s_or_b64 exec, exec, s[0:1]
	s_add_i32 s0, s36, -1
	s_ashr_i32 s1, s0, 1
	s_or_b32 s0, s1, s0
	s_ashr_i32 s1, s0, 2
	s_or_b32 s0, s1, s0
	;; [unrolled: 2-line block ×5, first 2 shown]
	s_add_i32 s0, s0, 1
	s_ashr_i32 s3, s0, 1
	v_mov_b32_e32 v2, s25
	v_add_co_u32_e32 v10, vcc, s24, v0
	v_addc_co_u32_e32 v11, vcc, 0, v2, vcc
	s_cmp_gt_i32 s3, 1
	s_mov_b64 s[0:1], -1
	s_barrier
	s_cbranch_scc1 .LBB116_179
; %bb.167:
	v_cmp_gt_i64_e32 vcc, s[26:27], v[10:11]
	s_and_saveexec_b64 s[0:1], vcc
	s_cbranch_execz .LBB116_178
; %bb.168:
	s_sub_i32 s4, s10, s26
	s_lshl_b32 s4, s4, 4
	s_add_i32 s13, s4, 0x4000
	s_lshl_b32 s4, s6, 4
	v_mov_b32_e32 v13, v11
	s_sub_i32 s18, 0, s4
	s_mov_b64 s[4:5], 0
	v_mov_b32_e32 v18, s17
	v_mov_b32_e32 v19, s15
	;; [unrolled: 1-line block ×3, first 2 shown]
.LBB116_169:                            ; =>This Loop Header: Depth=1
                                        ;     Child Loop BB116_171 Depth 2
                                        ;     Child Loop BB116_174 Depth 2
	;; [unrolled: 1-line block ×3, first 2 shown]
	v_lshlrev_b64 v[2:3], 3, v[12:13]
	v_mov_b32_e32 v14, 0
	v_add_co_u32_e32 v2, vcc, s16, v2
	v_addc_co_u32_e32 v3, vcc, v18, v3, vcc
	global_load_dwordx4 v[2:5], v[2:3], off
	v_mov_b32_e32 v6, 0
	v_mov_b32_e32 v15, 0
	;; [unrolled: 1-line block ×3, first 2 shown]
	s_waitcnt vmcnt(0)
	v_cmp_lt_i64_e32 vcc, v[2:3], v[4:5]
	s_and_saveexec_b64 s[8:9], vcc
	s_cbranch_execz .LBB116_173
; %bb.170:                              ;   in Loop: Header=BB116_169 Depth=1
	v_mov_b32_e32 v6, s7
	v_subrev_co_u32_e32 v4, vcc, s6, v4
	v_subb_co_u32_e32 v5, vcc, v5, v6, vcc
	v_subrev_co_u32_e32 v8, vcc, s6, v2
	v_subb_co_u32_e32 v9, vcc, v3, v6, vcc
	v_mov_b32_e32 v14, 0
	v_mov_b32_e32 v6, 0
	v_lshl_add_u32 v2, v2, 4, s18
	v_mov_b32_e32 v15, 0
	v_mov_b32_e32 v7, 0
	s_mov_b64 s[10:11], 0
.LBB116_171:                            ;   Parent Loop BB116_169 Depth=1
                                        ; =>  This Inner Loop Header: Depth=2
	ds_read_b128 v[20:23], v2
	v_add_co_u32_e32 v8, vcc, 1, v8
	v_addc_co_u32_e32 v9, vcc, 0, v9, vcc
	s_waitcnt lgkmcnt(0)
	v_add_f64 v[6:7], v[6:7], v[20:21]
	v_add_f64 v[14:15], v[14:15], v[22:23]
	v_cmp_ge_i64_e32 vcc, v[8:9], v[4:5]
	v_add_u32_e32 v2, 16, v2
	s_or_b64 s[10:11], vcc, s[10:11]
	s_andn2_b64 exec, exec, s[10:11]
	s_cbranch_execnz .LBB116_171
; %bb.172:                              ;   in Loop: Header=BB116_169 Depth=1
	s_or_b64 exec, exec, s[10:11]
.LBB116_173:                            ;   in Loop: Header=BB116_169 Depth=1
	s_or_b64 exec, exec, s[8:9]
	v_lshlrev_b64 v[2:3], 4, v[12:13]
	s_mov_b64 s[8:9], 0
	v_add_co_u32_e32 v16, vcc, s14, v2
	v_addc_co_u32_e32 v17, vcc, v19, v3, vcc
	global_load_dwordx2 v[8:9], v[16:17], off
	v_lshl_add_u32 v2, v12, 4, s13
	ds_read2_b64 v[2:5], v2 offset1:1
	s_waitcnt lgkmcnt(0)
	v_add_f64 v[2:3], v[6:7], v[2:3]
.LBB116_174:                            ;   Parent Loop BB116_169 Depth=1
                                        ; =>  This Inner Loop Header: Depth=2
	s_waitcnt vmcnt(0)
	v_add_f64 v[6:7], v[8:9], v[2:3]
	global_atomic_cmpswap_x2 v[6:7], v[16:17], v[6:9], off glc
	s_waitcnt vmcnt(0)
	v_cmp_eq_u64_e32 vcc, v[6:7], v[8:9]
	v_mov_b32_e32 v9, v7
	s_or_b64 s[8:9], vcc, s[8:9]
	v_mov_b32_e32 v8, v6
	s_andn2_b64 exec, exec, s[8:9]
	s_cbranch_execnz .LBB116_174
; %bb.175:                              ;   in Loop: Header=BB116_169 Depth=1
	s_or_b64 exec, exec, s[8:9]
	global_load_dwordx2 v[6:7], v[16:17], off offset:8
	v_add_f64 v[2:3], v[14:15], v[4:5]
	s_mov_b64 s[8:9], 0
.LBB116_176:                            ;   Parent Loop BB116_169 Depth=1
                                        ; =>  This Inner Loop Header: Depth=2
	s_waitcnt vmcnt(0)
	v_add_f64 v[4:5], v[6:7], v[2:3]
	global_atomic_cmpswap_x2 v[4:5], v[16:17], v[4:7], off offset:8 glc
	s_waitcnt vmcnt(0)
	v_cmp_eq_u64_e32 vcc, v[4:5], v[6:7]
	v_mov_b32_e32 v7, v5
	s_or_b64 s[8:9], vcc, s[8:9]
	v_mov_b32_e32 v6, v4
	s_andn2_b64 exec, exec, s[8:9]
	s_cbranch_execnz .LBB116_176
; %bb.177:                              ;   in Loop: Header=BB116_169 Depth=1
	s_or_b64 exec, exec, s[8:9]
	v_add_co_u32_e32 v12, vcc, s12, v12
	v_addc_co_u32_e32 v13, vcc, 0, v13, vcc
	v_cmp_le_i64_e32 vcc, s[26:27], v[12:13]
	s_or_b64 s[4:5], vcc, s[4:5]
	s_andn2_b64 exec, exec, s[4:5]
	s_cbranch_execnz .LBB116_169
.LBB116_178:
	s_or_b64 exec, exec, s[0:1]
	s_mov_b64 s[0:1], 0
.LBB116_179:
	s_andn2_b64 vcc, exec, s[0:1]
	s_cbranch_vccnz .LBB116_199
; %bb.180:
	v_cvt_f32_u32_e32 v2, s3
	s_sub_i32 s8, 0, s3
	v_mov_b32_e32 v6, s35
	v_rcp_iflag_f32_e32 v2, v2
	v_mul_f32_e32 v2, 0x4f7ffffe, v2
	v_cvt_u32_f32_e32 v2, v2
	v_mul_lo_u32 v3, s8, v2
	v_mul_hi_u32 v3, v2, v3
	v_add_u32_e32 v2, v2, v3
	v_mul_hi_u32 v2, v0, v2
	v_mov_b32_e32 v3, 0
	v_mul_lo_u32 v4, v2, s3
	v_add_u32_e32 v5, 1, v2
	v_sub_u32_e32 v4, v0, v4
	v_cmp_le_u32_e32 vcc, s3, v4
	v_cndmask_b32_e32 v2, v2, v5, vcc
	v_subrev_u32_e32 v5, s3, v4
	v_cndmask_b32_e32 v4, v4, v5, vcc
	v_add_u32_e32 v5, 1, v2
	v_cmp_le_u32_e32 vcc, s3, v4
	v_cndmask_b32_e32 v2, v2, v5, vcc
	v_lshlrev_b64 v[4:5], 3, v[2:3]
	v_add_co_u32_e32 v4, vcc, s34, v4
	v_addc_co_u32_e32 v5, vcc, v6, v5, vcc
	global_load_dwordx4 v[6:9], v[4:5], off
	v_mov_b32_e32 v4, s7
	v_mov_b32_e32 v5, s7
	s_waitcnt vmcnt(0)
	v_subrev_co_u32_e32 v6, vcc, s6, v6
	v_subb_co_u32_e32 v7, vcc, v7, v4, vcc
	v_subrev_co_u32_e32 v15, vcc, s6, v8
	v_subb_co_u32_e32 v16, vcc, v9, v5, vcc
	v_sub_co_u32_e32 v12, vcc, v15, v6
	v_subb_co_u32_e32 v5, vcc, v16, v7, vcc
	v_mov_b32_e32 v4, v3
	v_cmp_ne_u64_e32 vcc, 0, v[4:5]
                                        ; implicit-def: $vgpr8_vgpr9
	s_and_saveexec_b64 s[0:1], vcc
	s_xor_b64 s[4:5], exec, s[0:1]
	s_cbranch_execz .LBB116_182
; %bb.181:
	s_add_u32 s0, s3, 0
	s_addc_u32 s1, 0, 0
	s_xor_b64 s[6:7], s[0:1], 0
	v_cvt_f32_u32_e32 v4, s6
	v_cvt_f32_u32_e32 v8, s7
	s_sub_u32 s9, 0, s6
	s_subb_u32 s10, 0, s7
	v_ashrrev_i32_e32 v13, 31, v5
	v_madmk_f32 v4, v8, 0x4f800000, v4
	v_rcp_f32_e32 v4, v4
	v_mul_f32_e32 v4, 0x5f7ffffc, v4
	v_mul_f32_e32 v8, 0x2f800000, v4
	v_trunc_f32_e32 v8, v8
	v_madmk_f32 v4, v8, 0xcf800000, v4
	v_cvt_u32_f32_e32 v8, v8
	v_cvt_u32_f32_e32 v4, v4
	v_readfirstlane_b32 s11, v8
	v_readfirstlane_b32 s0, v4
	s_mul_i32 s1, s9, s11
	s_mul_hi_u32 s13, s9, s0
	s_mul_i32 s12, s10, s0
	s_add_i32 s1, s13, s1
	s_mul_i32 s16, s9, s0
	s_add_i32 s1, s1, s12
	s_mul_i32 s13, s0, s1
	s_mul_hi_u32 s17, s0, s16
	s_mul_hi_u32 s12, s0, s1
	s_add_u32 s13, s17, s13
	s_addc_u32 s12, 0, s12
	s_mul_hi_u32 s18, s11, s16
	s_mul_i32 s16, s11, s16
	s_add_u32 s13, s13, s16
	s_mul_hi_u32 s17, s11, s1
	s_addc_u32 s12, s12, s18
	s_addc_u32 s13, s17, 0
	s_mul_i32 s1, s11, s1
	s_add_u32 s1, s12, s1
	s_addc_u32 s12, 0, s13
	s_add_u32 s13, s0, s1
	s_cselect_b64 s[0:1], -1, 0
	s_cmp_lg_u64 s[0:1], 0
	s_addc_u32 s11, s11, s12
	s_mul_i32 s0, s9, s11
	s_mul_hi_u32 s1, s9, s13
	s_add_i32 s0, s1, s0
	s_mul_i32 s10, s10, s13
	s_add_i32 s0, s0, s10
	s_mul_i32 s9, s9, s13
	s_mul_hi_u32 s10, s11, s9
	s_mul_i32 s12, s11, s9
	s_mul_i32 s17, s13, s0
	s_mul_hi_u32 s9, s13, s9
	s_mul_hi_u32 s16, s13, s0
	s_add_u32 s9, s9, s17
	s_addc_u32 s16, 0, s16
	s_add_u32 s9, s9, s12
	s_mul_hi_u32 s1, s11, s0
	s_addc_u32 s9, s16, s10
	s_addc_u32 s1, s1, 0
	s_mul_i32 s0, s11, s0
	s_add_u32 s0, s9, s0
	s_addc_u32 s9, 0, s1
	s_add_u32 s10, s13, s0
	s_cselect_b64 s[0:1], -1, 0
	s_cmp_lg_u64 s[0:1], 0
	v_add_co_u32_e32 v4, vcc, v12, v13
	s_addc_u32 s9, s11, s9
	v_xor_b32_e32 v12, v4, v13
	v_addc_co_u32_e32 v8, vcc, v5, v13, vcc
	v_mad_u64_u32 v[4:5], s[0:1], v12, s9, 0
	v_mul_hi_u32 v9, v12, s10
	v_xor_b32_e32 v14, v8, v13
	v_add_co_u32_e32 v17, vcc, v9, v4
	v_addc_co_u32_e32 v18, vcc, 0, v5, vcc
	v_mad_u64_u32 v[4:5], s[0:1], v14, s10, 0
	v_mad_u64_u32 v[8:9], s[0:1], v14, s9, 0
	v_add_co_u32_e32 v4, vcc, v17, v4
	v_addc_co_u32_e32 v4, vcc, v18, v5, vcc
	v_addc_co_u32_e32 v5, vcc, 0, v9, vcc
	v_add_co_u32_e32 v8, vcc, v4, v8
	v_addc_co_u32_e32 v9, vcc, 0, v5, vcc
	v_mul_lo_u32 v17, s7, v8
	v_mul_lo_u32 v18, s6, v9
	v_mad_u64_u32 v[4:5], s[0:1], s6, v8, 0
	v_add3_u32 v5, v5, v18, v17
	v_sub_u32_e32 v17, v14, v5
	v_mov_b32_e32 v18, s7
	v_sub_co_u32_e32 v4, vcc, v12, v4
	v_subb_co_u32_e64 v12, s[0:1], v17, v18, vcc
	v_subrev_co_u32_e64 v17, s[0:1], s6, v4
	v_subbrev_co_u32_e64 v12, s[0:1], 0, v12, s[0:1]
	v_cmp_le_u32_e64 s[0:1], s7, v12
	v_cndmask_b32_e64 v18, 0, -1, s[0:1]
	v_cmp_le_u32_e64 s[0:1], s6, v17
	v_cndmask_b32_e64 v17, 0, -1, s[0:1]
	v_cmp_eq_u32_e64 s[0:1], s7, v12
	v_cndmask_b32_e64 v12, v18, v17, s[0:1]
	v_add_co_u32_e64 v17, s[0:1], 2, v8
	v_subb_co_u32_e32 v5, vcc, v14, v5, vcc
	v_addc_co_u32_e64 v18, s[0:1], 0, v9, s[0:1]
	v_cmp_le_u32_e32 vcc, s7, v5
	v_add_co_u32_e64 v19, s[0:1], 1, v8
	v_cndmask_b32_e64 v14, 0, -1, vcc
	v_cmp_le_u32_e32 vcc, s6, v4
	v_addc_co_u32_e64 v20, s[0:1], 0, v9, s[0:1]
	v_cndmask_b32_e64 v4, 0, -1, vcc
	v_cmp_eq_u32_e32 vcc, s7, v5
	v_cmp_ne_u32_e64 s[0:1], 0, v12
	v_cndmask_b32_e32 v4, v14, v4, vcc
	v_cmp_ne_u32_e32 vcc, 0, v4
	v_cndmask_b32_e64 v5, v19, v17, s[0:1]
	v_cndmask_b32_e64 v12, v20, v18, s[0:1]
	v_cndmask_b32_e32 v5, v8, v5, vcc
	v_cndmask_b32_e32 v4, v9, v12, vcc
	v_xor_b32_e32 v5, v5, v13
	v_xor_b32_e32 v4, v4, v13
	v_sub_co_u32_e32 v8, vcc, v5, v13
	v_subb_co_u32_e32 v9, vcc, v4, v13, vcc
                                        ; implicit-def: $vgpr12
.LBB116_182:
	s_andn2_saveexec_b64 s[0:1], s[4:5]
	s_cbranch_execz .LBB116_184
; %bb.183:
	v_cvt_f32_u32_e32 v4, s3
	v_rcp_iflag_f32_e32 v4, v4
	v_mul_f32_e32 v4, 0x4f7ffffe, v4
	v_cvt_u32_f32_e32 v4, v4
	v_mul_lo_u32 v5, s8, v4
	v_mul_hi_u32 v5, v4, v5
	v_add_u32_e32 v4, v4, v5
	v_mul_hi_u32 v4, v12, v4
	v_mul_lo_u32 v5, v4, s3
	v_add_u32_e32 v8, 1, v4
	v_sub_u32_e32 v5, v12, v5
	v_subrev_u32_e32 v9, s3, v5
	v_cmp_le_u32_e32 vcc, s3, v5
	v_cndmask_b32_e32 v5, v5, v9, vcc
	v_cndmask_b32_e32 v4, v4, v8, vcc
	v_add_u32_e32 v8, 1, v4
	v_cmp_le_u32_e32 vcc, s3, v5
	v_cndmask_b32_e32 v8, v4, v8, vcc
	v_mov_b32_e32 v9, 0
.LBB116_184:
	s_or_b64 exec, exec, s[0:1]
	v_cmp_gt_i64_e32 vcc, s[28:29], v[2:3]
	v_mov_b32_e32 v4, 0
	v_mov_b32_e32 v2, 0
	;; [unrolled: 1-line block ×4, first 2 shown]
	s_and_saveexec_b64 s[0:1], vcc
	s_cbranch_execz .LBB116_192
; %bb.185:
	s_add_i32 s4, s3, -1
	v_and_b32_e32 v12, s4, v0
	v_cmp_lt_i64_e32 vcc, 0, v[8:9]
	v_mov_b32_e32 v4, 0
	v_mov_b32_e32 v2, 0
	s_mov_b64 s[4:5], 0
	v_mov_b32_e32 v5, 0
	v_mov_b32_e32 v3, 0
	v_lshlrev_b32_e32 v17, 4, v12
	s_and_saveexec_b64 s[6:7], vcc
	s_cbranch_execz .LBB116_189
; %bb.186:
	v_mov_b32_e32 v4, 0
	v_mov_b32_e32 v5, 0
	;; [unrolled: 1-line block ×4, first 2 shown]
	v_lshl_add_u32 v18, v6, 4, v17
	s_lshl_b32 s8, s3, 4
	v_mov_b32_e32 v13, v8
	v_mov_b32_e32 v3, v5
.LBB116_187:                            ; =>This Inner Loop Header: Depth=1
	ds_read_b128 v[19:22], v18
	v_add_co_u32_e32 v13, vcc, -1, v13
	v_addc_co_u32_e32 v14, vcc, -1, v14, vcc
	s_waitcnt lgkmcnt(0)
	v_add_f64 v[2:3], v[2:3], v[19:20]
	v_add_f64 v[4:5], v[4:5], v[21:22]
	v_cmp_eq_u64_e32 vcc, 0, v[13:14]
	v_add_u32_e32 v18, s8, v18
	s_or_b64 s[4:5], vcc, s[4:5]
	s_andn2_b64 exec, exec, s[4:5]
	s_cbranch_execnz .LBB116_187
; %bb.188:
	s_or_b64 exec, exec, s[4:5]
.LBB116_189:
	s_or_b64 exec, exec, s[6:7]
	v_mad_u64_u32 v[6:7], s[4:5], v8, s3, v[6:7]
	v_mov_b32_e32 v13, 0
	v_mad_u64_u32 v[7:8], s[4:5], v9, s3, v[7:8]
	v_sub_co_u32_e32 v8, vcc, v15, v6
	v_subb_co_u32_e32 v9, vcc, v16, v7, vcc
	v_cmp_gt_i64_e32 vcc, v[8:9], v[12:13]
	s_and_saveexec_b64 s[4:5], vcc
	s_cbranch_execz .LBB116_191
; %bb.190:
	v_lshl_add_u32 v6, v6, 4, v17
	ds_read_b128 v[6:9], v6
	s_waitcnt lgkmcnt(0)
	v_add_f64 v[2:3], v[2:3], v[6:7]
	v_add_f64 v[4:5], v[4:5], v[8:9]
.LBB116_191:
	s_or_b64 exec, exec, s[4:5]
.LBB116_192:
	s_or_b64 exec, exec, s[0:1]
	v_cmp_gt_i64_e32 vcc, s[28:29], v[0:1]
	s_barrier
	ds_write_b128 v26, v[2:5]
	s_waitcnt lgkmcnt(0)
	s_barrier
	s_and_b64 exec, exec, vcc
	s_cbranch_execz .LBB116_199
; %bb.193:
	v_mul_lo_u32 v1, s3, v0
	v_mov_b32_e32 v8, 0
	v_mov_b32_e32 v4, 0
	v_mov_b32_e32 v9, 0
	v_mov_b32_e32 v5, 0
	v_lshlrev_b32_e32 v1, 4, v1
.LBB116_194:                            ; =>This Inner Loop Header: Depth=1
	ds_read_b128 v[12:15], v1
	s_add_i32 s3, s3, -1
	s_cmp_eq_u32 s3, 0
	v_add_u32_e32 v1, 16, v1
	s_waitcnt lgkmcnt(0)
	v_add_f64 v[4:5], v[4:5], v[12:13]
	v_add_f64 v[8:9], v[8:9], v[14:15]
	s_cbranch_scc0 .LBB116_194
; %bb.195:
	v_lshlrev_b64 v[1:2], 4, v[10:11]
	v_mov_b32_e32 v3, s15
	v_add_co_u32_e32 v10, vcc, s14, v1
	v_addc_co_u32_e32 v11, vcc, v3, v2, vcc
	global_load_dwordx2 v[6:7], v[10:11], off
	s_lshl_b32 s0, s2, 4
	s_addk_i32 s0, 0x4000
	v_lshl_add_u32 v0, v0, 4, s0
	ds_read2_b64 v[0:3], v0 offset1:1
	s_mov_b64 s[0:1], 0
	s_waitcnt lgkmcnt(0)
	v_add_f64 v[0:1], v[4:5], v[0:1]
.LBB116_196:                            ; =>This Inner Loop Header: Depth=1
	s_waitcnt vmcnt(0)
	v_add_f64 v[4:5], v[6:7], v[0:1]
	global_atomic_cmpswap_x2 v[4:5], v[10:11], v[4:7], off glc
	s_waitcnt vmcnt(0)
	v_cmp_eq_u64_e32 vcc, v[4:5], v[6:7]
	v_mov_b32_e32 v7, v5
	s_or_b64 s[0:1], vcc, s[0:1]
	v_mov_b32_e32 v6, v4
	s_andn2_b64 exec, exec, s[0:1]
	s_cbranch_execnz .LBB116_196
; %bb.197:
	s_or_b64 exec, exec, s[0:1]
	global_load_dwordx2 v[4:5], v[10:11], off offset:8
	v_add_f64 v[0:1], v[8:9], v[2:3]
	s_mov_b64 s[0:1], 0
.LBB116_198:                            ; =>This Inner Loop Header: Depth=1
	s_waitcnt vmcnt(0)
	v_add_f64 v[2:3], v[4:5], v[0:1]
	global_atomic_cmpswap_x2 v[2:3], v[10:11], v[2:5], off offset:8 glc
	s_waitcnt vmcnt(0)
	v_cmp_eq_u64_e32 vcc, v[2:3], v[4:5]
	v_mov_b32_e32 v5, v3
	s_or_b64 s[0:1], vcc, s[0:1]
	v_mov_b32_e32 v4, v2
	s_andn2_b64 exec, exec, s[0:1]
	s_cbranch_execnz .LBB116_198
.LBB116_199:
	s_endpgm
	.section	.rodata,"a",@progbits
	.p2align	6, 0x0
	.amdhsa_kernel _ZN9rocsparseL27csrmvn_symm_adaptive_kernelIll21rocsparse_complex_numIfES1_IdES3_S3_EEvbT_S4_PKS4_NS_24const_host_device_scalarIT4_EES6_PKT0_PKT1_PKT2_S9_PT3_21rocsparse_index_base_b
		.amdhsa_group_segment_fixed_size 16384
		.amdhsa_private_segment_fixed_size 0
		.amdhsa_kernarg_size 368
		.amdhsa_user_sgpr_count 6
		.amdhsa_user_sgpr_private_segment_buffer 1
		.amdhsa_user_sgpr_dispatch_ptr 0
		.amdhsa_user_sgpr_queue_ptr 0
		.amdhsa_user_sgpr_kernarg_segment_ptr 1
		.amdhsa_user_sgpr_dispatch_id 0
		.amdhsa_user_sgpr_flat_scratch_init 0
		.amdhsa_user_sgpr_private_segment_size 0
		.amdhsa_uses_dynamic_stack 0
		.amdhsa_system_sgpr_private_segment_wavefront_offset 0
		.amdhsa_system_sgpr_workgroup_id_x 1
		.amdhsa_system_sgpr_workgroup_id_y 0
		.amdhsa_system_sgpr_workgroup_id_z 0
		.amdhsa_system_sgpr_workgroup_info 0
		.amdhsa_system_vgpr_workitem_id 0
		.amdhsa_next_free_vgpr 49
		.amdhsa_next_free_sgpr 98
		.amdhsa_reserve_vcc 1
		.amdhsa_reserve_flat_scratch 0
		.amdhsa_float_round_mode_32 0
		.amdhsa_float_round_mode_16_64 0
		.amdhsa_float_denorm_mode_32 3
		.amdhsa_float_denorm_mode_16_64 3
		.amdhsa_dx10_clamp 1
		.amdhsa_ieee_mode 1
		.amdhsa_fp16_overflow 0
		.amdhsa_exception_fp_ieee_invalid_op 0
		.amdhsa_exception_fp_denorm_src 0
		.amdhsa_exception_fp_ieee_div_zero 0
		.amdhsa_exception_fp_ieee_overflow 0
		.amdhsa_exception_fp_ieee_underflow 0
		.amdhsa_exception_fp_ieee_inexact 0
		.amdhsa_exception_int_div_zero 0
	.end_amdhsa_kernel
	.section	.text._ZN9rocsparseL27csrmvn_symm_adaptive_kernelIll21rocsparse_complex_numIfES1_IdES3_S3_EEvbT_S4_PKS4_NS_24const_host_device_scalarIT4_EES6_PKT0_PKT1_PKT2_S9_PT3_21rocsparse_index_base_b,"axG",@progbits,_ZN9rocsparseL27csrmvn_symm_adaptive_kernelIll21rocsparse_complex_numIfES1_IdES3_S3_EEvbT_S4_PKS4_NS_24const_host_device_scalarIT4_EES6_PKT0_PKT1_PKT2_S9_PT3_21rocsparse_index_base_b,comdat
.Lfunc_end116:
	.size	_ZN9rocsparseL27csrmvn_symm_adaptive_kernelIll21rocsparse_complex_numIfES1_IdES3_S3_EEvbT_S4_PKS4_NS_24const_host_device_scalarIT4_EES6_PKT0_PKT1_PKT2_S9_PT3_21rocsparse_index_base_b, .Lfunc_end116-_ZN9rocsparseL27csrmvn_symm_adaptive_kernelIll21rocsparse_complex_numIfES1_IdES3_S3_EEvbT_S4_PKS4_NS_24const_host_device_scalarIT4_EES6_PKT0_PKT1_PKT2_S9_PT3_21rocsparse_index_base_b
                                        ; -- End function
	.set _ZN9rocsparseL27csrmvn_symm_adaptive_kernelIll21rocsparse_complex_numIfES1_IdES3_S3_EEvbT_S4_PKS4_NS_24const_host_device_scalarIT4_EES6_PKT0_PKT1_PKT2_S9_PT3_21rocsparse_index_base_b.num_vgpr, 43
	.set _ZN9rocsparseL27csrmvn_symm_adaptive_kernelIll21rocsparse_complex_numIfES1_IdES3_S3_EEvbT_S4_PKS4_NS_24const_host_device_scalarIT4_EES6_PKT0_PKT1_PKT2_S9_PT3_21rocsparse_index_base_b.num_agpr, 0
	.set _ZN9rocsparseL27csrmvn_symm_adaptive_kernelIll21rocsparse_complex_numIfES1_IdES3_S3_EEvbT_S4_PKS4_NS_24const_host_device_scalarIT4_EES6_PKT0_PKT1_PKT2_S9_PT3_21rocsparse_index_base_b.numbered_sgpr, 52
	.set _ZN9rocsparseL27csrmvn_symm_adaptive_kernelIll21rocsparse_complex_numIfES1_IdES3_S3_EEvbT_S4_PKS4_NS_24const_host_device_scalarIT4_EES6_PKT0_PKT1_PKT2_S9_PT3_21rocsparse_index_base_b.num_named_barrier, 0
	.set _ZN9rocsparseL27csrmvn_symm_adaptive_kernelIll21rocsparse_complex_numIfES1_IdES3_S3_EEvbT_S4_PKS4_NS_24const_host_device_scalarIT4_EES6_PKT0_PKT1_PKT2_S9_PT3_21rocsparse_index_base_b.private_seg_size, 0
	.set _ZN9rocsparseL27csrmvn_symm_adaptive_kernelIll21rocsparse_complex_numIfES1_IdES3_S3_EEvbT_S4_PKS4_NS_24const_host_device_scalarIT4_EES6_PKT0_PKT1_PKT2_S9_PT3_21rocsparse_index_base_b.uses_vcc, 1
	.set _ZN9rocsparseL27csrmvn_symm_adaptive_kernelIll21rocsparse_complex_numIfES1_IdES3_S3_EEvbT_S4_PKS4_NS_24const_host_device_scalarIT4_EES6_PKT0_PKT1_PKT2_S9_PT3_21rocsparse_index_base_b.uses_flat_scratch, 0
	.set _ZN9rocsparseL27csrmvn_symm_adaptive_kernelIll21rocsparse_complex_numIfES1_IdES3_S3_EEvbT_S4_PKS4_NS_24const_host_device_scalarIT4_EES6_PKT0_PKT1_PKT2_S9_PT3_21rocsparse_index_base_b.has_dyn_sized_stack, 0
	.set _ZN9rocsparseL27csrmvn_symm_adaptive_kernelIll21rocsparse_complex_numIfES1_IdES3_S3_EEvbT_S4_PKS4_NS_24const_host_device_scalarIT4_EES6_PKT0_PKT1_PKT2_S9_PT3_21rocsparse_index_base_b.has_recursion, 0
	.set _ZN9rocsparseL27csrmvn_symm_adaptive_kernelIll21rocsparse_complex_numIfES1_IdES3_S3_EEvbT_S4_PKS4_NS_24const_host_device_scalarIT4_EES6_PKT0_PKT1_PKT2_S9_PT3_21rocsparse_index_base_b.has_indirect_call, 0
	.section	.AMDGPU.csdata,"",@progbits
; Kernel info:
; codeLenInByte = 10392
; TotalNumSgprs: 56
; NumVgprs: 43
; ScratchSize: 0
; MemoryBound: 0
; FloatMode: 240
; IeeeMode: 1
; LDSByteSize: 16384 bytes/workgroup (compile time only)
; SGPRBlocks: 12
; VGPRBlocks: 12
; NumSGPRsForWavesPerEU: 102
; NumVGPRsForWavesPerEU: 49
; Occupancy: 4
; WaveLimiterHint : 1
; COMPUTE_PGM_RSRC2:SCRATCH_EN: 0
; COMPUTE_PGM_RSRC2:USER_SGPR: 6
; COMPUTE_PGM_RSRC2:TRAP_HANDLER: 0
; COMPUTE_PGM_RSRC2:TGID_X_EN: 1
; COMPUTE_PGM_RSRC2:TGID_Y_EN: 0
; COMPUTE_PGM_RSRC2:TGID_Z_EN: 0
; COMPUTE_PGM_RSRC2:TIDIG_COMP_CNT: 0
	.section	.text._ZL33csrmvn_symm_large_adaptive_kernelIll21rocsparse_complex_numIfES0_IdES2_S2_EvbT_PKS3_N9rocsparse24const_host_device_scalarIT4_EES5_PKT0_PKT1_PKT2_S9_PT3_21rocsparse_index_base_b,"axG",@progbits,_ZL33csrmvn_symm_large_adaptive_kernelIll21rocsparse_complex_numIfES0_IdES2_S2_EvbT_PKS3_N9rocsparse24const_host_device_scalarIT4_EES5_PKT0_PKT1_PKT2_S9_PT3_21rocsparse_index_base_b,comdat
	.globl	_ZL33csrmvn_symm_large_adaptive_kernelIll21rocsparse_complex_numIfES0_IdES2_S2_EvbT_PKS3_N9rocsparse24const_host_device_scalarIT4_EES5_PKT0_PKT1_PKT2_S9_PT3_21rocsparse_index_base_b ; -- Begin function _ZL33csrmvn_symm_large_adaptive_kernelIll21rocsparse_complex_numIfES0_IdES2_S2_EvbT_PKS3_N9rocsparse24const_host_device_scalarIT4_EES5_PKT0_PKT1_PKT2_S9_PT3_21rocsparse_index_base_b
	.p2align	8
	.type	_ZL33csrmvn_symm_large_adaptive_kernelIll21rocsparse_complex_numIfES0_IdES2_S2_EvbT_PKS3_N9rocsparse24const_host_device_scalarIT4_EES5_PKT0_PKT1_PKT2_S9_PT3_21rocsparse_index_base_b,@function
_ZL33csrmvn_symm_large_adaptive_kernelIll21rocsparse_complex_numIfES0_IdES2_S2_EvbT_PKS3_N9rocsparse24const_host_device_scalarIT4_EES5_PKT0_PKT1_PKT2_S9_PT3_21rocsparse_index_base_b: ; @_ZL33csrmvn_symm_large_adaptive_kernelIll21rocsparse_complex_numIfES0_IdES2_S2_EvbT_PKS3_N9rocsparse24const_host_device_scalarIT4_EES5_PKT0_PKT1_PKT2_S9_PT3_21rocsparse_index_base_b
; %bb.0:
	s_load_dwordx2 s[24:25], s[4:5], 0x60
	s_load_dwordx2 s[0:1], s[4:5], 0x18
	s_add_u32 s7, s4, 24
	s_addc_u32 s10, s5, 0
	s_waitcnt lgkmcnt(0)
	s_bitcmp1_b32 s25, 0
	s_cselect_b64 s[8:9], -1, 0
	s_and_b64 s[2:3], s[8:9], exec
	s_cselect_b32 s1, s10, s1
	s_cselect_b32 s0, s7, s0
	v_mov_b32_e32 v1, s0
	v_mov_b32_e32 v2, s1
	flat_load_dwordx4 v[1:4], v[1:2]
	s_waitcnt vmcnt(0) lgkmcnt(0)
	v_cmp_eq_f64_e32 vcc, 0, v[1:2]
	v_cmp_eq_f64_e64 s[0:1], 0, v[3:4]
	s_and_b64 s[10:11], vcc, s[0:1]
	s_mov_b64 s[0:1], -1
	s_and_saveexec_b64 s[2:3], s[10:11]
	s_cbranch_execz .LBB117_2
; %bb.1:
	s_load_dwordx2 s[0:1], s[4:5], 0x48
	s_add_u32 s7, s4, 0x48
	s_addc_u32 s10, s5, 0
	s_and_b64 s[8:9], s[8:9], exec
	s_waitcnt lgkmcnt(0)
	s_cselect_b32 s1, s10, s1
	s_cselect_b32 s0, s7, s0
	v_mov_b32_e32 v5, s0
	v_mov_b32_e32 v6, s1
	flat_load_dwordx4 v[5:8], v[5:6]
	s_waitcnt vmcnt(0) lgkmcnt(0)
	v_cmp_neq_f64_e32 vcc, 1.0, v[5:6]
	v_cmp_neq_f64_e64 s[0:1], 0, v[7:8]
	s_or_b64 s[0:1], vcc, s[0:1]
	s_orn2_b64 s[0:1], s[0:1], exec
.LBB117_2:
	s_or_b64 exec, exec, s[2:3]
	s_and_saveexec_b64 s[2:3], s[0:1]
	s_cbranch_execz .LBB117_45
; %bb.3:
	s_load_dword s2, s[4:5], 0x0
	s_load_dwordx2 s[8:9], s[4:5], 0x10
	s_mov_b32 s0, 0
	s_mov_b32 s3, s0
	s_mov_b32 s1, s0
	s_waitcnt lgkmcnt(0)
	s_bitcmp1_b32 s2, 0
	s_cselect_b64 s[26:27], -1, 0
	s_mov_b32 s2, s0
	v_mov_b32_e32 v8, s3
	s_ashr_i32 s7, s6, 31
	v_mov_b32_e32 v7, s2
	v_mov_b32_e32 v6, s1
	;; [unrolled: 1-line block ×3, first 2 shown]
	s_lshl_b64 s[0:1], s[6:7], 3
	s_add_u32 s0, s8, s0
	v_lshlrev_b32_e32 v17, 4, v0
	s_addc_u32 s1, s9, s1
	ds_write_b128 v17, v[5:8]
	ds_write_b128 v17, v[5:8] offset:4096
	ds_write_b128 v17, v[5:8] offset:8192
	ds_write_b128 v17, v[5:8] offset:12288
	s_waitcnt lgkmcnt(0)
	s_barrier
	s_load_dwordx4 s[20:23], s[0:1], 0x0
	s_load_dwordx2 s[28:29], s[4:5], 0x58
	s_load_dwordx8 s[12:19], s[4:5], 0x28
	v_subrev_co_u32_e64 v18, s[0:1], s24, v0
	s_waitcnt lgkmcnt(0)
	v_mov_b32_e32 v5, s22
	v_mov_b32_e32 v6, s23
	v_cmp_ge_i64_e32 vcc, s[20:21], v[5:6]
	v_mov_b32_e32 v20, 0
	v_subb_co_u32_e64 v19, s[0:1], 0, 0, s[0:1]
	s_cbranch_vccnz .LBB117_33
; %bb.4:
	s_movk_i32 s25, 0x100
	s_add_u32 s33, s16, 4
	v_mov_b32_e32 v13, s22
	v_cmp_gt_u32_e64 s[0:1], s25, v0
	v_cmp_gt_u32_e64 s[2:3], 64, v0
	;; [unrolled: 1-line block ×4, first 2 shown]
	v_cmp_eq_u32_e64 s[8:9], 0, v0
	s_addc_u32 s40, s17, 0
	v_mov_b32_e32 v14, s23
	s_mov_b64 s[30:31], s[20:21]
	s_branch .LBB117_6
.LBB117_5:                              ;   in Loop: Header=BB117_6 Depth=1
	s_or_b64 exec, exec, s[10:11]
	s_add_u32 s30, s30, 1
	s_addc_u32 s31, s31, 0
	v_cmp_ge_i64_e32 vcc, s[30:31], v[13:14]
	s_cbranch_vccnz .LBB117_33
.LBB117_6:                              ; =>This Loop Header: Depth=1
                                        ;     Child Loop BB117_8 Depth 2
                                        ;     Child Loop BB117_22 Depth 2
	;; [unrolled: 1-line block ×5, first 2 shown]
	s_lshl_b64 s[10:11], s[30:31], 3
	s_add_u32 s10, s12, s10
	s_addc_u32 s11, s13, s11
	s_load_dwordx4 s[36:39], s[10:11], 0x0
	v_mov_b32_e32 v7, 0
	v_mov_b32_e32 v5, 0
	;; [unrolled: 1-line block ×4, first 2 shown]
	s_waitcnt lgkmcnt(0)
	s_sub_u32 s34, s38, s24
	v_mov_b32_e32 v0, s37
	v_add_co_u32_e32 v9, vcc, s36, v18
	s_subb_u32 s35, s39, 0
	v_addc_co_u32_e32 v10, vcc, v0, v19, vcc
	v_cmp_gt_i64_e32 vcc, s[34:35], v[9:10]
	s_and_saveexec_b64 s[36:37], vcc
	s_cbranch_execz .LBB117_10
; %bb.7:                                ;   in Loop: Header=BB117_6 Depth=1
	v_lshlrev_b64 v[5:6], 3, v[9:10]
	v_mov_b32_e32 v0, s15
	v_add_co_u32_e32 v11, vcc, s14, v5
	v_addc_co_u32_e32 v12, vcc, v0, v6, vcc
	v_mov_b32_e32 v0, s40
	v_add_co_u32_e32 v15, vcc, s33, v5
	v_mov_b32_e32 v7, 0
	v_addc_co_u32_e32 v16, vcc, v0, v6, vcc
	v_mov_b32_e32 v8, 0
	v_mov_b32_e32 v5, v7
	s_mov_b64 s[38:39], 0
	v_mov_b32_e32 v6, v8
.LBB117_8:                              ;   Parent Loop BB117_6 Depth=1
                                        ; =>  This Inner Loop Header: Depth=2
	global_load_dwordx2 v[21:22], v[11:12], off
	global_load_dwordx2 v[25:26], v[15:16], off offset:-4
	v_mov_b32_e32 v0, s19
	s_waitcnt vmcnt(1)
	v_subrev_co_u32_e32 v21, vcc, s24, v21
	v_subbrev_co_u32_e32 v22, vcc, 0, v22, vcc
	v_lshlrev_b64 v[21:22], 4, v[21:22]
	v_add_co_u32_e32 v21, vcc, s18, v21
	v_addc_co_u32_e32 v22, vcc, v0, v22, vcc
	global_load_dwordx4 v[21:24], v[21:22], off
	s_waitcnt vmcnt(1)
	v_cndmask_b32_e64 v0, v26, -v26, s[26:27]
	v_cvt_f64_f32_e32 v[25:26], v25
	v_cvt_f64_f32_e32 v[27:28], v0
	v_add_co_u32_e32 v9, vcc, s25, v9
	v_addc_co_u32_e32 v10, vcc, 0, v10, vcc
	v_add_co_u32_e32 v11, vcc, 0x800, v11
	v_addc_co_u32_e32 v12, vcc, 0, v12, vcc
	v_cmp_le_i64_e64 s[10:11], s[34:35], v[9:10]
	v_add_co_u32_e32 v15, vcc, 0x800, v15
	s_or_b64 s[38:39], s[10:11], s[38:39]
	v_addc_co_u32_e32 v16, vcc, 0, v16, vcc
	s_waitcnt vmcnt(0)
	v_fma_f64 v[5:6], v[25:26], v[21:22], v[5:6]
	v_fma_f64 v[7:8], v[27:28], v[21:22], v[7:8]
	v_fma_f64 v[5:6], -v[27:28], v[23:24], v[5:6]
	v_fma_f64 v[7:8], v[25:26], v[23:24], v[7:8]
	s_andn2_b64 exec, exec, s[38:39]
	s_cbranch_execnz .LBB117_8
; %bb.9:                                ;   in Loop: Header=BB117_6 Depth=1
	s_or_b64 exec, exec, s[38:39]
.LBB117_10:                             ;   in Loop: Header=BB117_6 Depth=1
	s_or_b64 exec, exec, s[36:37]
	ds_write_b128 v17, v[5:8]
	s_waitcnt lgkmcnt(0)
	s_barrier
	s_and_saveexec_b64 s[10:11], s[0:1]
	s_cbranch_execz .LBB117_12
; %bb.11:                               ;   in Loop: Header=BB117_6 Depth=1
	ds_read_b128 v[5:8], v17 offset:4096
	ds_read_b128 v[9:12], v17 offset:8192
	ds_read_b128 v[21:24], v17 offset:12288
	ds_read_b128 v[25:28], v17
	s_waitcnt lgkmcnt(2)
	v_add_f64 v[5:6], v[9:10], v[5:6]
	v_add_f64 v[7:8], v[11:12], v[7:8]
	s_waitcnt lgkmcnt(1)
	v_add_f64 v[5:6], v[5:6], v[21:22]
	v_add_f64 v[7:8], v[7:8], v[23:24]
	s_waitcnt lgkmcnt(0)
	v_add_f64 v[5:6], v[5:6], v[25:26]
	v_add_f64 v[7:8], v[7:8], v[27:28]
	ds_write_b128 v17, v[5:8]
.LBB117_12:                             ;   in Loop: Header=BB117_6 Depth=1
	s_or_b64 exec, exec, s[10:11]
	s_waitcnt lgkmcnt(0)
	s_barrier
	s_and_saveexec_b64 s[10:11], s[2:3]
	s_cbranch_execz .LBB117_14
; %bb.13:                               ;   in Loop: Header=BB117_6 Depth=1
	ds_read_b128 v[5:8], v17 offset:1024
	ds_read_b128 v[9:12], v17 offset:2048
	ds_read_b128 v[21:24], v17 offset:3072
	ds_read_b128 v[25:28], v17
	s_waitcnt lgkmcnt(2)
	v_add_f64 v[5:6], v[9:10], v[5:6]
	v_add_f64 v[7:8], v[11:12], v[7:8]
	s_waitcnt lgkmcnt(1)
	v_add_f64 v[5:6], v[5:6], v[21:22]
	v_add_f64 v[7:8], v[7:8], v[23:24]
	s_waitcnt lgkmcnt(0)
	v_add_f64 v[5:6], v[5:6], v[25:26]
	v_add_f64 v[7:8], v[7:8], v[27:28]
	ds_write_b128 v17, v[5:8]
.LBB117_14:                             ;   in Loop: Header=BB117_6 Depth=1
	s_or_b64 exec, exec, s[10:11]
	;; [unrolled: 21-line block ×5, first 2 shown]
	s_waitcnt lgkmcnt(0)
	s_barrier
	s_and_saveexec_b64 s[10:11], s[8:9]
	s_cbranch_execz .LBB117_5
; %bb.21:                               ;   in Loop: Header=BB117_6 Depth=1
	ds_read_b128 v[5:8], v20
	v_mov_b32_e32 v15, 0
	s_mov_b64 s[34:35], exec
	v_bfrev_b32_e32 v16, 1
	s_waitcnt lgkmcnt(0)
	v_mul_f64 v[9:10], v[7:8], -v[3:4]
	v_fma_f64 v[9:10], v[1:2], v[5:6], v[9:10]
.LBB117_22:                             ;   Parent Loop BB117_6 Depth=1
                                        ; =>  This Inner Loop Header: Depth=2
	s_ff1_i32_b64 s38, s[34:35]
	v_readlane_b32 s37, v10, s38
	v_readlane_b32 s36, v9, s38
	v_add_f64 v[15:16], v[15:16], s[36:37]
	s_lshl_b64 s[36:37], 1, s38
	s_andn2_b64 s[34:35], s[34:35], s[36:37]
	s_cmp_lg_u64 s[34:35], 0
	s_cbranch_scc1 .LBB117_22
; %bb.23:                               ;   in Loop: Header=BB117_6 Depth=1
	s_lshl_b64 s[34:35], s[30:31], 4
	v_mbcnt_lo_u32_b32 v0, exec_lo, 0
	s_add_u32 s34, s28, s34
	v_mbcnt_hi_u32_b32 v0, exec_hi, v0
	s_addc_u32 s35, s29, s35
	v_cmp_eq_u32_e32 vcc, 0, v0
	s_and_saveexec_b64 s[36:37], vcc
	s_xor_b64 s[36:37], exec, s[36:37]
	s_cbranch_execz .LBB117_27
; %bb.24:                               ;   in Loop: Header=BB117_6 Depth=1
	global_load_dwordx2 v[11:12], v20, s[34:35]
	s_mov_b64 s[38:39], 0
.LBB117_25:                             ;   Parent Loop BB117_6 Depth=1
                                        ; =>  This Inner Loop Header: Depth=2
	s_waitcnt vmcnt(0)
	v_add_f64 v[9:10], v[11:12], v[15:16]
	global_atomic_cmpswap_x2 v[9:10], v20, v[9:12], s[34:35] glc
	s_waitcnt vmcnt(0)
	v_cmp_eq_u64_e32 vcc, v[9:10], v[11:12]
	v_mov_b32_e32 v12, v10
	s_or_b64 s[38:39], vcc, s[38:39]
	v_mov_b32_e32 v11, v9
	s_andn2_b64 exec, exec, s[38:39]
	s_cbranch_execnz .LBB117_25
; %bb.26:                               ;   in Loop: Header=BB117_6 Depth=1
	s_or_b64 exec, exec, s[38:39]
.LBB117_27:                             ;   in Loop: Header=BB117_6 Depth=1
	s_or_b64 exec, exec, s[36:37]
	v_mul_f64 v[7:8], v[1:2], v[7:8]
	v_mov_b32_e32 v9, 0
	s_mov_b64 s[36:37], exec
	v_bfrev_b32_e32 v10, 1
	v_fma_f64 v[5:6], v[3:4], v[5:6], v[7:8]
.LBB117_28:                             ;   Parent Loop BB117_6 Depth=1
                                        ; =>  This Inner Loop Header: Depth=2
	s_ff1_i32_b64 s41, s[36:37]
	v_readlane_b32 s39, v6, s41
	v_readlane_b32 s38, v5, s41
	v_add_f64 v[9:10], v[9:10], s[38:39]
	s_lshl_b64 s[38:39], 1, s41
	s_andn2_b64 s[36:37], s[36:37], s[38:39]
	s_cmp_lg_u64 s[36:37], 0
	s_cbranch_scc1 .LBB117_28
; %bb.29:                               ;   in Loop: Header=BB117_6 Depth=1
	v_mbcnt_lo_u32_b32 v0, exec_lo, 0
	v_mbcnt_hi_u32_b32 v0, exec_hi, v0
	v_cmp_eq_u32_e32 vcc, 0, v0
	s_and_saveexec_b64 s[36:37], vcc
	s_xor_b64 s[36:37], exec, s[36:37]
	s_cbranch_execz .LBB117_5
; %bb.30:                               ;   in Loop: Header=BB117_6 Depth=1
	global_load_dwordx2 v[7:8], v20, s[34:35] offset:8
	s_mov_b64 s[36:37], 0
.LBB117_31:                             ;   Parent Loop BB117_6 Depth=1
                                        ; =>  This Inner Loop Header: Depth=2
	s_waitcnt vmcnt(0)
	v_add_f64 v[5:6], v[7:8], v[9:10]
	global_atomic_cmpswap_x2 v[5:6], v20, v[5:8], s[34:35] offset:8 glc
	s_waitcnt vmcnt(0)
	v_cmp_eq_u64_e32 vcc, v[5:6], v[7:8]
	v_mov_b32_e32 v8, v6
	s_or_b64 s[36:37], vcc, s[36:37]
	v_mov_b32_e32 v7, v5
	s_andn2_b64 exec, exec, s[36:37]
	s_cbranch_execnz .LBB117_31
; %bb.32:                               ;   in Loop: Header=BB117_6 Depth=1
	s_or_b64 exec, exec, s[36:37]
	s_branch .LBB117_5
.LBB117_33:
	s_lshl_b64 s[0:1], s[20:21], 3
	s_add_u32 s0, s12, s0
	s_addc_u32 s1, s13, s1
	s_lshl_b64 s[2:3], s[22:23], 3
	s_add_u32 s2, s12, s2
	s_addc_u32 s3, s13, s3
	s_load_dwordx2 s[6:7], s[0:1], 0x0
	s_load_dwordx2 s[4:5], s[2:3], 0x0
	s_waitcnt lgkmcnt(0)
	v_mov_b32_e32 v0, s7
	s_sub_u32 s4, s4, s24
	v_add_co_u32_e32 v13, vcc, s6, v18
	s_subb_u32 s5, s5, 0
	v_addc_co_u32_e32 v14, vcc, v0, v19, vcc
	v_cmp_gt_i64_e32 vcc, s[4:5], v[13:14]
	s_and_b64 exec, exec, vcc
	s_cbranch_execz .LBB117_45
; %bb.34:
	s_add_u32 s6, s22, -1
	s_addc_u32 s7, s23, -1
	v_mov_b32_e32 v5, s6
	s_add_u32 s0, s22, -2
	v_mov_b32_e32 v6, s7
	s_addc_u32 s1, s23, -1
	v_cmp_lt_i64_e32 vcc, s[20:21], v[5:6]
	s_cmp_lg_u64 s[20:21], s[0:1]
	s_cselect_b64 s[0:1], -1, 0
	s_and_b64 s[0:1], vcc, s[0:1]
	v_cndmask_b32_e64 v0, 0, 1, s[0:1]
	s_mov_b64 s[8:9], 0
	v_cmp_ne_u32_e64 s[0:1], 1, v0
	v_mov_b32_e32 v0, s13
	v_mov_b32_e32 v23, s15
	s_branch .LBB117_36
.LBB117_35:                             ;   in Loop: Header=BB117_36 Depth=1
	s_or_b64 exec, exec, s[2:3]
	v_add_co_u32_e32 v13, vcc, 0x100, v13
	v_addc_co_u32_e32 v14, vcc, 0, v14, vcc
	v_cmp_le_i64_e32 vcc, s[4:5], v[13:14]
	s_or_b64 s[8:9], vcc, s[8:9]
	s_andn2_b64 exec, exec, s[8:9]
	s_cbranch_execz .LBB117_45
.LBB117_36:                             ; =>This Loop Header: Depth=1
                                        ;     Child Loop BB117_38 Depth 2
                                        ;     Child Loop BB117_42 Depth 2
	;; [unrolled: 1-line block ×3, first 2 shown]
	v_mov_b32_e32 v5, s20
	v_mov_b32_e32 v8, s7
	s_and_b64 vcc, exec, s[0:1]
	v_mov_b32_e32 v6, s21
	v_mov_b32_e32 v7, s6
	s_cbranch_vccnz .LBB117_40
; %bb.37:                               ;   in Loop: Header=BB117_36 Depth=1
	v_mov_b32_e32 v5, s20
	v_mov_b32_e32 v8, s7
	s_mov_b64 s[10:11], 0
	v_mov_b32_e32 v6, s21
	v_mov_b32_e32 v7, s6
.LBB117_38:                             ;   Parent Loop BB117_36 Depth=1
                                        ; =>  This Inner Loop Header: Depth=2
	v_add_co_u32_e32 v9, vcc, v7, v5
	v_addc_co_u32_e32 v10, vcc, v8, v6, vcc
	v_lshrrev_b32_e32 v11, 31, v10
	v_add_co_u32_e32 v9, vcc, v9, v11
	v_addc_co_u32_e32 v10, vcc, 0, v10, vcc
	v_ashrrev_i64 v[9:10], 1, v[9:10]
	v_mov_b32_e32 v15, s13
	v_lshlrev_b64 v[11:12], 3, v[9:10]
	v_add_co_u32_e32 v11, vcc, s12, v11
	v_addc_co_u32_e32 v12, vcc, v15, v12, vcc
	global_load_dwordx2 v[11:12], v[11:12], off
	s_waitcnt vmcnt(0)
	v_subrev_co_u32_e32 v11, vcc, s24, v11
	v_subbrev_co_u32_e32 v12, vcc, 0, v12, vcc
	v_cmp_lt_i64_e32 vcc, v[13:14], v[11:12]
	v_cndmask_b32_e32 v7, v7, v9, vcc
	v_cndmask_b32_e32 v8, v8, v10, vcc
	;; [unrolled: 1-line block ×3, first 2 shown]
	v_add_co_u32_e64 v9, s[2:3], -1, v7
	v_cndmask_b32_e32 v6, v10, v6, vcc
	v_addc_co_u32_e64 v10, s[2:3], -1, v8, s[2:3]
	v_cmp_ge_i64_e32 vcc, v[5:6], v[7:8]
	v_cmp_eq_u64_e64 s[2:3], v[5:6], v[9:10]
	s_or_b64 s[2:3], vcc, s[2:3]
	s_and_b64 s[2:3], exec, s[2:3]
	s_or_b64 s[10:11], s[2:3], s[10:11]
	s_andn2_b64 exec, exec, s[10:11]
	s_cbranch_execnz .LBB117_38
; %bb.39:                               ;   in Loop: Header=BB117_36 Depth=1
	s_or_b64 exec, exec, s[10:11]
.LBB117_40:                             ;   in Loop: Header=BB117_36 Depth=1
	v_lshlrev_b64 v[9:10], 3, v[7:8]
	v_lshlrev_b64 v[11:12], 3, v[13:14]
	v_add_co_u32_e32 v9, vcc, s12, v9
	v_addc_co_u32_e32 v10, vcc, v0, v10, vcc
	global_load_dwordx2 v[9:10], v[9:10], off
	v_add_co_u32_e32 v15, vcc, s14, v11
	v_addc_co_u32_e32 v16, vcc, v23, v12, vcc
	global_load_dwordx2 v[15:16], v[15:16], off
	s_waitcnt vmcnt(1)
	v_subrev_co_u32_e32 v9, vcc, s24, v9
	v_subbrev_co_u32_e32 v10, vcc, 0, v10, vcc
	v_cmp_lt_i64_e32 vcc, v[13:14], v[9:10]
	v_cndmask_b32_e32 v6, v8, v6, vcc
	v_cndmask_b32_e32 v5, v7, v5, vcc
	s_waitcnt vmcnt(0)
	v_subrev_co_u32_e32 v9, vcc, s24, v15
	v_subbrev_co_u32_e32 v10, vcc, 0, v16, vcc
	v_cmp_ne_u64_e32 vcc, v[9:10], v[5:6]
	s_and_saveexec_b64 s[2:3], vcc
	s_cbranch_execz .LBB117_35
; %bb.41:                               ;   in Loop: Header=BB117_36 Depth=1
	v_mov_b32_e32 v8, s17
	v_add_co_u32_e32 v7, vcc, s16, v11
	v_addc_co_u32_e32 v8, vcc, v8, v12, vcc
	global_load_dwordx2 v[17:18], v[7:8], off
	v_lshlrev_b64 v[5:6], 4, v[5:6]
	v_mov_b32_e32 v7, s19
	v_add_co_u32_e32 v5, vcc, s18, v5
	v_addc_co_u32_e32 v6, vcc, v7, v6, vcc
	global_load_dwordx4 v[5:8], v[5:6], off
	v_lshlrev_b64 v[9:10], 4, v[9:10]
	v_mov_b32_e32 v11, s29
	v_add_co_u32_e32 v15, vcc, s28, v9
	v_addc_co_u32_e32 v16, vcc, v11, v10, vcc
	global_load_dwordx2 v[11:12], v[15:16], off
	s_mov_b64 s[10:11], 0
	s_waitcnt vmcnt(2)
	v_cndmask_b32_e64 v9, v18, -v18, s[26:27]
	v_cvt_f64_f32_e32 v[9:10], v9
	v_cvt_f64_f32_e32 v[20:21], v17
	v_mul_f64 v[18:19], v[1:2], v[9:10]
	v_mul_f64 v[9:10], -v[3:4], v[9:10]
	v_fma_f64 v[17:18], v[3:4], v[20:21], v[18:19]
	v_fma_f64 v[19:20], v[1:2], v[20:21], v[9:10]
	s_waitcnt vmcnt(1)
	v_mul_f64 v[9:10], v[7:8], -v[17:18]
	v_fma_f64 v[21:22], v[19:20], v[5:6], v[9:10]
.LBB117_42:                             ;   Parent Loop BB117_36 Depth=1
                                        ; =>  This Inner Loop Header: Depth=2
	s_waitcnt vmcnt(0)
	v_add_f64 v[9:10], v[11:12], v[21:22]
	global_atomic_cmpswap_x2 v[9:10], v[15:16], v[9:12], off glc
	s_waitcnt vmcnt(0)
	v_cmp_eq_u64_e32 vcc, v[9:10], v[11:12]
	v_mov_b32_e32 v12, v10
	s_or_b64 s[10:11], vcc, s[10:11]
	v_mov_b32_e32 v11, v9
	s_andn2_b64 exec, exec, s[10:11]
	s_cbranch_execnz .LBB117_42
; %bb.43:                               ;   in Loop: Header=BB117_36 Depth=1
	s_or_b64 exec, exec, s[10:11]
	global_load_dwordx2 v[9:10], v[15:16], off offset:8
	v_mul_f64 v[7:8], v[7:8], v[19:20]
	s_mov_b64 s[10:11], 0
	v_fma_f64 v[5:6], v[17:18], v[5:6], v[7:8]
.LBB117_44:                             ;   Parent Loop BB117_36 Depth=1
                                        ; =>  This Inner Loop Header: Depth=2
	s_waitcnt vmcnt(0)
	v_add_f64 v[7:8], v[9:10], v[5:6]
	global_atomic_cmpswap_x2 v[7:8], v[15:16], v[7:10], off offset:8 glc
	s_waitcnt vmcnt(0)
	v_cmp_eq_u64_e32 vcc, v[7:8], v[9:10]
	v_mov_b32_e32 v10, v8
	s_or_b64 s[10:11], vcc, s[10:11]
	v_mov_b32_e32 v9, v7
	s_andn2_b64 exec, exec, s[10:11]
	s_cbranch_execnz .LBB117_44
	s_branch .LBB117_35
.LBB117_45:
	s_endpgm
	.section	.rodata,"a",@progbits
	.p2align	6, 0x0
	.amdhsa_kernel _ZL33csrmvn_symm_large_adaptive_kernelIll21rocsparse_complex_numIfES0_IdES2_S2_EvbT_PKS3_N9rocsparse24const_host_device_scalarIT4_EES5_PKT0_PKT1_PKT2_S9_PT3_21rocsparse_index_base_b
		.amdhsa_group_segment_fixed_size 16384
		.amdhsa_private_segment_fixed_size 0
		.amdhsa_kernarg_size 104
		.amdhsa_user_sgpr_count 6
		.amdhsa_user_sgpr_private_segment_buffer 1
		.amdhsa_user_sgpr_dispatch_ptr 0
		.amdhsa_user_sgpr_queue_ptr 0
		.amdhsa_user_sgpr_kernarg_segment_ptr 1
		.amdhsa_user_sgpr_dispatch_id 0
		.amdhsa_user_sgpr_flat_scratch_init 0
		.amdhsa_user_sgpr_private_segment_size 0
		.amdhsa_uses_dynamic_stack 0
		.amdhsa_system_sgpr_private_segment_wavefront_offset 0
		.amdhsa_system_sgpr_workgroup_id_x 1
		.amdhsa_system_sgpr_workgroup_id_y 0
		.amdhsa_system_sgpr_workgroup_id_z 0
		.amdhsa_system_sgpr_workgroup_info 0
		.amdhsa_system_vgpr_workitem_id 0
		.amdhsa_next_free_vgpr 49
		.amdhsa_next_free_sgpr 98
		.amdhsa_reserve_vcc 1
		.amdhsa_reserve_flat_scratch 0
		.amdhsa_float_round_mode_32 0
		.amdhsa_float_round_mode_16_64 0
		.amdhsa_float_denorm_mode_32 3
		.amdhsa_float_denorm_mode_16_64 3
		.amdhsa_dx10_clamp 1
		.amdhsa_ieee_mode 1
		.amdhsa_fp16_overflow 0
		.amdhsa_exception_fp_ieee_invalid_op 0
		.amdhsa_exception_fp_denorm_src 0
		.amdhsa_exception_fp_ieee_div_zero 0
		.amdhsa_exception_fp_ieee_overflow 0
		.amdhsa_exception_fp_ieee_underflow 0
		.amdhsa_exception_fp_ieee_inexact 0
		.amdhsa_exception_int_div_zero 0
	.end_amdhsa_kernel
	.section	.text._ZL33csrmvn_symm_large_adaptive_kernelIll21rocsparse_complex_numIfES0_IdES2_S2_EvbT_PKS3_N9rocsparse24const_host_device_scalarIT4_EES5_PKT0_PKT1_PKT2_S9_PT3_21rocsparse_index_base_b,"axG",@progbits,_ZL33csrmvn_symm_large_adaptive_kernelIll21rocsparse_complex_numIfES0_IdES2_S2_EvbT_PKS3_N9rocsparse24const_host_device_scalarIT4_EES5_PKT0_PKT1_PKT2_S9_PT3_21rocsparse_index_base_b,comdat
.Lfunc_end117:
	.size	_ZL33csrmvn_symm_large_adaptive_kernelIll21rocsparse_complex_numIfES0_IdES2_S2_EvbT_PKS3_N9rocsparse24const_host_device_scalarIT4_EES5_PKT0_PKT1_PKT2_S9_PT3_21rocsparse_index_base_b, .Lfunc_end117-_ZL33csrmvn_symm_large_adaptive_kernelIll21rocsparse_complex_numIfES0_IdES2_S2_EvbT_PKS3_N9rocsparse24const_host_device_scalarIT4_EES5_PKT0_PKT1_PKT2_S9_PT3_21rocsparse_index_base_b
                                        ; -- End function
	.set _ZL33csrmvn_symm_large_adaptive_kernelIll21rocsparse_complex_numIfES0_IdES2_S2_EvbT_PKS3_N9rocsparse24const_host_device_scalarIT4_EES5_PKT0_PKT1_PKT2_S9_PT3_21rocsparse_index_base_b.num_vgpr, 29
	.set _ZL33csrmvn_symm_large_adaptive_kernelIll21rocsparse_complex_numIfES0_IdES2_S2_EvbT_PKS3_N9rocsparse24const_host_device_scalarIT4_EES5_PKT0_PKT1_PKT2_S9_PT3_21rocsparse_index_base_b.num_agpr, 0
	.set _ZL33csrmvn_symm_large_adaptive_kernelIll21rocsparse_complex_numIfES0_IdES2_S2_EvbT_PKS3_N9rocsparse24const_host_device_scalarIT4_EES5_PKT0_PKT1_PKT2_S9_PT3_21rocsparse_index_base_b.numbered_sgpr, 42
	.set _ZL33csrmvn_symm_large_adaptive_kernelIll21rocsparse_complex_numIfES0_IdES2_S2_EvbT_PKS3_N9rocsparse24const_host_device_scalarIT4_EES5_PKT0_PKT1_PKT2_S9_PT3_21rocsparse_index_base_b.num_named_barrier, 0
	.set _ZL33csrmvn_symm_large_adaptive_kernelIll21rocsparse_complex_numIfES0_IdES2_S2_EvbT_PKS3_N9rocsparse24const_host_device_scalarIT4_EES5_PKT0_PKT1_PKT2_S9_PT3_21rocsparse_index_base_b.private_seg_size, 0
	.set _ZL33csrmvn_symm_large_adaptive_kernelIll21rocsparse_complex_numIfES0_IdES2_S2_EvbT_PKS3_N9rocsparse24const_host_device_scalarIT4_EES5_PKT0_PKT1_PKT2_S9_PT3_21rocsparse_index_base_b.uses_vcc, 1
	.set _ZL33csrmvn_symm_large_adaptive_kernelIll21rocsparse_complex_numIfES0_IdES2_S2_EvbT_PKS3_N9rocsparse24const_host_device_scalarIT4_EES5_PKT0_PKT1_PKT2_S9_PT3_21rocsparse_index_base_b.uses_flat_scratch, 0
	.set _ZL33csrmvn_symm_large_adaptive_kernelIll21rocsparse_complex_numIfES0_IdES2_S2_EvbT_PKS3_N9rocsparse24const_host_device_scalarIT4_EES5_PKT0_PKT1_PKT2_S9_PT3_21rocsparse_index_base_b.has_dyn_sized_stack, 0
	.set _ZL33csrmvn_symm_large_adaptive_kernelIll21rocsparse_complex_numIfES0_IdES2_S2_EvbT_PKS3_N9rocsparse24const_host_device_scalarIT4_EES5_PKT0_PKT1_PKT2_S9_PT3_21rocsparse_index_base_b.has_recursion, 0
	.set _ZL33csrmvn_symm_large_adaptive_kernelIll21rocsparse_complex_numIfES0_IdES2_S2_EvbT_PKS3_N9rocsparse24const_host_device_scalarIT4_EES5_PKT0_PKT1_PKT2_S9_PT3_21rocsparse_index_base_b.has_indirect_call, 0
	.section	.AMDGPU.csdata,"",@progbits
; Kernel info:
; codeLenInByte = 2492
; TotalNumSgprs: 46
; NumVgprs: 29
; ScratchSize: 0
; MemoryBound: 0
; FloatMode: 240
; IeeeMode: 1
; LDSByteSize: 16384 bytes/workgroup (compile time only)
; SGPRBlocks: 12
; VGPRBlocks: 12
; NumSGPRsForWavesPerEU: 102
; NumVGPRsForWavesPerEU: 49
; Occupancy: 4
; WaveLimiterHint : 1
; COMPUTE_PGM_RSRC2:SCRATCH_EN: 0
; COMPUTE_PGM_RSRC2:USER_SGPR: 6
; COMPUTE_PGM_RSRC2:TRAP_HANDLER: 0
; COMPUTE_PGM_RSRC2:TGID_X_EN: 1
; COMPUTE_PGM_RSRC2:TGID_Y_EN: 0
; COMPUTE_PGM_RSRC2:TGID_Z_EN: 0
; COMPUTE_PGM_RSRC2:TIDIG_COMP_CNT: 0
	.section	.AMDGPU.gpr_maximums,"",@progbits
	.set amdgpu.max_num_vgpr, 0
	.set amdgpu.max_num_agpr, 0
	.set amdgpu.max_num_sgpr, 0
	.section	.AMDGPU.csdata,"",@progbits
	.type	__hip_cuid_76037e8f0634f368,@object ; @__hip_cuid_76037e8f0634f368
	.section	.bss,"aw",@nobits
	.globl	__hip_cuid_76037e8f0634f368
__hip_cuid_76037e8f0634f368:
	.byte	0                               ; 0x0
	.size	__hip_cuid_76037e8f0634f368, 1

	.ident	"AMD clang version 22.0.0git (https://github.com/RadeonOpenCompute/llvm-project roc-7.2.4 26084 f58b06dce1f9c15707c5f808fd002e18c2accf7e)"
	.section	".note.GNU-stack","",@progbits
	.addrsig
	.addrsig_sym _ZN9rocsparse12cols_in_rowsE
	.addrsig_sym __hip_cuid_76037e8f0634f368
	.amdgpu_metadata
---
amdhsa.kernels:
  - .args:
      - .offset:         0
        .size:           1
        .value_kind:     by_value
      - .offset:         4
        .size:           4
        .value_kind:     by_value
      - .actual_access:  read_only
        .address_space:  global
        .offset:         8
        .size:           8
        .value_kind:     global_buffer
      - .address_space:  global
        .offset:         16
        .size:           8
        .value_kind:     global_buffer
      - .actual_access:  read_only
        .address_space:  global
        .offset:         24
        .size:           8
        .value_kind:     global_buffer
      - .offset:         32
        .size:           8
        .value_kind:     by_value
      - .actual_access:  read_only
        .address_space:  global
        .offset:         40
        .size:           8
        .value_kind:     global_buffer
      - .actual_access:  read_only
        .address_space:  global
        .offset:         48
        .size:           8
        .value_kind:     global_buffer
      - .actual_access:  read_only
        .address_space:  global
        .offset:         56
        .size:           8
        .value_kind:     global_buffer
      - .actual_access:  read_only
        .address_space:  global
        .offset:         64
        .size:           8
        .value_kind:     global_buffer
      - .offset:         72
        .size:           8
        .value_kind:     by_value
      - .address_space:  global
        .offset:         80
        .size:           8
        .value_kind:     global_buffer
      - .offset:         88
        .size:           4
        .value_kind:     by_value
      - .offset:         92
        .size:           1
        .value_kind:     by_value
    .group_segment_fixed_size: 4096
    .kernarg_segment_align: 8
    .kernarg_segment_size: 96
    .language:       OpenCL C
    .language_version:
      - 2
      - 0
    .max_flat_workgroup_size: 256
    .name:           _ZN9rocsparseL22csrmvn_adaptive_kernelIiiffffEEvbT_PKS1_PjPKT0_NS_24const_host_device_scalarIT4_EES3_S7_PKT1_PKT2_SA_PT3_21rocsparse_index_base_b
    .private_segment_fixed_size: 0
    .sgpr_count:     62
    .sgpr_spill_count: 0
    .symbol:         _ZN9rocsparseL22csrmvn_adaptive_kernelIiiffffEEvbT_PKS1_PjPKT0_NS_24const_host_device_scalarIT4_EES3_S7_PKT1_PKT2_SA_PT3_21rocsparse_index_base_b.kd
    .uniform_work_group_size: 1
    .uses_dynamic_stack: false
    .vgpr_count:     19
    .vgpr_spill_count: 0
    .wavefront_size: 64
  - .args:
      - .offset:         0
        .size:           4
        .value_kind:     by_value
      - .offset:         4
        .size:           4
        .value_kind:     by_value
      - .offset:         8
        .size:           4
        .value_kind:     by_value
      - .offset:         16
        .size:           8
        .value_kind:     by_value
      - .address_space:  global
        .offset:         24
        .size:           8
        .value_kind:     global_buffer
      - .offset:         32
        .size:           1
        .value_kind:     by_value
    .group_segment_fixed_size: 0
    .kernarg_segment_align: 8
    .kernarg_segment_size: 36
    .language:       OpenCL C
    .language_version:
      - 2
      - 0
    .max_flat_workgroup_size: 256
    .name:           _ZN9rocsparseL22partial_scale_y_kernelIiffEEvT_S1_S1_NS_24const_host_device_scalarIT1_EEPT0_b
    .private_segment_fixed_size: 0
    .sgpr_count:     16
    .sgpr_spill_count: 0
    .symbol:         _ZN9rocsparseL22partial_scale_y_kernelIiffEEvT_S1_S1_NS_24const_host_device_scalarIT1_EEPT0_b.kd
    .uniform_work_group_size: 1
    .uses_dynamic_stack: false
    .vgpr_count:     3
    .vgpr_spill_count: 0
    .wavefront_size: 64
  - .args:
      - .offset:         0
        .size:           1
        .value_kind:     by_value
      - .offset:         4
        .size:           4
        .value_kind:     by_value
      - .offset:         8
        .size:           4
        .value_kind:     by_value
      - .actual_access:  read_only
        .address_space:  global
        .offset:         16
        .size:           8
        .value_kind:     global_buffer
      - .offset:         24
        .size:           8
        .value_kind:     by_value
      - .actual_access:  read_only
        .address_space:  global
        .offset:         32
        .size:           8
        .value_kind:     global_buffer
      - .actual_access:  read_only
        .address_space:  global
        .offset:         40
        .size:           8
        .value_kind:     global_buffer
      - .actual_access:  read_only
        .address_space:  global
        .offset:         48
        .size:           8
        .value_kind:     global_buffer
      - .actual_access:  read_only
        .address_space:  global
        .offset:         56
        .size:           8
        .value_kind:     global_buffer
      - .offset:         64
        .size:           8
        .value_kind:     by_value
      - .address_space:  global
        .offset:         72
        .size:           8
        .value_kind:     global_buffer
      - .offset:         80
        .size:           4
        .value_kind:     by_value
      - .offset:         84
        .size:           1
        .value_kind:     by_value
      - .offset:         88
        .size:           4
        .value_kind:     hidden_block_count_x
      - .offset:         92
        .size:           4
        .value_kind:     hidden_block_count_y
      - .offset:         96
        .size:           4
        .value_kind:     hidden_block_count_z
      - .offset:         100
        .size:           2
        .value_kind:     hidden_group_size_x
      - .offset:         102
        .size:           2
        .value_kind:     hidden_group_size_y
      - .offset:         104
        .size:           2
        .value_kind:     hidden_group_size_z
      - .offset:         106
        .size:           2
        .value_kind:     hidden_remainder_x
      - .offset:         108
        .size:           2
        .value_kind:     hidden_remainder_y
      - .offset:         110
        .size:           2
        .value_kind:     hidden_remainder_z
      - .offset:         128
        .size:           8
        .value_kind:     hidden_global_offset_x
      - .offset:         136
        .size:           8
        .value_kind:     hidden_global_offset_y
      - .offset:         144
        .size:           8
        .value_kind:     hidden_global_offset_z
      - .offset:         152
        .size:           2
        .value_kind:     hidden_grid_dims
      - .offset:         208
        .size:           4
        .value_kind:     hidden_dynamic_lds_size
    .group_segment_fixed_size: 4096
    .kernarg_segment_align: 8
    .kernarg_segment_size: 344
    .language:       OpenCL C
    .language_version:
      - 2
      - 0
    .max_flat_workgroup_size: 256
    .name:           _ZN9rocsparseL27csrmvn_symm_adaptive_kernelIiiffffEEvbT_S1_PKS1_NS_24const_host_device_scalarIT4_EES3_PKT0_PKT1_PKT2_S6_PT3_21rocsparse_index_base_b
    .private_segment_fixed_size: 0
    .sgpr_count:     42
    .sgpr_spill_count: 0
    .symbol:         _ZN9rocsparseL27csrmvn_symm_adaptive_kernelIiiffffEEvbT_S1_PKS1_NS_24const_host_device_scalarIT4_EES3_PKT0_PKT1_PKT2_S6_PT3_21rocsparse_index_base_b.kd
    .uniform_work_group_size: 1
    .uses_dynamic_stack: false
    .vgpr_count:     16
    .vgpr_spill_count: 0
    .wavefront_size: 64
  - .args:
      - .offset:         0
        .size:           1
        .value_kind:     by_value
      - .offset:         4
        .size:           4
        .value_kind:     by_value
      - .actual_access:  read_only
        .address_space:  global
        .offset:         8
        .size:           8
        .value_kind:     global_buffer
      - .offset:         16
        .size:           8
        .value_kind:     by_value
      - .actual_access:  read_only
        .address_space:  global
        .offset:         24
        .size:           8
        .value_kind:     global_buffer
      - .actual_access:  read_only
        .address_space:  global
        .offset:         32
        .size:           8
        .value_kind:     global_buffer
      - .actual_access:  read_only
        .address_space:  global
        .offset:         40
        .size:           8
        .value_kind:     global_buffer
      - .actual_access:  read_only
        .address_space:  global
        .offset:         48
        .size:           8
        .value_kind:     global_buffer
      - .offset:         56
        .size:           8
        .value_kind:     by_value
      - .address_space:  global
        .offset:         64
        .size:           8
        .value_kind:     global_buffer
      - .offset:         72
        .size:           4
        .value_kind:     by_value
      - .offset:         76
        .size:           1
        .value_kind:     by_value
    .group_segment_fixed_size: 4096
    .kernarg_segment_align: 8
    .kernarg_segment_size: 80
    .language:       OpenCL C
    .language_version:
      - 2
      - 0
    .max_flat_workgroup_size: 256
    .name:           _ZL33csrmvn_symm_large_adaptive_kernelIiiffffEvbT_PKS0_N9rocsparse24const_host_device_scalarIT4_EES2_PKT0_PKT1_PKT2_S6_PT3_21rocsparse_index_base_b
    .private_segment_fixed_size: 0
    .sgpr_count:     40
    .sgpr_spill_count: 0
    .symbol:         _ZL33csrmvn_symm_large_adaptive_kernelIiiffffEvbT_PKS0_N9rocsparse24const_host_device_scalarIT4_EES2_PKT0_PKT1_PKT2_S6_PT3_21rocsparse_index_base_b.kd
    .uniform_work_group_size: 1
    .uses_dynamic_stack: false
    .vgpr_count:     13
    .vgpr_spill_count: 0
    .wavefront_size: 64
  - .args:
      - .offset:         0
        .size:           1
        .value_kind:     by_value
      - .offset:         8
        .size:           8
        .value_kind:     by_value
      - .actual_access:  read_only
        .address_space:  global
        .offset:         16
        .size:           8
        .value_kind:     global_buffer
      - .address_space:  global
        .offset:         24
        .size:           8
        .value_kind:     global_buffer
      - .actual_access:  read_only
        .address_space:  global
        .offset:         32
        .size:           8
        .value_kind:     global_buffer
      - .offset:         40
        .size:           8
        .value_kind:     by_value
      - .actual_access:  read_only
        .address_space:  global
        .offset:         48
        .size:           8
        .value_kind:     global_buffer
      - .actual_access:  read_only
        .address_space:  global
        .offset:         56
        .size:           8
        .value_kind:     global_buffer
      - .actual_access:  read_only
        .address_space:  global
        .offset:         64
        .size:           8
        .value_kind:     global_buffer
      - .actual_access:  read_only
        .address_space:  global
        .offset:         72
        .size:           8
        .value_kind:     global_buffer
      - .offset:         80
        .size:           8
        .value_kind:     by_value
      - .address_space:  global
        .offset:         88
        .size:           8
        .value_kind:     global_buffer
      - .offset:         96
        .size:           4
        .value_kind:     by_value
      - .offset:         100
        .size:           1
        .value_kind:     by_value
    .group_segment_fixed_size: 4096
    .kernarg_segment_align: 8
    .kernarg_segment_size: 104
    .language:       OpenCL C
    .language_version:
      - 2
      - 0
    .max_flat_workgroup_size: 256
    .name:           _ZN9rocsparseL22csrmvn_adaptive_kernelIliffffEEvbT_PKS1_PjPKT0_NS_24const_host_device_scalarIT4_EES3_S7_PKT1_PKT2_SA_PT3_21rocsparse_index_base_b
    .private_segment_fixed_size: 0
    .sgpr_count:     64
    .sgpr_spill_count: 0
    .symbol:         _ZN9rocsparseL22csrmvn_adaptive_kernelIliffffEEvbT_PKS1_PjPKT0_NS_24const_host_device_scalarIT4_EES3_S7_PKT1_PKT2_SA_PT3_21rocsparse_index_base_b.kd
    .uniform_work_group_size: 1
    .uses_dynamic_stack: false
    .vgpr_count:     18
    .vgpr_spill_count: 0
    .wavefront_size: 64
  - .args:
      - .offset:         0
        .size:           1
        .value_kind:     by_value
      - .offset:         8
        .size:           8
        .value_kind:     by_value
      - .offset:         16
        .size:           8
        .value_kind:     by_value
      - .actual_access:  read_only
        .address_space:  global
        .offset:         24
        .size:           8
        .value_kind:     global_buffer
      - .offset:         32
        .size:           8
        .value_kind:     by_value
      - .actual_access:  read_only
        .address_space:  global
        .offset:         40
        .size:           8
        .value_kind:     global_buffer
      - .actual_access:  read_only
        .address_space:  global
        .offset:         48
        .size:           8
        .value_kind:     global_buffer
      - .actual_access:  read_only
        .address_space:  global
        .offset:         56
        .size:           8
        .value_kind:     global_buffer
      - .actual_access:  read_only
        .address_space:  global
        .offset:         64
        .size:           8
        .value_kind:     global_buffer
      - .offset:         72
        .size:           8
        .value_kind:     by_value
      - .address_space:  global
        .offset:         80
        .size:           8
        .value_kind:     global_buffer
      - .offset:         88
        .size:           4
        .value_kind:     by_value
      - .offset:         92
        .size:           1
        .value_kind:     by_value
      - .offset:         96
        .size:           4
        .value_kind:     hidden_block_count_x
      - .offset:         100
        .size:           4
        .value_kind:     hidden_block_count_y
      - .offset:         104
        .size:           4
        .value_kind:     hidden_block_count_z
      - .offset:         108
        .size:           2
        .value_kind:     hidden_group_size_x
      - .offset:         110
        .size:           2
        .value_kind:     hidden_group_size_y
      - .offset:         112
        .size:           2
        .value_kind:     hidden_group_size_z
      - .offset:         114
        .size:           2
        .value_kind:     hidden_remainder_x
      - .offset:         116
        .size:           2
        .value_kind:     hidden_remainder_y
      - .offset:         118
        .size:           2
        .value_kind:     hidden_remainder_z
      - .offset:         136
        .size:           8
        .value_kind:     hidden_global_offset_x
      - .offset:         144
        .size:           8
        .value_kind:     hidden_global_offset_y
      - .offset:         152
        .size:           8
        .value_kind:     hidden_global_offset_z
      - .offset:         160
        .size:           2
        .value_kind:     hidden_grid_dims
      - .offset:         216
        .size:           4
        .value_kind:     hidden_dynamic_lds_size
    .group_segment_fixed_size: 4096
    .kernarg_segment_align: 8
    .kernarg_segment_size: 352
    .language:       OpenCL C
    .language_version:
      - 2
      - 0
    .max_flat_workgroup_size: 256
    .name:           _ZN9rocsparseL27csrmvn_symm_adaptive_kernelIliffffEEvbT_S1_PKS1_NS_24const_host_device_scalarIT4_EES3_PKT0_PKT1_PKT2_S6_PT3_21rocsparse_index_base_b
    .private_segment_fixed_size: 0
    .sgpr_count:     56
    .sgpr_spill_count: 0
    .symbol:         _ZN9rocsparseL27csrmvn_symm_adaptive_kernelIliffffEEvbT_S1_PKS1_NS_24const_host_device_scalarIT4_EES3_PKT0_PKT1_PKT2_S6_PT3_21rocsparse_index_base_b.kd
    .uniform_work_group_size: 1
    .uses_dynamic_stack: false
    .vgpr_count:     22
    .vgpr_spill_count: 0
    .wavefront_size: 64
  - .args:
      - .offset:         0
        .size:           1
        .value_kind:     by_value
      - .offset:         8
        .size:           8
        .value_kind:     by_value
      - .actual_access:  read_only
        .address_space:  global
        .offset:         16
        .size:           8
        .value_kind:     global_buffer
      - .offset:         24
        .size:           8
        .value_kind:     by_value
      - .actual_access:  read_only
        .address_space:  global
        .offset:         32
        .size:           8
        .value_kind:     global_buffer
      - .actual_access:  read_only
        .address_space:  global
        .offset:         40
        .size:           8
        .value_kind:     global_buffer
      - .actual_access:  read_only
        .address_space:  global
        .offset:         48
        .size:           8
        .value_kind:     global_buffer
      - .actual_access:  read_only
        .address_space:  global
        .offset:         56
        .size:           8
        .value_kind:     global_buffer
      - .offset:         64
        .size:           8
        .value_kind:     by_value
      - .address_space:  global
        .offset:         72
        .size:           8
        .value_kind:     global_buffer
      - .offset:         80
        .size:           4
        .value_kind:     by_value
      - .offset:         84
        .size:           1
        .value_kind:     by_value
    .group_segment_fixed_size: 4096
    .kernarg_segment_align: 8
    .kernarg_segment_size: 88
    .language:       OpenCL C
    .language_version:
      - 2
      - 0
    .max_flat_workgroup_size: 256
    .name:           _ZL33csrmvn_symm_large_adaptive_kernelIliffffEvbT_PKS0_N9rocsparse24const_host_device_scalarIT4_EES2_PKT0_PKT1_PKT2_S6_PT3_21rocsparse_index_base_b
    .private_segment_fixed_size: 0
    .sgpr_count:     44
    .sgpr_spill_count: 0
    .symbol:         _ZL33csrmvn_symm_large_adaptive_kernelIliffffEvbT_PKS0_N9rocsparse24const_host_device_scalarIT4_EES2_PKT0_PKT1_PKT2_S6_PT3_21rocsparse_index_base_b.kd
    .uniform_work_group_size: 1
    .uses_dynamic_stack: false
    .vgpr_count:     17
    .vgpr_spill_count: 0
    .wavefront_size: 64
  - .args:
      - .offset:         0
        .size:           1
        .value_kind:     by_value
      - .offset:         8
        .size:           8
        .value_kind:     by_value
      - .actual_access:  read_only
        .address_space:  global
        .offset:         16
        .size:           8
        .value_kind:     global_buffer
      - .address_space:  global
        .offset:         24
        .size:           8
        .value_kind:     global_buffer
      - .actual_access:  read_only
        .address_space:  global
        .offset:         32
        .size:           8
        .value_kind:     global_buffer
      - .offset:         40
        .size:           8
        .value_kind:     by_value
      - .actual_access:  read_only
        .address_space:  global
        .offset:         48
        .size:           8
        .value_kind:     global_buffer
      - .actual_access:  read_only
        .address_space:  global
        .offset:         56
        .size:           8
        .value_kind:     global_buffer
      - .actual_access:  read_only
        .address_space:  global
        .offset:         64
        .size:           8
        .value_kind:     global_buffer
      - .actual_access:  read_only
        .address_space:  global
        .offset:         72
        .size:           8
        .value_kind:     global_buffer
      - .offset:         80
        .size:           8
        .value_kind:     by_value
      - .address_space:  global
        .offset:         88
        .size:           8
        .value_kind:     global_buffer
      - .offset:         96
        .size:           4
        .value_kind:     by_value
      - .offset:         100
        .size:           1
        .value_kind:     by_value
    .group_segment_fixed_size: 4096
    .kernarg_segment_align: 8
    .kernarg_segment_size: 104
    .language:       OpenCL C
    .language_version:
      - 2
      - 0
    .max_flat_workgroup_size: 256
    .name:           _ZN9rocsparseL22csrmvn_adaptive_kernelIllffffEEvbT_PKS1_PjPKT0_NS_24const_host_device_scalarIT4_EES3_S7_PKT1_PKT2_SA_PT3_21rocsparse_index_base_b
    .private_segment_fixed_size: 0
    .sgpr_count:     64
    .sgpr_spill_count: 0
    .symbol:         _ZN9rocsparseL22csrmvn_adaptive_kernelIllffffEEvbT_PKS1_PjPKT0_NS_24const_host_device_scalarIT4_EES3_S7_PKT1_PKT2_SA_PT3_21rocsparse_index_base_b.kd
    .uniform_work_group_size: 1
    .uses_dynamic_stack: false
    .vgpr_count:     22
    .vgpr_spill_count: 0
    .wavefront_size: 64
  - .args:
      - .offset:         0
        .size:           8
        .value_kind:     by_value
      - .offset:         8
        .size:           8
        .value_kind:     by_value
      - .offset:         16
        .size:           8
        .value_kind:     by_value
      - .offset:         24
        .size:           8
        .value_kind:     by_value
      - .address_space:  global
        .offset:         32
        .size:           8
        .value_kind:     global_buffer
      - .offset:         40
        .size:           1
        .value_kind:     by_value
    .group_segment_fixed_size: 0
    .kernarg_segment_align: 8
    .kernarg_segment_size: 44
    .language:       OpenCL C
    .language_version:
      - 2
      - 0
    .max_flat_workgroup_size: 256
    .name:           _ZN9rocsparseL22partial_scale_y_kernelIlffEEvT_S1_S1_NS_24const_host_device_scalarIT1_EEPT0_b
    .private_segment_fixed_size: 0
    .sgpr_count:     20
    .sgpr_spill_count: 0
    .symbol:         _ZN9rocsparseL22partial_scale_y_kernelIlffEEvT_S1_S1_NS_24const_host_device_scalarIT1_EEPT0_b.kd
    .uniform_work_group_size: 1
    .uses_dynamic_stack: false
    .vgpr_count:     4
    .vgpr_spill_count: 0
    .wavefront_size: 64
  - .args:
      - .offset:         0
        .size:           1
        .value_kind:     by_value
      - .offset:         8
        .size:           8
        .value_kind:     by_value
      - .offset:         16
        .size:           8
        .value_kind:     by_value
      - .actual_access:  read_only
        .address_space:  global
        .offset:         24
        .size:           8
        .value_kind:     global_buffer
      - .offset:         32
        .size:           8
        .value_kind:     by_value
      - .actual_access:  read_only
        .address_space:  global
        .offset:         40
        .size:           8
        .value_kind:     global_buffer
      - .actual_access:  read_only
        .address_space:  global
        .offset:         48
        .size:           8
        .value_kind:     global_buffer
      - .actual_access:  read_only
        .address_space:  global
        .offset:         56
        .size:           8
        .value_kind:     global_buffer
      - .actual_access:  read_only
        .address_space:  global
        .offset:         64
        .size:           8
        .value_kind:     global_buffer
      - .offset:         72
        .size:           8
        .value_kind:     by_value
      - .address_space:  global
        .offset:         80
        .size:           8
        .value_kind:     global_buffer
      - .offset:         88
        .size:           4
        .value_kind:     by_value
      - .offset:         92
        .size:           1
        .value_kind:     by_value
      - .offset:         96
        .size:           4
        .value_kind:     hidden_block_count_x
      - .offset:         100
        .size:           4
        .value_kind:     hidden_block_count_y
      - .offset:         104
        .size:           4
        .value_kind:     hidden_block_count_z
      - .offset:         108
        .size:           2
        .value_kind:     hidden_group_size_x
      - .offset:         110
        .size:           2
        .value_kind:     hidden_group_size_y
      - .offset:         112
        .size:           2
        .value_kind:     hidden_group_size_z
      - .offset:         114
        .size:           2
        .value_kind:     hidden_remainder_x
      - .offset:         116
        .size:           2
        .value_kind:     hidden_remainder_y
      - .offset:         118
        .size:           2
        .value_kind:     hidden_remainder_z
      - .offset:         136
        .size:           8
        .value_kind:     hidden_global_offset_x
      - .offset:         144
        .size:           8
        .value_kind:     hidden_global_offset_y
      - .offset:         152
        .size:           8
        .value_kind:     hidden_global_offset_z
      - .offset:         160
        .size:           2
        .value_kind:     hidden_grid_dims
      - .offset:         216
        .size:           4
        .value_kind:     hidden_dynamic_lds_size
    .group_segment_fixed_size: 4096
    .kernarg_segment_align: 8
    .kernarg_segment_size: 352
    .language:       OpenCL C
    .language_version:
      - 2
      - 0
    .max_flat_workgroup_size: 256
    .name:           _ZN9rocsparseL27csrmvn_symm_adaptive_kernelIllffffEEvbT_S1_PKS1_NS_24const_host_device_scalarIT4_EES3_PKT0_PKT1_PKT2_S6_PT3_21rocsparse_index_base_b
    .private_segment_fixed_size: 0
    .sgpr_count:     56
    .sgpr_spill_count: 0
    .symbol:         _ZN9rocsparseL27csrmvn_symm_adaptive_kernelIllffffEEvbT_S1_PKS1_NS_24const_host_device_scalarIT4_EES3_PKT0_PKT1_PKT2_S6_PT3_21rocsparse_index_base_b.kd
    .uniform_work_group_size: 1
    .uses_dynamic_stack: false
    .vgpr_count:     22
    .vgpr_spill_count: 0
    .wavefront_size: 64
  - .args:
      - .offset:         0
        .size:           1
        .value_kind:     by_value
      - .offset:         8
        .size:           8
        .value_kind:     by_value
      - .actual_access:  read_only
        .address_space:  global
        .offset:         16
        .size:           8
        .value_kind:     global_buffer
      - .offset:         24
        .size:           8
        .value_kind:     by_value
      - .actual_access:  read_only
        .address_space:  global
        .offset:         32
        .size:           8
        .value_kind:     global_buffer
      - .actual_access:  read_only
        .address_space:  global
        .offset:         40
        .size:           8
        .value_kind:     global_buffer
      - .actual_access:  read_only
        .address_space:  global
        .offset:         48
        .size:           8
        .value_kind:     global_buffer
      - .actual_access:  read_only
        .address_space:  global
        .offset:         56
        .size:           8
        .value_kind:     global_buffer
      - .offset:         64
        .size:           8
        .value_kind:     by_value
      - .address_space:  global
        .offset:         72
        .size:           8
        .value_kind:     global_buffer
      - .offset:         80
        .size:           4
        .value_kind:     by_value
      - .offset:         84
        .size:           1
        .value_kind:     by_value
    .group_segment_fixed_size: 4096
    .kernarg_segment_align: 8
    .kernarg_segment_size: 88
    .language:       OpenCL C
    .language_version:
      - 2
      - 0
    .max_flat_workgroup_size: 256
    .name:           _ZL33csrmvn_symm_large_adaptive_kernelIllffffEvbT_PKS0_N9rocsparse24const_host_device_scalarIT4_EES2_PKT0_PKT1_PKT2_S6_PT3_21rocsparse_index_base_b
    .private_segment_fixed_size: 0
    .sgpr_count:     44
    .sgpr_spill_count: 0
    .symbol:         _ZL33csrmvn_symm_large_adaptive_kernelIllffffEvbT_PKS0_N9rocsparse24const_host_device_scalarIT4_EES2_PKT0_PKT1_PKT2_S6_PT3_21rocsparse_index_base_b.kd
    .uniform_work_group_size: 1
    .uses_dynamic_stack: false
    .vgpr_count:     17
    .vgpr_spill_count: 0
    .wavefront_size: 64
  - .args:
      - .offset:         0
        .size:           1
        .value_kind:     by_value
      - .offset:         4
        .size:           4
        .value_kind:     by_value
      - .actual_access:  read_only
        .address_space:  global
        .offset:         8
        .size:           8
        .value_kind:     global_buffer
      - .address_space:  global
        .offset:         16
        .size:           8
        .value_kind:     global_buffer
      - .actual_access:  read_only
        .address_space:  global
        .offset:         24
        .size:           8
        .value_kind:     global_buffer
      - .offset:         32
        .size:           8
        .value_kind:     by_value
      - .actual_access:  read_only
        .address_space:  global
        .offset:         40
        .size:           8
        .value_kind:     global_buffer
      - .actual_access:  read_only
        .address_space:  global
        .offset:         48
        .size:           8
        .value_kind:     global_buffer
      - .actual_access:  read_only
        .address_space:  global
        .offset:         56
        .size:           8
        .value_kind:     global_buffer
      - .actual_access:  read_only
        .address_space:  global
        .offset:         64
        .size:           8
        .value_kind:     global_buffer
      - .offset:         72
        .size:           8
        .value_kind:     by_value
      - .address_space:  global
        .offset:         80
        .size:           8
        .value_kind:     global_buffer
      - .offset:         88
        .size:           4
        .value_kind:     by_value
      - .offset:         92
        .size:           1
        .value_kind:     by_value
    .group_segment_fixed_size: 8192
    .kernarg_segment_align: 8
    .kernarg_segment_size: 96
    .language:       OpenCL C
    .language_version:
      - 2
      - 0
    .max_flat_workgroup_size: 256
    .name:           _ZN9rocsparseL22csrmvn_adaptive_kernelIiiddddEEvbT_PKS1_PjPKT0_NS_24const_host_device_scalarIT4_EES3_S7_PKT1_PKT2_SA_PT3_21rocsparse_index_base_b
    .private_segment_fixed_size: 0
    .sgpr_count:     56
    .sgpr_spill_count: 0
    .symbol:         _ZN9rocsparseL22csrmvn_adaptive_kernelIiiddddEEvbT_PKS1_PjPKT0_NS_24const_host_device_scalarIT4_EES3_S7_PKT1_PKT2_SA_PT3_21rocsparse_index_base_b.kd
    .uniform_work_group_size: 1
    .uses_dynamic_stack: false
    .vgpr_count:     30
    .vgpr_spill_count: 0
    .wavefront_size: 64
  - .args:
      - .offset:         0
        .size:           4
        .value_kind:     by_value
      - .offset:         4
        .size:           4
        .value_kind:     by_value
      - .offset:         8
        .size:           4
        .value_kind:     by_value
      - .offset:         16
        .size:           8
        .value_kind:     by_value
      - .address_space:  global
        .offset:         24
        .size:           8
        .value_kind:     global_buffer
      - .offset:         32
        .size:           1
        .value_kind:     by_value
    .group_segment_fixed_size: 0
    .kernarg_segment_align: 8
    .kernarg_segment_size: 36
    .language:       OpenCL C
    .language_version:
      - 2
      - 0
    .max_flat_workgroup_size: 256
    .name:           _ZN9rocsparseL22partial_scale_y_kernelIiddEEvT_S1_S1_NS_24const_host_device_scalarIT1_EEPT0_b
    .private_segment_fixed_size: 0
    .sgpr_count:     16
    .sgpr_spill_count: 0
    .symbol:         _ZN9rocsparseL22partial_scale_y_kernelIiddEEvT_S1_S1_NS_24const_host_device_scalarIT1_EEPT0_b.kd
    .uniform_work_group_size: 1
    .uses_dynamic_stack: false
    .vgpr_count:     7
    .vgpr_spill_count: 0
    .wavefront_size: 64
  - .args:
      - .offset:         0
        .size:           1
        .value_kind:     by_value
      - .offset:         4
        .size:           4
        .value_kind:     by_value
      - .offset:         8
        .size:           4
        .value_kind:     by_value
      - .actual_access:  read_only
        .address_space:  global
        .offset:         16
        .size:           8
        .value_kind:     global_buffer
      - .offset:         24
        .size:           8
        .value_kind:     by_value
      - .actual_access:  read_only
        .address_space:  global
        .offset:         32
        .size:           8
        .value_kind:     global_buffer
      - .actual_access:  read_only
        .address_space:  global
        .offset:         40
        .size:           8
        .value_kind:     global_buffer
      - .actual_access:  read_only
        .address_space:  global
        .offset:         48
        .size:           8
        .value_kind:     global_buffer
      - .actual_access:  read_only
        .address_space:  global
        .offset:         56
        .size:           8
        .value_kind:     global_buffer
      - .offset:         64
        .size:           8
        .value_kind:     by_value
      - .address_space:  global
        .offset:         72
        .size:           8
        .value_kind:     global_buffer
      - .offset:         80
        .size:           4
        .value_kind:     by_value
      - .offset:         84
        .size:           1
        .value_kind:     by_value
      - .offset:         88
        .size:           4
        .value_kind:     hidden_block_count_x
      - .offset:         92
        .size:           4
        .value_kind:     hidden_block_count_y
      - .offset:         96
        .size:           4
        .value_kind:     hidden_block_count_z
      - .offset:         100
        .size:           2
        .value_kind:     hidden_group_size_x
      - .offset:         102
        .size:           2
        .value_kind:     hidden_group_size_y
      - .offset:         104
        .size:           2
        .value_kind:     hidden_group_size_z
      - .offset:         106
        .size:           2
        .value_kind:     hidden_remainder_x
      - .offset:         108
        .size:           2
        .value_kind:     hidden_remainder_y
      - .offset:         110
        .size:           2
        .value_kind:     hidden_remainder_z
      - .offset:         128
        .size:           8
        .value_kind:     hidden_global_offset_x
      - .offset:         136
        .size:           8
        .value_kind:     hidden_global_offset_y
      - .offset:         144
        .size:           8
        .value_kind:     hidden_global_offset_z
      - .offset:         152
        .size:           2
        .value_kind:     hidden_grid_dims
      - .offset:         208
        .size:           4
        .value_kind:     hidden_dynamic_lds_size
    .group_segment_fixed_size: 8192
    .kernarg_segment_align: 8
    .kernarg_segment_size: 344
    .language:       OpenCL C
    .language_version:
      - 2
      - 0
    .max_flat_workgroup_size: 256
    .name:           _ZN9rocsparseL27csrmvn_symm_adaptive_kernelIiiddddEEvbT_S1_PKS1_NS_24const_host_device_scalarIT4_EES3_PKT0_PKT1_PKT2_S6_PT3_21rocsparse_index_base_b
    .private_segment_fixed_size: 0
    .sgpr_count:     42
    .sgpr_spill_count: 0
    .symbol:         _ZN9rocsparseL27csrmvn_symm_adaptive_kernelIiiddddEEvbT_S1_PKS1_NS_24const_host_device_scalarIT4_EES3_PKT0_PKT1_PKT2_S6_PT3_21rocsparse_index_base_b.kd
    .uniform_work_group_size: 1
    .uses_dynamic_stack: false
    .vgpr_count:     21
    .vgpr_spill_count: 0
    .wavefront_size: 64
  - .args:
      - .offset:         0
        .size:           1
        .value_kind:     by_value
      - .offset:         4
        .size:           4
        .value_kind:     by_value
      - .actual_access:  read_only
        .address_space:  global
        .offset:         8
        .size:           8
        .value_kind:     global_buffer
      - .offset:         16
        .size:           8
        .value_kind:     by_value
      - .actual_access:  read_only
        .address_space:  global
        .offset:         24
        .size:           8
        .value_kind:     global_buffer
      - .actual_access:  read_only
        .address_space:  global
        .offset:         32
        .size:           8
        .value_kind:     global_buffer
      - .actual_access:  read_only
        .address_space:  global
        .offset:         40
        .size:           8
        .value_kind:     global_buffer
      - .actual_access:  read_only
        .address_space:  global
        .offset:         48
        .size:           8
        .value_kind:     global_buffer
      - .offset:         56
        .size:           8
        .value_kind:     by_value
      - .address_space:  global
        .offset:         64
        .size:           8
        .value_kind:     global_buffer
      - .offset:         72
        .size:           4
        .value_kind:     by_value
      - .offset:         76
        .size:           1
        .value_kind:     by_value
    .group_segment_fixed_size: 8192
    .kernarg_segment_align: 8
    .kernarg_segment_size: 80
    .language:       OpenCL C
    .language_version:
      - 2
      - 0
    .max_flat_workgroup_size: 256
    .name:           _ZL33csrmvn_symm_large_adaptive_kernelIiiddddEvbT_PKS0_N9rocsparse24const_host_device_scalarIT4_EES2_PKT0_PKT1_PKT2_S6_PT3_21rocsparse_index_base_b
    .private_segment_fixed_size: 0
    .sgpr_count:     34
    .sgpr_spill_count: 0
    .symbol:         _ZL33csrmvn_symm_large_adaptive_kernelIiiddddEvbT_PKS0_N9rocsparse24const_host_device_scalarIT4_EES2_PKT0_PKT1_PKT2_S6_PT3_21rocsparse_index_base_b.kd
    .uniform_work_group_size: 1
    .uses_dynamic_stack: false
    .vgpr_count:     18
    .vgpr_spill_count: 0
    .wavefront_size: 64
  - .args:
      - .offset:         0
        .size:           1
        .value_kind:     by_value
      - .offset:         8
        .size:           8
        .value_kind:     by_value
      - .actual_access:  read_only
        .address_space:  global
        .offset:         16
        .size:           8
        .value_kind:     global_buffer
      - .address_space:  global
        .offset:         24
        .size:           8
        .value_kind:     global_buffer
      - .actual_access:  read_only
        .address_space:  global
        .offset:         32
        .size:           8
        .value_kind:     global_buffer
      - .offset:         40
        .size:           8
        .value_kind:     by_value
      - .actual_access:  read_only
        .address_space:  global
        .offset:         48
        .size:           8
        .value_kind:     global_buffer
      - .actual_access:  read_only
        .address_space:  global
        .offset:         56
        .size:           8
        .value_kind:     global_buffer
      - .actual_access:  read_only
        .address_space:  global
        .offset:         64
        .size:           8
        .value_kind:     global_buffer
      - .actual_access:  read_only
        .address_space:  global
        .offset:         72
        .size:           8
        .value_kind:     global_buffer
      - .offset:         80
        .size:           8
        .value_kind:     by_value
      - .address_space:  global
        .offset:         88
        .size:           8
        .value_kind:     global_buffer
      - .offset:         96
        .size:           4
        .value_kind:     by_value
      - .offset:         100
        .size:           1
        .value_kind:     by_value
    .group_segment_fixed_size: 8192
    .kernarg_segment_align: 8
    .kernarg_segment_size: 104
    .language:       OpenCL C
    .language_version:
      - 2
      - 0
    .max_flat_workgroup_size: 256
    .name:           _ZN9rocsparseL22csrmvn_adaptive_kernelIliddddEEvbT_PKS1_PjPKT0_NS_24const_host_device_scalarIT4_EES3_S7_PKT1_PKT2_SA_PT3_21rocsparse_index_base_b
    .private_segment_fixed_size: 0
    .sgpr_count:     64
    .sgpr_spill_count: 0
    .symbol:         _ZN9rocsparseL22csrmvn_adaptive_kernelIliddddEEvbT_PKS1_PjPKT0_NS_24const_host_device_scalarIT4_EES3_S7_PKT1_PKT2_SA_PT3_21rocsparse_index_base_b.kd
    .uniform_work_group_size: 1
    .uses_dynamic_stack: false
    .vgpr_count:     30
    .vgpr_spill_count: 0
    .wavefront_size: 64
  - .args:
      - .offset:         0
        .size:           1
        .value_kind:     by_value
      - .offset:         8
        .size:           8
        .value_kind:     by_value
      - .offset:         16
        .size:           8
        .value_kind:     by_value
      - .actual_access:  read_only
        .address_space:  global
        .offset:         24
        .size:           8
        .value_kind:     global_buffer
      - .offset:         32
        .size:           8
        .value_kind:     by_value
      - .actual_access:  read_only
        .address_space:  global
        .offset:         40
        .size:           8
        .value_kind:     global_buffer
      - .actual_access:  read_only
        .address_space:  global
        .offset:         48
        .size:           8
        .value_kind:     global_buffer
      - .actual_access:  read_only
        .address_space:  global
        .offset:         56
        .size:           8
        .value_kind:     global_buffer
      - .actual_access:  read_only
        .address_space:  global
        .offset:         64
        .size:           8
        .value_kind:     global_buffer
      - .offset:         72
        .size:           8
        .value_kind:     by_value
      - .address_space:  global
        .offset:         80
        .size:           8
        .value_kind:     global_buffer
      - .offset:         88
        .size:           4
        .value_kind:     by_value
      - .offset:         92
        .size:           1
        .value_kind:     by_value
      - .offset:         96
        .size:           4
        .value_kind:     hidden_block_count_x
      - .offset:         100
        .size:           4
        .value_kind:     hidden_block_count_y
      - .offset:         104
        .size:           4
        .value_kind:     hidden_block_count_z
      - .offset:         108
        .size:           2
        .value_kind:     hidden_group_size_x
      - .offset:         110
        .size:           2
        .value_kind:     hidden_group_size_y
      - .offset:         112
        .size:           2
        .value_kind:     hidden_group_size_z
      - .offset:         114
        .size:           2
        .value_kind:     hidden_remainder_x
      - .offset:         116
        .size:           2
        .value_kind:     hidden_remainder_y
      - .offset:         118
        .size:           2
        .value_kind:     hidden_remainder_z
      - .offset:         136
        .size:           8
        .value_kind:     hidden_global_offset_x
      - .offset:         144
        .size:           8
        .value_kind:     hidden_global_offset_y
      - .offset:         152
        .size:           8
        .value_kind:     hidden_global_offset_z
      - .offset:         160
        .size:           2
        .value_kind:     hidden_grid_dims
      - .offset:         216
        .size:           4
        .value_kind:     hidden_dynamic_lds_size
    .group_segment_fixed_size: 8192
    .kernarg_segment_align: 8
    .kernarg_segment_size: 352
    .language:       OpenCL C
    .language_version:
      - 2
      - 0
    .max_flat_workgroup_size: 256
    .name:           _ZN9rocsparseL27csrmvn_symm_adaptive_kernelIliddddEEvbT_S1_PKS1_NS_24const_host_device_scalarIT4_EES3_PKT0_PKT1_PKT2_S6_PT3_21rocsparse_index_base_b
    .private_segment_fixed_size: 0
    .sgpr_count:     56
    .sgpr_spill_count: 0
    .symbol:         _ZN9rocsparseL27csrmvn_symm_adaptive_kernelIliddddEEvbT_S1_PKS1_NS_24const_host_device_scalarIT4_EES3_PKT0_PKT1_PKT2_S6_PT3_21rocsparse_index_base_b.kd
    .uniform_work_group_size: 1
    .uses_dynamic_stack: false
    .vgpr_count:     23
    .vgpr_spill_count: 0
    .wavefront_size: 64
  - .args:
      - .offset:         0
        .size:           1
        .value_kind:     by_value
      - .offset:         8
        .size:           8
        .value_kind:     by_value
      - .actual_access:  read_only
        .address_space:  global
        .offset:         16
        .size:           8
        .value_kind:     global_buffer
      - .offset:         24
        .size:           8
        .value_kind:     by_value
      - .actual_access:  read_only
        .address_space:  global
        .offset:         32
        .size:           8
        .value_kind:     global_buffer
      - .actual_access:  read_only
        .address_space:  global
        .offset:         40
        .size:           8
        .value_kind:     global_buffer
      - .actual_access:  read_only
        .address_space:  global
        .offset:         48
        .size:           8
        .value_kind:     global_buffer
      - .actual_access:  read_only
        .address_space:  global
        .offset:         56
        .size:           8
        .value_kind:     global_buffer
      - .offset:         64
        .size:           8
        .value_kind:     by_value
      - .address_space:  global
        .offset:         72
        .size:           8
        .value_kind:     global_buffer
      - .offset:         80
        .size:           4
        .value_kind:     by_value
      - .offset:         84
        .size:           1
        .value_kind:     by_value
    .group_segment_fixed_size: 8192
    .kernarg_segment_align: 8
    .kernarg_segment_size: 88
    .language:       OpenCL C
    .language_version:
      - 2
      - 0
    .max_flat_workgroup_size: 256
    .name:           _ZL33csrmvn_symm_large_adaptive_kernelIliddddEvbT_PKS0_N9rocsparse24const_host_device_scalarIT4_EES2_PKT0_PKT1_PKT2_S6_PT3_21rocsparse_index_base_b
    .private_segment_fixed_size: 0
    .sgpr_count:     44
    .sgpr_spill_count: 0
    .symbol:         _ZL33csrmvn_symm_large_adaptive_kernelIliddddEvbT_PKS0_N9rocsparse24const_host_device_scalarIT4_EES2_PKT0_PKT1_PKT2_S6_PT3_21rocsparse_index_base_b.kd
    .uniform_work_group_size: 1
    .uses_dynamic_stack: false
    .vgpr_count:     21
    .vgpr_spill_count: 0
    .wavefront_size: 64
  - .args:
      - .offset:         0
        .size:           1
        .value_kind:     by_value
      - .offset:         8
        .size:           8
        .value_kind:     by_value
      - .actual_access:  read_only
        .address_space:  global
        .offset:         16
        .size:           8
        .value_kind:     global_buffer
      - .address_space:  global
        .offset:         24
        .size:           8
        .value_kind:     global_buffer
      - .actual_access:  read_only
        .address_space:  global
        .offset:         32
        .size:           8
        .value_kind:     global_buffer
      - .offset:         40
        .size:           8
        .value_kind:     by_value
      - .actual_access:  read_only
        .address_space:  global
        .offset:         48
        .size:           8
        .value_kind:     global_buffer
      - .actual_access:  read_only
        .address_space:  global
        .offset:         56
        .size:           8
        .value_kind:     global_buffer
      - .actual_access:  read_only
        .address_space:  global
        .offset:         64
        .size:           8
        .value_kind:     global_buffer
      - .actual_access:  read_only
        .address_space:  global
        .offset:         72
        .size:           8
        .value_kind:     global_buffer
      - .offset:         80
        .size:           8
        .value_kind:     by_value
      - .address_space:  global
        .offset:         88
        .size:           8
        .value_kind:     global_buffer
      - .offset:         96
        .size:           4
        .value_kind:     by_value
      - .offset:         100
        .size:           1
        .value_kind:     by_value
    .group_segment_fixed_size: 8192
    .kernarg_segment_align: 8
    .kernarg_segment_size: 104
    .language:       OpenCL C
    .language_version:
      - 2
      - 0
    .max_flat_workgroup_size: 256
    .name:           _ZN9rocsparseL22csrmvn_adaptive_kernelIllddddEEvbT_PKS1_PjPKT0_NS_24const_host_device_scalarIT4_EES3_S7_PKT1_PKT2_SA_PT3_21rocsparse_index_base_b
    .private_segment_fixed_size: 0
    .sgpr_count:     64
    .sgpr_spill_count: 0
    .symbol:         _ZN9rocsparseL22csrmvn_adaptive_kernelIllddddEEvbT_PKS1_PjPKT0_NS_24const_host_device_scalarIT4_EES3_S7_PKT1_PKT2_SA_PT3_21rocsparse_index_base_b.kd
    .uniform_work_group_size: 1
    .uses_dynamic_stack: false
    .vgpr_count:     28
    .vgpr_spill_count: 0
    .wavefront_size: 64
  - .args:
      - .offset:         0
        .size:           8
        .value_kind:     by_value
      - .offset:         8
        .size:           8
        .value_kind:     by_value
      - .offset:         16
        .size:           8
        .value_kind:     by_value
      - .offset:         24
        .size:           8
        .value_kind:     by_value
      - .address_space:  global
        .offset:         32
        .size:           8
        .value_kind:     global_buffer
      - .offset:         40
        .size:           1
        .value_kind:     by_value
    .group_segment_fixed_size: 0
    .kernarg_segment_align: 8
    .kernarg_segment_size: 44
    .language:       OpenCL C
    .language_version:
      - 2
      - 0
    .max_flat_workgroup_size: 256
    .name:           _ZN9rocsparseL22partial_scale_y_kernelIlddEEvT_S1_S1_NS_24const_host_device_scalarIT1_EEPT0_b
    .private_segment_fixed_size: 0
    .sgpr_count:     20
    .sgpr_spill_count: 0
    .symbol:         _ZN9rocsparseL22partial_scale_y_kernelIlddEEvT_S1_S1_NS_24const_host_device_scalarIT1_EEPT0_b.kd
    .uniform_work_group_size: 1
    .uses_dynamic_stack: false
    .vgpr_count:     7
    .vgpr_spill_count: 0
    .wavefront_size: 64
  - .args:
      - .offset:         0
        .size:           1
        .value_kind:     by_value
      - .offset:         8
        .size:           8
        .value_kind:     by_value
      - .offset:         16
        .size:           8
        .value_kind:     by_value
      - .actual_access:  read_only
        .address_space:  global
        .offset:         24
        .size:           8
        .value_kind:     global_buffer
      - .offset:         32
        .size:           8
        .value_kind:     by_value
      - .actual_access:  read_only
        .address_space:  global
        .offset:         40
        .size:           8
        .value_kind:     global_buffer
      - .actual_access:  read_only
        .address_space:  global
        .offset:         48
        .size:           8
        .value_kind:     global_buffer
      - .actual_access:  read_only
        .address_space:  global
        .offset:         56
        .size:           8
        .value_kind:     global_buffer
      - .actual_access:  read_only
        .address_space:  global
        .offset:         64
        .size:           8
        .value_kind:     global_buffer
      - .offset:         72
        .size:           8
        .value_kind:     by_value
      - .address_space:  global
        .offset:         80
        .size:           8
        .value_kind:     global_buffer
      - .offset:         88
        .size:           4
        .value_kind:     by_value
      - .offset:         92
        .size:           1
        .value_kind:     by_value
      - .offset:         96
        .size:           4
        .value_kind:     hidden_block_count_x
      - .offset:         100
        .size:           4
        .value_kind:     hidden_block_count_y
      - .offset:         104
        .size:           4
        .value_kind:     hidden_block_count_z
      - .offset:         108
        .size:           2
        .value_kind:     hidden_group_size_x
      - .offset:         110
        .size:           2
        .value_kind:     hidden_group_size_y
      - .offset:         112
        .size:           2
        .value_kind:     hidden_group_size_z
      - .offset:         114
        .size:           2
        .value_kind:     hidden_remainder_x
      - .offset:         116
        .size:           2
        .value_kind:     hidden_remainder_y
      - .offset:         118
        .size:           2
        .value_kind:     hidden_remainder_z
      - .offset:         136
        .size:           8
        .value_kind:     hidden_global_offset_x
      - .offset:         144
        .size:           8
        .value_kind:     hidden_global_offset_y
      - .offset:         152
        .size:           8
        .value_kind:     hidden_global_offset_z
      - .offset:         160
        .size:           2
        .value_kind:     hidden_grid_dims
      - .offset:         216
        .size:           4
        .value_kind:     hidden_dynamic_lds_size
    .group_segment_fixed_size: 8192
    .kernarg_segment_align: 8
    .kernarg_segment_size: 352
    .language:       OpenCL C
    .language_version:
      - 2
      - 0
    .max_flat_workgroup_size: 256
    .name:           _ZN9rocsparseL27csrmvn_symm_adaptive_kernelIllddddEEvbT_S1_PKS1_NS_24const_host_device_scalarIT4_EES3_PKT0_PKT1_PKT2_S6_PT3_21rocsparse_index_base_b
    .private_segment_fixed_size: 0
    .sgpr_count:     56
    .sgpr_spill_count: 0
    .symbol:         _ZN9rocsparseL27csrmvn_symm_adaptive_kernelIllddddEEvbT_S1_PKS1_NS_24const_host_device_scalarIT4_EES3_PKT0_PKT1_PKT2_S6_PT3_21rocsparse_index_base_b.kd
    .uniform_work_group_size: 1
    .uses_dynamic_stack: false
    .vgpr_count:     23
    .vgpr_spill_count: 0
    .wavefront_size: 64
  - .args:
      - .offset:         0
        .size:           1
        .value_kind:     by_value
      - .offset:         8
        .size:           8
        .value_kind:     by_value
      - .actual_access:  read_only
        .address_space:  global
        .offset:         16
        .size:           8
        .value_kind:     global_buffer
      - .offset:         24
        .size:           8
        .value_kind:     by_value
      - .actual_access:  read_only
        .address_space:  global
        .offset:         32
        .size:           8
        .value_kind:     global_buffer
      - .actual_access:  read_only
        .address_space:  global
        .offset:         40
        .size:           8
        .value_kind:     global_buffer
      - .actual_access:  read_only
        .address_space:  global
        .offset:         48
        .size:           8
        .value_kind:     global_buffer
      - .actual_access:  read_only
        .address_space:  global
        .offset:         56
        .size:           8
        .value_kind:     global_buffer
      - .offset:         64
        .size:           8
        .value_kind:     by_value
      - .address_space:  global
        .offset:         72
        .size:           8
        .value_kind:     global_buffer
      - .offset:         80
        .size:           4
        .value_kind:     by_value
      - .offset:         84
        .size:           1
        .value_kind:     by_value
    .group_segment_fixed_size: 8192
    .kernarg_segment_align: 8
    .kernarg_segment_size: 88
    .language:       OpenCL C
    .language_version:
      - 2
      - 0
    .max_flat_workgroup_size: 256
    .name:           _ZL33csrmvn_symm_large_adaptive_kernelIllddddEvbT_PKS0_N9rocsparse24const_host_device_scalarIT4_EES2_PKT0_PKT1_PKT2_S6_PT3_21rocsparse_index_base_b
    .private_segment_fixed_size: 0
    .sgpr_count:     44
    .sgpr_spill_count: 0
    .symbol:         _ZL33csrmvn_symm_large_adaptive_kernelIllddddEvbT_PKS0_N9rocsparse24const_host_device_scalarIT4_EES2_PKT0_PKT1_PKT2_S6_PT3_21rocsparse_index_base_b.kd
    .uniform_work_group_size: 1
    .uses_dynamic_stack: false
    .vgpr_count:     21
    .vgpr_spill_count: 0
    .wavefront_size: 64
  - .args:
      - .offset:         0
        .size:           1
        .value_kind:     by_value
      - .offset:         4
        .size:           4
        .value_kind:     by_value
      - .actual_access:  read_only
        .address_space:  global
        .offset:         8
        .size:           8
        .value_kind:     global_buffer
      - .address_space:  global
        .offset:         16
        .size:           8
        .value_kind:     global_buffer
      - .actual_access:  read_only
        .address_space:  global
        .offset:         24
        .size:           8
        .value_kind:     global_buffer
      - .offset:         32
        .size:           8
        .value_kind:     by_value
      - .actual_access:  read_only
        .address_space:  global
        .offset:         40
        .size:           8
        .value_kind:     global_buffer
      - .actual_access:  read_only
        .address_space:  global
        .offset:         48
        .size:           8
        .value_kind:     global_buffer
      - .actual_access:  read_only
        .address_space:  global
        .offset:         56
        .size:           8
        .value_kind:     global_buffer
      - .actual_access:  read_only
        .address_space:  global
        .offset:         64
        .size:           8
        .value_kind:     global_buffer
      - .offset:         72
        .size:           8
        .value_kind:     by_value
      - .address_space:  global
        .offset:         80
        .size:           8
        .value_kind:     global_buffer
      - .offset:         88
        .size:           4
        .value_kind:     by_value
      - .offset:         92
        .size:           1
        .value_kind:     by_value
    .group_segment_fixed_size: 8192
    .kernarg_segment_align: 8
    .kernarg_segment_size: 96
    .language:       OpenCL C
    .language_version:
      - 2
      - 0
    .max_flat_workgroup_size: 256
    .name:           _ZN9rocsparseL22csrmvn_adaptive_kernelIii21rocsparse_complex_numIfES2_S2_S2_EEvbT_PKS3_PjPKT0_NS_24const_host_device_scalarIT4_EES5_S9_PKT1_PKT2_SC_PT3_21rocsparse_index_base_b
    .private_segment_fixed_size: 0
    .sgpr_count:     61
    .sgpr_spill_count: 0
    .symbol:         _ZN9rocsparseL22csrmvn_adaptive_kernelIii21rocsparse_complex_numIfES2_S2_S2_EEvbT_PKS3_PjPKT0_NS_24const_host_device_scalarIT4_EES5_S9_PKT1_PKT2_SC_PT3_21rocsparse_index_base_b.kd
    .uniform_work_group_size: 1
    .uses_dynamic_stack: false
    .vgpr_count:     29
    .vgpr_spill_count: 0
    .wavefront_size: 64
  - .args:
      - .offset:         0
        .size:           4
        .value_kind:     by_value
      - .offset:         4
        .size:           4
        .value_kind:     by_value
      - .offset:         8
        .size:           4
        .value_kind:     by_value
      - .offset:         16
        .size:           8
        .value_kind:     by_value
      - .address_space:  global
        .offset:         24
        .size:           8
        .value_kind:     global_buffer
      - .offset:         32
        .size:           1
        .value_kind:     by_value
    .group_segment_fixed_size: 0
    .kernarg_segment_align: 8
    .kernarg_segment_size: 36
    .language:       OpenCL C
    .language_version:
      - 2
      - 0
    .max_flat_workgroup_size: 256
    .name:           _ZN9rocsparseL22partial_scale_y_kernelIi21rocsparse_complex_numIfES2_EEvT_S3_S3_NS_24const_host_device_scalarIT1_EEPT0_b
    .private_segment_fixed_size: 0
    .sgpr_count:     16
    .sgpr_spill_count: 0
    .symbol:         _ZN9rocsparseL22partial_scale_y_kernelIi21rocsparse_complex_numIfES2_EEvT_S3_S3_NS_24const_host_device_scalarIT1_EEPT0_b.kd
    .uniform_work_group_size: 1
    .uses_dynamic_stack: false
    .vgpr_count:     9
    .vgpr_spill_count: 0
    .wavefront_size: 64
  - .args:
      - .offset:         0
        .size:           1
        .value_kind:     by_value
      - .offset:         4
        .size:           4
        .value_kind:     by_value
      - .offset:         8
        .size:           4
        .value_kind:     by_value
      - .actual_access:  read_only
        .address_space:  global
        .offset:         16
        .size:           8
        .value_kind:     global_buffer
      - .offset:         24
        .size:           8
        .value_kind:     by_value
      - .actual_access:  read_only
        .address_space:  global
        .offset:         32
        .size:           8
        .value_kind:     global_buffer
      - .actual_access:  read_only
        .address_space:  global
        .offset:         40
        .size:           8
        .value_kind:     global_buffer
      - .actual_access:  read_only
        .address_space:  global
        .offset:         48
        .size:           8
        .value_kind:     global_buffer
      - .actual_access:  read_only
        .address_space:  global
        .offset:         56
        .size:           8
        .value_kind:     global_buffer
      - .offset:         64
        .size:           8
        .value_kind:     by_value
      - .address_space:  global
        .offset:         72
        .size:           8
        .value_kind:     global_buffer
      - .offset:         80
        .size:           4
        .value_kind:     by_value
      - .offset:         84
        .size:           1
        .value_kind:     by_value
      - .offset:         88
        .size:           4
        .value_kind:     hidden_block_count_x
      - .offset:         92
        .size:           4
        .value_kind:     hidden_block_count_y
      - .offset:         96
        .size:           4
        .value_kind:     hidden_block_count_z
      - .offset:         100
        .size:           2
        .value_kind:     hidden_group_size_x
      - .offset:         102
        .size:           2
        .value_kind:     hidden_group_size_y
      - .offset:         104
        .size:           2
        .value_kind:     hidden_group_size_z
      - .offset:         106
        .size:           2
        .value_kind:     hidden_remainder_x
      - .offset:         108
        .size:           2
        .value_kind:     hidden_remainder_y
      - .offset:         110
        .size:           2
        .value_kind:     hidden_remainder_z
      - .offset:         128
        .size:           8
        .value_kind:     hidden_global_offset_x
      - .offset:         136
        .size:           8
        .value_kind:     hidden_global_offset_y
      - .offset:         144
        .size:           8
        .value_kind:     hidden_global_offset_z
      - .offset:         152
        .size:           2
        .value_kind:     hidden_grid_dims
      - .offset:         208
        .size:           4
        .value_kind:     hidden_dynamic_lds_size
    .group_segment_fixed_size: 8192
    .kernarg_segment_align: 8
    .kernarg_segment_size: 344
    .language:       OpenCL C
    .language_version:
      - 2
      - 0
    .max_flat_workgroup_size: 256
    .name:           _ZN9rocsparseL27csrmvn_symm_adaptive_kernelIii21rocsparse_complex_numIfES2_S2_S2_EEvbT_S3_PKS3_NS_24const_host_device_scalarIT4_EES5_PKT0_PKT1_PKT2_S8_PT3_21rocsparse_index_base_b
    .private_segment_fixed_size: 0
    .sgpr_count:     46
    .sgpr_spill_count: 0
    .symbol:         _ZN9rocsparseL27csrmvn_symm_adaptive_kernelIii21rocsparse_complex_numIfES2_S2_S2_EEvbT_S3_PKS3_NS_24const_host_device_scalarIT4_EES5_PKT0_PKT1_PKT2_S8_PT3_21rocsparse_index_base_b.kd
    .uniform_work_group_size: 1
    .uses_dynamic_stack: false
    .vgpr_count:     20
    .vgpr_spill_count: 0
    .wavefront_size: 64
  - .args:
      - .offset:         0
        .size:           1
        .value_kind:     by_value
      - .offset:         4
        .size:           4
        .value_kind:     by_value
      - .actual_access:  read_only
        .address_space:  global
        .offset:         8
        .size:           8
        .value_kind:     global_buffer
      - .offset:         16
        .size:           8
        .value_kind:     by_value
      - .actual_access:  read_only
        .address_space:  global
        .offset:         24
        .size:           8
        .value_kind:     global_buffer
      - .actual_access:  read_only
        .address_space:  global
        .offset:         32
        .size:           8
        .value_kind:     global_buffer
      - .actual_access:  read_only
        .address_space:  global
        .offset:         40
        .size:           8
        .value_kind:     global_buffer
      - .actual_access:  read_only
        .address_space:  global
        .offset:         48
        .size:           8
        .value_kind:     global_buffer
      - .offset:         56
        .size:           8
        .value_kind:     by_value
      - .address_space:  global
        .offset:         64
        .size:           8
        .value_kind:     global_buffer
      - .offset:         72
        .size:           4
        .value_kind:     by_value
      - .offset:         76
        .size:           1
        .value_kind:     by_value
    .group_segment_fixed_size: 8192
    .kernarg_segment_align: 8
    .kernarg_segment_size: 80
    .language:       OpenCL C
    .language_version:
      - 2
      - 0
    .max_flat_workgroup_size: 256
    .name:           _ZL33csrmvn_symm_large_adaptive_kernelIii21rocsparse_complex_numIfES1_S1_S1_EvbT_PKS2_N9rocsparse24const_host_device_scalarIT4_EES4_PKT0_PKT1_PKT2_S8_PT3_21rocsparse_index_base_b
    .private_segment_fixed_size: 0
    .sgpr_count:     41
    .sgpr_spill_count: 0
    .symbol:         _ZL33csrmvn_symm_large_adaptive_kernelIii21rocsparse_complex_numIfES1_S1_S1_EvbT_PKS2_N9rocsparse24const_host_device_scalarIT4_EES4_PKT0_PKT1_PKT2_S8_PT3_21rocsparse_index_base_b.kd
    .uniform_work_group_size: 1
    .uses_dynamic_stack: false
    .vgpr_count:     17
    .vgpr_spill_count: 0
    .wavefront_size: 64
  - .args:
      - .offset:         0
        .size:           1
        .value_kind:     by_value
      - .offset:         8
        .size:           8
        .value_kind:     by_value
      - .actual_access:  read_only
        .address_space:  global
        .offset:         16
        .size:           8
        .value_kind:     global_buffer
      - .address_space:  global
        .offset:         24
        .size:           8
        .value_kind:     global_buffer
      - .actual_access:  read_only
        .address_space:  global
        .offset:         32
        .size:           8
        .value_kind:     global_buffer
      - .offset:         40
        .size:           8
        .value_kind:     by_value
      - .actual_access:  read_only
        .address_space:  global
        .offset:         48
        .size:           8
        .value_kind:     global_buffer
      - .actual_access:  read_only
        .address_space:  global
        .offset:         56
        .size:           8
        .value_kind:     global_buffer
      - .actual_access:  read_only
        .address_space:  global
        .offset:         64
        .size:           8
        .value_kind:     global_buffer
      - .actual_access:  read_only
        .address_space:  global
        .offset:         72
        .size:           8
        .value_kind:     global_buffer
      - .offset:         80
        .size:           8
        .value_kind:     by_value
      - .address_space:  global
        .offset:         88
        .size:           8
        .value_kind:     global_buffer
      - .offset:         96
        .size:           4
        .value_kind:     by_value
      - .offset:         100
        .size:           1
        .value_kind:     by_value
    .group_segment_fixed_size: 8192
    .kernarg_segment_align: 8
    .kernarg_segment_size: 104
    .language:       OpenCL C
    .language_version:
      - 2
      - 0
    .max_flat_workgroup_size: 256
    .name:           _ZN9rocsparseL22csrmvn_adaptive_kernelIli21rocsparse_complex_numIfES2_S2_S2_EEvbT_PKS3_PjPKT0_NS_24const_host_device_scalarIT4_EES5_S9_PKT1_PKT2_SC_PT3_21rocsparse_index_base_b
    .private_segment_fixed_size: 0
    .sgpr_count:     72
    .sgpr_spill_count: 0
    .symbol:         _ZN9rocsparseL22csrmvn_adaptive_kernelIli21rocsparse_complex_numIfES2_S2_S2_EEvbT_PKS3_PjPKT0_NS_24const_host_device_scalarIT4_EES5_S9_PKT1_PKT2_SC_PT3_21rocsparse_index_base_b.kd
    .uniform_work_group_size: 1
    .uses_dynamic_stack: false
    .vgpr_count:     29
    .vgpr_spill_count: 0
    .wavefront_size: 64
  - .args:
      - .offset:         0
        .size:           1
        .value_kind:     by_value
      - .offset:         8
        .size:           8
        .value_kind:     by_value
      - .offset:         16
        .size:           8
        .value_kind:     by_value
      - .actual_access:  read_only
        .address_space:  global
        .offset:         24
        .size:           8
        .value_kind:     global_buffer
      - .offset:         32
        .size:           8
        .value_kind:     by_value
      - .actual_access:  read_only
        .address_space:  global
        .offset:         40
        .size:           8
        .value_kind:     global_buffer
      - .actual_access:  read_only
        .address_space:  global
        .offset:         48
        .size:           8
        .value_kind:     global_buffer
      - .actual_access:  read_only
        .address_space:  global
        .offset:         56
        .size:           8
        .value_kind:     global_buffer
      - .actual_access:  read_only
        .address_space:  global
        .offset:         64
        .size:           8
        .value_kind:     global_buffer
      - .offset:         72
        .size:           8
        .value_kind:     by_value
      - .address_space:  global
        .offset:         80
        .size:           8
        .value_kind:     global_buffer
      - .offset:         88
        .size:           4
        .value_kind:     by_value
      - .offset:         92
        .size:           1
        .value_kind:     by_value
      - .offset:         96
        .size:           4
        .value_kind:     hidden_block_count_x
      - .offset:         100
        .size:           4
        .value_kind:     hidden_block_count_y
      - .offset:         104
        .size:           4
        .value_kind:     hidden_block_count_z
      - .offset:         108
        .size:           2
        .value_kind:     hidden_group_size_x
      - .offset:         110
        .size:           2
        .value_kind:     hidden_group_size_y
      - .offset:         112
        .size:           2
        .value_kind:     hidden_group_size_z
      - .offset:         114
        .size:           2
        .value_kind:     hidden_remainder_x
      - .offset:         116
        .size:           2
        .value_kind:     hidden_remainder_y
      - .offset:         118
        .size:           2
        .value_kind:     hidden_remainder_z
      - .offset:         136
        .size:           8
        .value_kind:     hidden_global_offset_x
      - .offset:         144
        .size:           8
        .value_kind:     hidden_global_offset_y
      - .offset:         152
        .size:           8
        .value_kind:     hidden_global_offset_z
      - .offset:         160
        .size:           2
        .value_kind:     hidden_grid_dims
      - .offset:         216
        .size:           4
        .value_kind:     hidden_dynamic_lds_size
    .group_segment_fixed_size: 8192
    .kernarg_segment_align: 8
    .kernarg_segment_size: 352
    .language:       OpenCL C
    .language_version:
      - 2
      - 0
    .max_flat_workgroup_size: 256
    .name:           _ZN9rocsparseL27csrmvn_symm_adaptive_kernelIli21rocsparse_complex_numIfES2_S2_S2_EEvbT_S3_PKS3_NS_24const_host_device_scalarIT4_EES5_PKT0_PKT1_PKT2_S8_PT3_21rocsparse_index_base_b
    .private_segment_fixed_size: 0
    .sgpr_count:     56
    .sgpr_spill_count: 0
    .symbol:         _ZN9rocsparseL27csrmvn_symm_adaptive_kernelIli21rocsparse_complex_numIfES2_S2_S2_EEvbT_S3_PKS3_NS_24const_host_device_scalarIT4_EES5_PKT0_PKT1_PKT2_S8_PT3_21rocsparse_index_base_b.kd
    .uniform_work_group_size: 1
    .uses_dynamic_stack: false
    .vgpr_count:     23
    .vgpr_spill_count: 0
    .wavefront_size: 64
  - .args:
      - .offset:         0
        .size:           1
        .value_kind:     by_value
      - .offset:         8
        .size:           8
        .value_kind:     by_value
      - .actual_access:  read_only
        .address_space:  global
        .offset:         16
        .size:           8
        .value_kind:     global_buffer
      - .offset:         24
        .size:           8
        .value_kind:     by_value
      - .actual_access:  read_only
        .address_space:  global
        .offset:         32
        .size:           8
        .value_kind:     global_buffer
      - .actual_access:  read_only
        .address_space:  global
        .offset:         40
        .size:           8
        .value_kind:     global_buffer
      - .actual_access:  read_only
        .address_space:  global
        .offset:         48
        .size:           8
        .value_kind:     global_buffer
      - .actual_access:  read_only
        .address_space:  global
        .offset:         56
        .size:           8
        .value_kind:     global_buffer
      - .offset:         64
        .size:           8
        .value_kind:     by_value
      - .address_space:  global
        .offset:         72
        .size:           8
        .value_kind:     global_buffer
      - .offset:         80
        .size:           4
        .value_kind:     by_value
      - .offset:         84
        .size:           1
        .value_kind:     by_value
    .group_segment_fixed_size: 8192
    .kernarg_segment_align: 8
    .kernarg_segment_size: 88
    .language:       OpenCL C
    .language_version:
      - 2
      - 0
    .max_flat_workgroup_size: 256
    .name:           _ZL33csrmvn_symm_large_adaptive_kernelIli21rocsparse_complex_numIfES1_S1_S1_EvbT_PKS2_N9rocsparse24const_host_device_scalarIT4_EES4_PKT0_PKT1_PKT2_S8_PT3_21rocsparse_index_base_b
    .private_segment_fixed_size: 0
    .sgpr_count:     45
    .sgpr_spill_count: 0
    .symbol:         _ZL33csrmvn_symm_large_adaptive_kernelIli21rocsparse_complex_numIfES1_S1_S1_EvbT_PKS2_N9rocsparse24const_host_device_scalarIT4_EES4_PKT0_PKT1_PKT2_S8_PT3_21rocsparse_index_base_b.kd
    .uniform_work_group_size: 1
    .uses_dynamic_stack: false
    .vgpr_count:     22
    .vgpr_spill_count: 0
    .wavefront_size: 64
  - .args:
      - .offset:         0
        .size:           1
        .value_kind:     by_value
      - .offset:         8
        .size:           8
        .value_kind:     by_value
      - .actual_access:  read_only
        .address_space:  global
        .offset:         16
        .size:           8
        .value_kind:     global_buffer
      - .address_space:  global
        .offset:         24
        .size:           8
        .value_kind:     global_buffer
      - .actual_access:  read_only
        .address_space:  global
        .offset:         32
        .size:           8
        .value_kind:     global_buffer
      - .offset:         40
        .size:           8
        .value_kind:     by_value
      - .actual_access:  read_only
        .address_space:  global
        .offset:         48
        .size:           8
        .value_kind:     global_buffer
      - .actual_access:  read_only
        .address_space:  global
        .offset:         56
        .size:           8
        .value_kind:     global_buffer
      - .actual_access:  read_only
        .address_space:  global
        .offset:         64
        .size:           8
        .value_kind:     global_buffer
      - .actual_access:  read_only
        .address_space:  global
        .offset:         72
        .size:           8
        .value_kind:     global_buffer
      - .offset:         80
        .size:           8
        .value_kind:     by_value
      - .address_space:  global
        .offset:         88
        .size:           8
        .value_kind:     global_buffer
      - .offset:         96
        .size:           4
        .value_kind:     by_value
      - .offset:         100
        .size:           1
        .value_kind:     by_value
    .group_segment_fixed_size: 8192
    .kernarg_segment_align: 8
    .kernarg_segment_size: 104
    .language:       OpenCL C
    .language_version:
      - 2
      - 0
    .max_flat_workgroup_size: 256
    .name:           _ZN9rocsparseL22csrmvn_adaptive_kernelIll21rocsparse_complex_numIfES2_S2_S2_EEvbT_PKS3_PjPKT0_NS_24const_host_device_scalarIT4_EES5_S9_PKT1_PKT2_SC_PT3_21rocsparse_index_base_b
    .private_segment_fixed_size: 0
    .sgpr_count:     72
    .sgpr_spill_count: 0
    .symbol:         _ZN9rocsparseL22csrmvn_adaptive_kernelIll21rocsparse_complex_numIfES2_S2_S2_EEvbT_PKS3_PjPKT0_NS_24const_host_device_scalarIT4_EES5_S9_PKT1_PKT2_SC_PT3_21rocsparse_index_base_b.kd
    .uniform_work_group_size: 1
    .uses_dynamic_stack: false
    .vgpr_count:     28
    .vgpr_spill_count: 0
    .wavefront_size: 64
  - .args:
      - .offset:         0
        .size:           8
        .value_kind:     by_value
      - .offset:         8
        .size:           8
        .value_kind:     by_value
      - .offset:         16
        .size:           8
        .value_kind:     by_value
      - .offset:         24
        .size:           8
        .value_kind:     by_value
      - .address_space:  global
        .offset:         32
        .size:           8
        .value_kind:     global_buffer
      - .offset:         40
        .size:           1
        .value_kind:     by_value
    .group_segment_fixed_size: 0
    .kernarg_segment_align: 8
    .kernarg_segment_size: 44
    .language:       OpenCL C
    .language_version:
      - 2
      - 0
    .max_flat_workgroup_size: 256
    .name:           _ZN9rocsparseL22partial_scale_y_kernelIl21rocsparse_complex_numIfES2_EEvT_S3_S3_NS_24const_host_device_scalarIT1_EEPT0_b
    .private_segment_fixed_size: 0
    .sgpr_count:     20
    .sgpr_spill_count: 0
    .symbol:         _ZN9rocsparseL22partial_scale_y_kernelIl21rocsparse_complex_numIfES2_EEvT_S3_S3_NS_24const_host_device_scalarIT1_EEPT0_b.kd
    .uniform_work_group_size: 1
    .uses_dynamic_stack: false
    .vgpr_count:     9
    .vgpr_spill_count: 0
    .wavefront_size: 64
  - .args:
      - .offset:         0
        .size:           1
        .value_kind:     by_value
      - .offset:         8
        .size:           8
        .value_kind:     by_value
      - .offset:         16
        .size:           8
        .value_kind:     by_value
      - .actual_access:  read_only
        .address_space:  global
        .offset:         24
        .size:           8
        .value_kind:     global_buffer
      - .offset:         32
        .size:           8
        .value_kind:     by_value
      - .actual_access:  read_only
        .address_space:  global
        .offset:         40
        .size:           8
        .value_kind:     global_buffer
      - .actual_access:  read_only
        .address_space:  global
        .offset:         48
        .size:           8
        .value_kind:     global_buffer
      - .actual_access:  read_only
        .address_space:  global
        .offset:         56
        .size:           8
        .value_kind:     global_buffer
      - .actual_access:  read_only
        .address_space:  global
        .offset:         64
        .size:           8
        .value_kind:     global_buffer
      - .offset:         72
        .size:           8
        .value_kind:     by_value
      - .address_space:  global
        .offset:         80
        .size:           8
        .value_kind:     global_buffer
      - .offset:         88
        .size:           4
        .value_kind:     by_value
      - .offset:         92
        .size:           1
        .value_kind:     by_value
      - .offset:         96
        .size:           4
        .value_kind:     hidden_block_count_x
      - .offset:         100
        .size:           4
        .value_kind:     hidden_block_count_y
      - .offset:         104
        .size:           4
        .value_kind:     hidden_block_count_z
      - .offset:         108
        .size:           2
        .value_kind:     hidden_group_size_x
      - .offset:         110
        .size:           2
        .value_kind:     hidden_group_size_y
      - .offset:         112
        .size:           2
        .value_kind:     hidden_group_size_z
      - .offset:         114
        .size:           2
        .value_kind:     hidden_remainder_x
      - .offset:         116
        .size:           2
        .value_kind:     hidden_remainder_y
      - .offset:         118
        .size:           2
        .value_kind:     hidden_remainder_z
      - .offset:         136
        .size:           8
        .value_kind:     hidden_global_offset_x
      - .offset:         144
        .size:           8
        .value_kind:     hidden_global_offset_y
      - .offset:         152
        .size:           8
        .value_kind:     hidden_global_offset_z
      - .offset:         160
        .size:           2
        .value_kind:     hidden_grid_dims
      - .offset:         216
        .size:           4
        .value_kind:     hidden_dynamic_lds_size
    .group_segment_fixed_size: 8192
    .kernarg_segment_align: 8
    .kernarg_segment_size: 352
    .language:       OpenCL C
    .language_version:
      - 2
      - 0
    .max_flat_workgroup_size: 256
    .name:           _ZN9rocsparseL27csrmvn_symm_adaptive_kernelIll21rocsparse_complex_numIfES2_S2_S2_EEvbT_S3_PKS3_NS_24const_host_device_scalarIT4_EES5_PKT0_PKT1_PKT2_S8_PT3_21rocsparse_index_base_b
    .private_segment_fixed_size: 0
    .sgpr_count:     56
    .sgpr_spill_count: 0
    .symbol:         _ZN9rocsparseL27csrmvn_symm_adaptive_kernelIll21rocsparse_complex_numIfES2_S2_S2_EEvbT_S3_PKS3_NS_24const_host_device_scalarIT4_EES5_PKT0_PKT1_PKT2_S8_PT3_21rocsparse_index_base_b.kd
    .uniform_work_group_size: 1
    .uses_dynamic_stack: false
    .vgpr_count:     23
    .vgpr_spill_count: 0
    .wavefront_size: 64
  - .args:
      - .offset:         0
        .size:           1
        .value_kind:     by_value
      - .offset:         8
        .size:           8
        .value_kind:     by_value
      - .actual_access:  read_only
        .address_space:  global
        .offset:         16
        .size:           8
        .value_kind:     global_buffer
      - .offset:         24
        .size:           8
        .value_kind:     by_value
      - .actual_access:  read_only
        .address_space:  global
        .offset:         32
        .size:           8
        .value_kind:     global_buffer
      - .actual_access:  read_only
        .address_space:  global
        .offset:         40
        .size:           8
        .value_kind:     global_buffer
      - .actual_access:  read_only
        .address_space:  global
        .offset:         48
        .size:           8
        .value_kind:     global_buffer
      - .actual_access:  read_only
        .address_space:  global
        .offset:         56
        .size:           8
        .value_kind:     global_buffer
      - .offset:         64
        .size:           8
        .value_kind:     by_value
      - .address_space:  global
        .offset:         72
        .size:           8
        .value_kind:     global_buffer
      - .offset:         80
        .size:           4
        .value_kind:     by_value
      - .offset:         84
        .size:           1
        .value_kind:     by_value
    .group_segment_fixed_size: 8192
    .kernarg_segment_align: 8
    .kernarg_segment_size: 88
    .language:       OpenCL C
    .language_version:
      - 2
      - 0
    .max_flat_workgroup_size: 256
    .name:           _ZL33csrmvn_symm_large_adaptive_kernelIll21rocsparse_complex_numIfES1_S1_S1_EvbT_PKS2_N9rocsparse24const_host_device_scalarIT4_EES4_PKT0_PKT1_PKT2_S8_PT3_21rocsparse_index_base_b
    .private_segment_fixed_size: 0
    .sgpr_count:     52
    .sgpr_spill_count: 0
    .symbol:         _ZL33csrmvn_symm_large_adaptive_kernelIll21rocsparse_complex_numIfES1_S1_S1_EvbT_PKS2_N9rocsparse24const_host_device_scalarIT4_EES4_PKT0_PKT1_PKT2_S8_PT3_21rocsparse_index_base_b.kd
    .uniform_work_group_size: 1
    .uses_dynamic_stack: false
    .vgpr_count:     21
    .vgpr_spill_count: 0
    .wavefront_size: 64
  - .args:
      - .offset:         0
        .size:           1
        .value_kind:     by_value
      - .offset:         4
        .size:           4
        .value_kind:     by_value
      - .actual_access:  read_only
        .address_space:  global
        .offset:         8
        .size:           8
        .value_kind:     global_buffer
      - .address_space:  global
        .offset:         16
        .size:           8
        .value_kind:     global_buffer
      - .actual_access:  read_only
        .address_space:  global
        .offset:         24
        .size:           8
        .value_kind:     global_buffer
      - .offset:         32
        .size:           16
        .value_kind:     by_value
      - .actual_access:  read_only
        .address_space:  global
        .offset:         48
        .size:           8
        .value_kind:     global_buffer
      - .actual_access:  read_only
        .address_space:  global
        .offset:         56
        .size:           8
        .value_kind:     global_buffer
      - .actual_access:  read_only
        .address_space:  global
        .offset:         64
        .size:           8
        .value_kind:     global_buffer
      - .actual_access:  read_only
        .address_space:  global
        .offset:         72
        .size:           8
        .value_kind:     global_buffer
      - .offset:         80
        .size:           16
        .value_kind:     by_value
      - .address_space:  global
        .offset:         96
        .size:           8
        .value_kind:     global_buffer
      - .offset:         104
        .size:           4
        .value_kind:     by_value
      - .offset:         108
        .size:           1
        .value_kind:     by_value
    .group_segment_fixed_size: 16384
    .kernarg_segment_align: 8
    .kernarg_segment_size: 112
    .language:       OpenCL C
    .language_version:
      - 2
      - 0
    .max_flat_workgroup_size: 256
    .name:           _ZN9rocsparseL22csrmvn_adaptive_kernelIii21rocsparse_complex_numIdES2_S2_S2_EEvbT_PKS3_PjPKT0_NS_24const_host_device_scalarIT4_EES5_S9_PKT1_PKT2_SC_PT3_21rocsparse_index_base_b
    .private_segment_fixed_size: 0
    .sgpr_count:     61
    .sgpr_spill_count: 0
    .symbol:         _ZN9rocsparseL22csrmvn_adaptive_kernelIii21rocsparse_complex_numIdES2_S2_S2_EEvbT_PKS3_PjPKT0_NS_24const_host_device_scalarIT4_EES5_S9_PKT1_PKT2_SC_PT3_21rocsparse_index_base_b.kd
    .uniform_work_group_size: 1
    .uses_dynamic_stack: false
    .vgpr_count:     50
    .vgpr_spill_count: 0
    .wavefront_size: 64
  - .args:
      - .offset:         0
        .size:           4
        .value_kind:     by_value
      - .offset:         4
        .size:           4
        .value_kind:     by_value
      - .offset:         8
        .size:           4
        .value_kind:     by_value
      - .offset:         16
        .size:           16
        .value_kind:     by_value
      - .address_space:  global
        .offset:         32
        .size:           8
        .value_kind:     global_buffer
      - .offset:         40
        .size:           1
        .value_kind:     by_value
    .group_segment_fixed_size: 0
    .kernarg_segment_align: 8
    .kernarg_segment_size: 44
    .language:       OpenCL C
    .language_version:
      - 2
      - 0
    .max_flat_workgroup_size: 256
    .name:           _ZN9rocsparseL22partial_scale_y_kernelIi21rocsparse_complex_numIdES2_EEvT_S3_S3_NS_24const_host_device_scalarIT1_EEPT0_b
    .private_segment_fixed_size: 0
    .sgpr_count:     16
    .sgpr_spill_count: 0
    .symbol:         _ZN9rocsparseL22partial_scale_y_kernelIi21rocsparse_complex_numIdES2_EEvT_S3_S3_NS_24const_host_device_scalarIT1_EEPT0_b.kd
    .uniform_work_group_size: 1
    .uses_dynamic_stack: false
    .vgpr_count:     13
    .vgpr_spill_count: 0
    .wavefront_size: 64
  - .args:
      - .offset:         0
        .size:           1
        .value_kind:     by_value
      - .offset:         4
        .size:           4
        .value_kind:     by_value
      - .offset:         8
        .size:           4
        .value_kind:     by_value
      - .actual_access:  read_only
        .address_space:  global
        .offset:         16
        .size:           8
        .value_kind:     global_buffer
      - .offset:         24
        .size:           16
        .value_kind:     by_value
      - .actual_access:  read_only
        .address_space:  global
        .offset:         40
        .size:           8
        .value_kind:     global_buffer
      - .actual_access:  read_only
        .address_space:  global
        .offset:         48
        .size:           8
        .value_kind:     global_buffer
      - .actual_access:  read_only
        .address_space:  global
        .offset:         56
        .size:           8
        .value_kind:     global_buffer
      - .actual_access:  read_only
        .address_space:  global
        .offset:         64
        .size:           8
        .value_kind:     global_buffer
      - .offset:         72
        .size:           16
        .value_kind:     by_value
      - .address_space:  global
        .offset:         88
        .size:           8
        .value_kind:     global_buffer
      - .offset:         96
        .size:           4
        .value_kind:     by_value
      - .offset:         100
        .size:           1
        .value_kind:     by_value
      - .offset:         104
        .size:           4
        .value_kind:     hidden_block_count_x
      - .offset:         108
        .size:           4
        .value_kind:     hidden_block_count_y
      - .offset:         112
        .size:           4
        .value_kind:     hidden_block_count_z
      - .offset:         116
        .size:           2
        .value_kind:     hidden_group_size_x
      - .offset:         118
        .size:           2
        .value_kind:     hidden_group_size_y
      - .offset:         120
        .size:           2
        .value_kind:     hidden_group_size_z
      - .offset:         122
        .size:           2
        .value_kind:     hidden_remainder_x
      - .offset:         124
        .size:           2
        .value_kind:     hidden_remainder_y
      - .offset:         126
        .size:           2
        .value_kind:     hidden_remainder_z
      - .offset:         144
        .size:           8
        .value_kind:     hidden_global_offset_x
      - .offset:         152
        .size:           8
        .value_kind:     hidden_global_offset_y
      - .offset:         160
        .size:           8
        .value_kind:     hidden_global_offset_z
      - .offset:         168
        .size:           2
        .value_kind:     hidden_grid_dims
      - .offset:         224
        .size:           4
        .value_kind:     hidden_dynamic_lds_size
    .group_segment_fixed_size: 16384
    .kernarg_segment_align: 8
    .kernarg_segment_size: 360
    .language:       OpenCL C
    .language_version:
      - 2
      - 0
    .max_flat_workgroup_size: 256
    .name:           _ZN9rocsparseL27csrmvn_symm_adaptive_kernelIii21rocsparse_complex_numIdES2_S2_S2_EEvbT_S3_PKS3_NS_24const_host_device_scalarIT4_EES5_PKT0_PKT1_PKT2_S8_PT3_21rocsparse_index_base_b
    .private_segment_fixed_size: 0
    .sgpr_count:     46
    .sgpr_spill_count: 0
    .symbol:         _ZN9rocsparseL27csrmvn_symm_adaptive_kernelIii21rocsparse_complex_numIdES2_S2_S2_EEvbT_S3_PKS3_NS_24const_host_device_scalarIT4_EES5_PKT0_PKT1_PKT2_S8_PT3_21rocsparse_index_base_b.kd
    .uniform_work_group_size: 1
    .uses_dynamic_stack: false
    .vgpr_count:     37
    .vgpr_spill_count: 0
    .wavefront_size: 64
  - .args:
      - .offset:         0
        .size:           1
        .value_kind:     by_value
      - .offset:         4
        .size:           4
        .value_kind:     by_value
      - .actual_access:  read_only
        .address_space:  global
        .offset:         8
        .size:           8
        .value_kind:     global_buffer
      - .offset:         16
        .size:           16
        .value_kind:     by_value
      - .actual_access:  read_only
        .address_space:  global
        .offset:         32
        .size:           8
        .value_kind:     global_buffer
      - .actual_access:  read_only
        .address_space:  global
        .offset:         40
        .size:           8
        .value_kind:     global_buffer
      - .actual_access:  read_only
        .address_space:  global
        .offset:         48
        .size:           8
        .value_kind:     global_buffer
      - .actual_access:  read_only
        .address_space:  global
        .offset:         56
        .size:           8
        .value_kind:     global_buffer
      - .offset:         64
        .size:           16
        .value_kind:     by_value
      - .address_space:  global
        .offset:         80
        .size:           8
        .value_kind:     global_buffer
      - .offset:         88
        .size:           4
        .value_kind:     by_value
      - .offset:         92
        .size:           1
        .value_kind:     by_value
    .group_segment_fixed_size: 16384
    .kernarg_segment_align: 8
    .kernarg_segment_size: 96
    .language:       OpenCL C
    .language_version:
      - 2
      - 0
    .max_flat_workgroup_size: 256
    .name:           _ZL33csrmvn_symm_large_adaptive_kernelIii21rocsparse_complex_numIdES1_S1_S1_EvbT_PKS2_N9rocsparse24const_host_device_scalarIT4_EES4_PKT0_PKT1_PKT2_S8_PT3_21rocsparse_index_base_b
    .private_segment_fixed_size: 0
    .sgpr_count:     40
    .sgpr_spill_count: 0
    .symbol:         _ZL33csrmvn_symm_large_adaptive_kernelIii21rocsparse_complex_numIdES1_S1_S1_EvbT_PKS2_N9rocsparse24const_host_device_scalarIT4_EES4_PKT0_PKT1_PKT2_S8_PT3_21rocsparse_index_base_b.kd
    .uniform_work_group_size: 1
    .uses_dynamic_stack: false
    .vgpr_count:     25
    .vgpr_spill_count: 0
    .wavefront_size: 64
  - .args:
      - .offset:         0
        .size:           1
        .value_kind:     by_value
      - .offset:         8
        .size:           8
        .value_kind:     by_value
      - .actual_access:  read_only
        .address_space:  global
        .offset:         16
        .size:           8
        .value_kind:     global_buffer
      - .address_space:  global
        .offset:         24
        .size:           8
        .value_kind:     global_buffer
      - .actual_access:  read_only
        .address_space:  global
        .offset:         32
        .size:           8
        .value_kind:     global_buffer
      - .offset:         40
        .size:           16
        .value_kind:     by_value
      - .actual_access:  read_only
        .address_space:  global
        .offset:         56
        .size:           8
        .value_kind:     global_buffer
      - .actual_access:  read_only
        .address_space:  global
        .offset:         64
        .size:           8
        .value_kind:     global_buffer
      - .actual_access:  read_only
        .address_space:  global
        .offset:         72
        .size:           8
        .value_kind:     global_buffer
      - .actual_access:  read_only
        .address_space:  global
        .offset:         80
        .size:           8
        .value_kind:     global_buffer
      - .offset:         88
        .size:           16
        .value_kind:     by_value
      - .address_space:  global
        .offset:         104
        .size:           8
        .value_kind:     global_buffer
      - .offset:         112
        .size:           4
        .value_kind:     by_value
      - .offset:         116
        .size:           1
        .value_kind:     by_value
    .group_segment_fixed_size: 16384
    .kernarg_segment_align: 8
    .kernarg_segment_size: 120
    .language:       OpenCL C
    .language_version:
      - 2
      - 0
    .max_flat_workgroup_size: 256
    .name:           _ZN9rocsparseL22csrmvn_adaptive_kernelIli21rocsparse_complex_numIdES2_S2_S2_EEvbT_PKS3_PjPKT0_NS_24const_host_device_scalarIT4_EES5_S9_PKT1_PKT2_SC_PT3_21rocsparse_index_base_b
    .private_segment_fixed_size: 0
    .sgpr_count:     68
    .sgpr_spill_count: 0
    .symbol:         _ZN9rocsparseL22csrmvn_adaptive_kernelIli21rocsparse_complex_numIdES2_S2_S2_EEvbT_PKS3_PjPKT0_NS_24const_host_device_scalarIT4_EES5_S9_PKT1_PKT2_SC_PT3_21rocsparse_index_base_b.kd
    .uniform_work_group_size: 1
    .uses_dynamic_stack: false
    .vgpr_count:     50
    .vgpr_spill_count: 0
    .wavefront_size: 64
  - .args:
      - .offset:         0
        .size:           1
        .value_kind:     by_value
      - .offset:         8
        .size:           8
        .value_kind:     by_value
      - .offset:         16
        .size:           8
        .value_kind:     by_value
      - .actual_access:  read_only
        .address_space:  global
        .offset:         24
        .size:           8
        .value_kind:     global_buffer
      - .offset:         32
        .size:           16
        .value_kind:     by_value
      - .actual_access:  read_only
        .address_space:  global
        .offset:         48
        .size:           8
        .value_kind:     global_buffer
      - .actual_access:  read_only
        .address_space:  global
        .offset:         56
        .size:           8
        .value_kind:     global_buffer
      - .actual_access:  read_only
        .address_space:  global
        .offset:         64
        .size:           8
        .value_kind:     global_buffer
      - .actual_access:  read_only
        .address_space:  global
        .offset:         72
        .size:           8
        .value_kind:     global_buffer
      - .offset:         80
        .size:           16
        .value_kind:     by_value
      - .address_space:  global
        .offset:         96
        .size:           8
        .value_kind:     global_buffer
      - .offset:         104
        .size:           4
        .value_kind:     by_value
      - .offset:         108
        .size:           1
        .value_kind:     by_value
      - .offset:         112
        .size:           4
        .value_kind:     hidden_block_count_x
      - .offset:         116
        .size:           4
        .value_kind:     hidden_block_count_y
      - .offset:         120
        .size:           4
        .value_kind:     hidden_block_count_z
      - .offset:         124
        .size:           2
        .value_kind:     hidden_group_size_x
      - .offset:         126
        .size:           2
        .value_kind:     hidden_group_size_y
      - .offset:         128
        .size:           2
        .value_kind:     hidden_group_size_z
      - .offset:         130
        .size:           2
        .value_kind:     hidden_remainder_x
      - .offset:         132
        .size:           2
        .value_kind:     hidden_remainder_y
      - .offset:         134
        .size:           2
        .value_kind:     hidden_remainder_z
      - .offset:         152
        .size:           8
        .value_kind:     hidden_global_offset_x
      - .offset:         160
        .size:           8
        .value_kind:     hidden_global_offset_y
      - .offset:         168
        .size:           8
        .value_kind:     hidden_global_offset_z
      - .offset:         176
        .size:           2
        .value_kind:     hidden_grid_dims
      - .offset:         232
        .size:           4
        .value_kind:     hidden_dynamic_lds_size
    .group_segment_fixed_size: 16384
    .kernarg_segment_align: 8
    .kernarg_segment_size: 368
    .language:       OpenCL C
    .language_version:
      - 2
      - 0
    .max_flat_workgroup_size: 256
    .name:           _ZN9rocsparseL27csrmvn_symm_adaptive_kernelIli21rocsparse_complex_numIdES2_S2_S2_EEvbT_S3_PKS3_NS_24const_host_device_scalarIT4_EES5_PKT0_PKT1_PKT2_S8_PT3_21rocsparse_index_base_b
    .private_segment_fixed_size: 0
    .sgpr_count:     56
    .sgpr_spill_count: 0
    .symbol:         _ZN9rocsparseL27csrmvn_symm_adaptive_kernelIli21rocsparse_complex_numIdES2_S2_S2_EEvbT_S3_PKS3_NS_24const_host_device_scalarIT4_EES5_PKT0_PKT1_PKT2_S8_PT3_21rocsparse_index_base_b.kd
    .uniform_work_group_size: 1
    .uses_dynamic_stack: false
    .vgpr_count:     37
    .vgpr_spill_count: 0
    .wavefront_size: 64
  - .args:
      - .offset:         0
        .size:           1
        .value_kind:     by_value
      - .offset:         8
        .size:           8
        .value_kind:     by_value
      - .actual_access:  read_only
        .address_space:  global
        .offset:         16
        .size:           8
        .value_kind:     global_buffer
      - .offset:         24
        .size:           16
        .value_kind:     by_value
      - .actual_access:  read_only
        .address_space:  global
        .offset:         40
        .size:           8
        .value_kind:     global_buffer
      - .actual_access:  read_only
        .address_space:  global
        .offset:         48
        .size:           8
        .value_kind:     global_buffer
      - .actual_access:  read_only
        .address_space:  global
        .offset:         56
        .size:           8
        .value_kind:     global_buffer
      - .actual_access:  read_only
        .address_space:  global
        .offset:         64
        .size:           8
        .value_kind:     global_buffer
      - .offset:         72
        .size:           16
        .value_kind:     by_value
      - .address_space:  global
        .offset:         88
        .size:           8
        .value_kind:     global_buffer
      - .offset:         96
        .size:           4
        .value_kind:     by_value
      - .offset:         100
        .size:           1
        .value_kind:     by_value
    .group_segment_fixed_size: 16384
    .kernarg_segment_align: 8
    .kernarg_segment_size: 104
    .language:       OpenCL C
    .language_version:
      - 2
      - 0
    .max_flat_workgroup_size: 256
    .name:           _ZL33csrmvn_symm_large_adaptive_kernelIli21rocsparse_complex_numIdES1_S1_S1_EvbT_PKS2_N9rocsparse24const_host_device_scalarIT4_EES4_PKT0_PKT1_PKT2_S8_PT3_21rocsparse_index_base_b
    .private_segment_fixed_size: 0
    .sgpr_count:     48
    .sgpr_spill_count: 0
    .symbol:         _ZL33csrmvn_symm_large_adaptive_kernelIli21rocsparse_complex_numIdES1_S1_S1_EvbT_PKS2_N9rocsparse24const_host_device_scalarIT4_EES4_PKT0_PKT1_PKT2_S8_PT3_21rocsparse_index_base_b.kd
    .uniform_work_group_size: 1
    .uses_dynamic_stack: false
    .vgpr_count:     29
    .vgpr_spill_count: 0
    .wavefront_size: 64
  - .args:
      - .offset:         0
        .size:           1
        .value_kind:     by_value
      - .offset:         8
        .size:           8
        .value_kind:     by_value
      - .actual_access:  read_only
        .address_space:  global
        .offset:         16
        .size:           8
        .value_kind:     global_buffer
      - .address_space:  global
        .offset:         24
        .size:           8
        .value_kind:     global_buffer
      - .actual_access:  read_only
        .address_space:  global
        .offset:         32
        .size:           8
        .value_kind:     global_buffer
      - .offset:         40
        .size:           16
        .value_kind:     by_value
      - .actual_access:  read_only
        .address_space:  global
        .offset:         56
        .size:           8
        .value_kind:     global_buffer
      - .actual_access:  read_only
        .address_space:  global
        .offset:         64
        .size:           8
        .value_kind:     global_buffer
      - .actual_access:  read_only
        .address_space:  global
        .offset:         72
        .size:           8
        .value_kind:     global_buffer
      - .actual_access:  read_only
        .address_space:  global
        .offset:         80
        .size:           8
        .value_kind:     global_buffer
      - .offset:         88
        .size:           16
        .value_kind:     by_value
      - .address_space:  global
        .offset:         104
        .size:           8
        .value_kind:     global_buffer
      - .offset:         112
        .size:           4
        .value_kind:     by_value
      - .offset:         116
        .size:           1
        .value_kind:     by_value
    .group_segment_fixed_size: 16384
    .kernarg_segment_align: 8
    .kernarg_segment_size: 120
    .language:       OpenCL C
    .language_version:
      - 2
      - 0
    .max_flat_workgroup_size: 256
    .name:           _ZN9rocsparseL22csrmvn_adaptive_kernelIll21rocsparse_complex_numIdES2_S2_S2_EEvbT_PKS3_PjPKT0_NS_24const_host_device_scalarIT4_EES5_S9_PKT1_PKT2_SC_PT3_21rocsparse_index_base_b
    .private_segment_fixed_size: 0
    .sgpr_count:     68
    .sgpr_spill_count: 0
    .symbol:         _ZN9rocsparseL22csrmvn_adaptive_kernelIll21rocsparse_complex_numIdES2_S2_S2_EEvbT_PKS3_PjPKT0_NS_24const_host_device_scalarIT4_EES5_S9_PKT1_PKT2_SC_PT3_21rocsparse_index_base_b.kd
    .uniform_work_group_size: 1
    .uses_dynamic_stack: false
    .vgpr_count:     50
    .vgpr_spill_count: 0
    .wavefront_size: 64
  - .args:
      - .offset:         0
        .size:           8
        .value_kind:     by_value
      - .offset:         8
        .size:           8
        .value_kind:     by_value
      - .offset:         16
        .size:           8
        .value_kind:     by_value
      - .offset:         24
        .size:           16
        .value_kind:     by_value
      - .address_space:  global
        .offset:         40
        .size:           8
        .value_kind:     global_buffer
      - .offset:         48
        .size:           1
        .value_kind:     by_value
    .group_segment_fixed_size: 0
    .kernarg_segment_align: 8
    .kernarg_segment_size: 52
    .language:       OpenCL C
    .language_version:
      - 2
      - 0
    .max_flat_workgroup_size: 256
    .name:           _ZN9rocsparseL22partial_scale_y_kernelIl21rocsparse_complex_numIdES2_EEvT_S3_S3_NS_24const_host_device_scalarIT1_EEPT0_b
    .private_segment_fixed_size: 0
    .sgpr_count:     20
    .sgpr_spill_count: 0
    .symbol:         _ZN9rocsparseL22partial_scale_y_kernelIl21rocsparse_complex_numIdES2_EEvT_S3_S3_NS_24const_host_device_scalarIT1_EEPT0_b.kd
    .uniform_work_group_size: 1
    .uses_dynamic_stack: false
    .vgpr_count:     13
    .vgpr_spill_count: 0
    .wavefront_size: 64
  - .args:
      - .offset:         0
        .size:           1
        .value_kind:     by_value
      - .offset:         8
        .size:           8
        .value_kind:     by_value
      - .offset:         16
        .size:           8
        .value_kind:     by_value
      - .actual_access:  read_only
        .address_space:  global
        .offset:         24
        .size:           8
        .value_kind:     global_buffer
      - .offset:         32
        .size:           16
        .value_kind:     by_value
      - .actual_access:  read_only
        .address_space:  global
        .offset:         48
        .size:           8
        .value_kind:     global_buffer
      - .actual_access:  read_only
        .address_space:  global
        .offset:         56
        .size:           8
        .value_kind:     global_buffer
      - .actual_access:  read_only
        .address_space:  global
        .offset:         64
        .size:           8
        .value_kind:     global_buffer
      - .actual_access:  read_only
        .address_space:  global
        .offset:         72
        .size:           8
        .value_kind:     global_buffer
      - .offset:         80
        .size:           16
        .value_kind:     by_value
      - .address_space:  global
        .offset:         96
        .size:           8
        .value_kind:     global_buffer
      - .offset:         104
        .size:           4
        .value_kind:     by_value
      - .offset:         108
        .size:           1
        .value_kind:     by_value
      - .offset:         112
        .size:           4
        .value_kind:     hidden_block_count_x
      - .offset:         116
        .size:           4
        .value_kind:     hidden_block_count_y
      - .offset:         120
        .size:           4
        .value_kind:     hidden_block_count_z
      - .offset:         124
        .size:           2
        .value_kind:     hidden_group_size_x
      - .offset:         126
        .size:           2
        .value_kind:     hidden_group_size_y
      - .offset:         128
        .size:           2
        .value_kind:     hidden_group_size_z
      - .offset:         130
        .size:           2
        .value_kind:     hidden_remainder_x
      - .offset:         132
        .size:           2
        .value_kind:     hidden_remainder_y
      - .offset:         134
        .size:           2
        .value_kind:     hidden_remainder_z
      - .offset:         152
        .size:           8
        .value_kind:     hidden_global_offset_x
      - .offset:         160
        .size:           8
        .value_kind:     hidden_global_offset_y
      - .offset:         168
        .size:           8
        .value_kind:     hidden_global_offset_z
      - .offset:         176
        .size:           2
        .value_kind:     hidden_grid_dims
      - .offset:         232
        .size:           4
        .value_kind:     hidden_dynamic_lds_size
    .group_segment_fixed_size: 16384
    .kernarg_segment_align: 8
    .kernarg_segment_size: 368
    .language:       OpenCL C
    .language_version:
      - 2
      - 0
    .max_flat_workgroup_size: 256
    .name:           _ZN9rocsparseL27csrmvn_symm_adaptive_kernelIll21rocsparse_complex_numIdES2_S2_S2_EEvbT_S3_PKS3_NS_24const_host_device_scalarIT4_EES5_PKT0_PKT1_PKT2_S8_PT3_21rocsparse_index_base_b
    .private_segment_fixed_size: 0
    .sgpr_count:     56
    .sgpr_spill_count: 0
    .symbol:         _ZN9rocsparseL27csrmvn_symm_adaptive_kernelIll21rocsparse_complex_numIdES2_S2_S2_EEvbT_S3_PKS3_NS_24const_host_device_scalarIT4_EES5_PKT0_PKT1_PKT2_S8_PT3_21rocsparse_index_base_b.kd
    .uniform_work_group_size: 1
    .uses_dynamic_stack: false
    .vgpr_count:     37
    .vgpr_spill_count: 0
    .wavefront_size: 64
  - .args:
      - .offset:         0
        .size:           1
        .value_kind:     by_value
      - .offset:         8
        .size:           8
        .value_kind:     by_value
      - .actual_access:  read_only
        .address_space:  global
        .offset:         16
        .size:           8
        .value_kind:     global_buffer
      - .offset:         24
        .size:           16
        .value_kind:     by_value
      - .actual_access:  read_only
        .address_space:  global
        .offset:         40
        .size:           8
        .value_kind:     global_buffer
      - .actual_access:  read_only
        .address_space:  global
        .offset:         48
        .size:           8
        .value_kind:     global_buffer
      - .actual_access:  read_only
        .address_space:  global
        .offset:         56
        .size:           8
        .value_kind:     global_buffer
      - .actual_access:  read_only
        .address_space:  global
        .offset:         64
        .size:           8
        .value_kind:     global_buffer
      - .offset:         72
        .size:           16
        .value_kind:     by_value
      - .address_space:  global
        .offset:         88
        .size:           8
        .value_kind:     global_buffer
      - .offset:         96
        .size:           4
        .value_kind:     by_value
      - .offset:         100
        .size:           1
        .value_kind:     by_value
    .group_segment_fixed_size: 16384
    .kernarg_segment_align: 8
    .kernarg_segment_size: 104
    .language:       OpenCL C
    .language_version:
      - 2
      - 0
    .max_flat_workgroup_size: 256
    .name:           _ZL33csrmvn_symm_large_adaptive_kernelIll21rocsparse_complex_numIdES1_S1_S1_EvbT_PKS2_N9rocsparse24const_host_device_scalarIT4_EES4_PKT0_PKT1_PKT2_S8_PT3_21rocsparse_index_base_b
    .private_segment_fixed_size: 0
    .sgpr_count:     46
    .sgpr_spill_count: 0
    .symbol:         _ZL33csrmvn_symm_large_adaptive_kernelIll21rocsparse_complex_numIdES1_S1_S1_EvbT_PKS2_N9rocsparse24const_host_device_scalarIT4_EES4_PKT0_PKT1_PKT2_S8_PT3_21rocsparse_index_base_b.kd
    .uniform_work_group_size: 1
    .uses_dynamic_stack: false
    .vgpr_count:     29
    .vgpr_spill_count: 0
    .wavefront_size: 64
  - .args:
      - .offset:         0
        .size:           1
        .value_kind:     by_value
      - .offset:         4
        .size:           4
        .value_kind:     by_value
      - .actual_access:  read_only
        .address_space:  global
        .offset:         8
        .size:           8
        .value_kind:     global_buffer
      - .address_space:  global
        .offset:         16
        .size:           8
        .value_kind:     global_buffer
      - .actual_access:  read_only
        .address_space:  global
        .offset:         24
        .size:           8
        .value_kind:     global_buffer
      - .offset:         32
        .size:           8
        .value_kind:     by_value
      - .actual_access:  read_only
        .address_space:  global
        .offset:         40
        .size:           8
        .value_kind:     global_buffer
      - .actual_access:  read_only
        .address_space:  global
        .offset:         48
        .size:           8
        .value_kind:     global_buffer
      - .actual_access:  read_only
        .address_space:  global
        .offset:         56
        .size:           8
        .value_kind:     global_buffer
      - .actual_access:  read_only
        .address_space:  global
        .offset:         64
        .size:           8
        .value_kind:     global_buffer
      - .offset:         72
        .size:           8
        .value_kind:     by_value
      - .address_space:  global
        .offset:         80
        .size:           8
        .value_kind:     global_buffer
      - .offset:         88
        .size:           4
        .value_kind:     by_value
      - .offset:         92
        .size:           1
        .value_kind:     by_value
    .group_segment_fixed_size: 4096
    .kernarg_segment_align: 8
    .kernarg_segment_size: 96
    .language:       OpenCL C
    .language_version:
      - 2
      - 0
    .max_flat_workgroup_size: 256
    .name:           _ZN9rocsparseL22csrmvn_adaptive_kernelIiiaaiiEEvbT_PKS1_PjPKT0_NS_24const_host_device_scalarIT4_EES3_S7_PKT1_PKT2_SA_PT3_21rocsparse_index_base_b
    .private_segment_fixed_size: 0
    .sgpr_count:     60
    .sgpr_spill_count: 0
    .symbol:         _ZN9rocsparseL22csrmvn_adaptive_kernelIiiaaiiEEvbT_PKS1_PjPKT0_NS_24const_host_device_scalarIT4_EES3_S7_PKT1_PKT2_SA_PT3_21rocsparse_index_base_b.kd
    .uniform_work_group_size: 1
    .uses_dynamic_stack: false
    .vgpr_count:     18
    .vgpr_spill_count: 0
    .wavefront_size: 64
  - .args:
      - .offset:         0
        .size:           4
        .value_kind:     by_value
      - .offset:         4
        .size:           4
        .value_kind:     by_value
      - .offset:         8
        .size:           4
        .value_kind:     by_value
      - .offset:         16
        .size:           8
        .value_kind:     by_value
      - .address_space:  global
        .offset:         24
        .size:           8
        .value_kind:     global_buffer
      - .offset:         32
        .size:           1
        .value_kind:     by_value
    .group_segment_fixed_size: 0
    .kernarg_segment_align: 8
    .kernarg_segment_size: 36
    .language:       OpenCL C
    .language_version:
      - 2
      - 0
    .max_flat_workgroup_size: 256
    .name:           _ZN9rocsparseL22partial_scale_y_kernelIiiiEEvT_S1_S1_NS_24const_host_device_scalarIT1_EEPT0_b
    .private_segment_fixed_size: 0
    .sgpr_count:     15
    .sgpr_spill_count: 0
    .symbol:         _ZN9rocsparseL22partial_scale_y_kernelIiiiEEvT_S1_S1_NS_24const_host_device_scalarIT1_EEPT0_b.kd
    .uniform_work_group_size: 1
    .uses_dynamic_stack: false
    .vgpr_count:     3
    .vgpr_spill_count: 0
    .wavefront_size: 64
  - .args:
      - .offset:         0
        .size:           1
        .value_kind:     by_value
      - .offset:         4
        .size:           4
        .value_kind:     by_value
      - .offset:         8
        .size:           4
        .value_kind:     by_value
      - .actual_access:  read_only
        .address_space:  global
        .offset:         16
        .size:           8
        .value_kind:     global_buffer
      - .offset:         24
        .size:           8
        .value_kind:     by_value
      - .actual_access:  read_only
        .address_space:  global
        .offset:         32
        .size:           8
        .value_kind:     global_buffer
      - .actual_access:  read_only
        .address_space:  global
        .offset:         40
        .size:           8
        .value_kind:     global_buffer
      - .actual_access:  read_only
        .address_space:  global
        .offset:         48
        .size:           8
        .value_kind:     global_buffer
      - .actual_access:  read_only
        .address_space:  global
        .offset:         56
        .size:           8
        .value_kind:     global_buffer
      - .offset:         64
        .size:           8
        .value_kind:     by_value
      - .address_space:  global
        .offset:         72
        .size:           8
        .value_kind:     global_buffer
      - .offset:         80
        .size:           4
        .value_kind:     by_value
      - .offset:         84
        .size:           1
        .value_kind:     by_value
      - .offset:         88
        .size:           4
        .value_kind:     hidden_block_count_x
      - .offset:         92
        .size:           4
        .value_kind:     hidden_block_count_y
      - .offset:         96
        .size:           4
        .value_kind:     hidden_block_count_z
      - .offset:         100
        .size:           2
        .value_kind:     hidden_group_size_x
      - .offset:         102
        .size:           2
        .value_kind:     hidden_group_size_y
      - .offset:         104
        .size:           2
        .value_kind:     hidden_group_size_z
      - .offset:         106
        .size:           2
        .value_kind:     hidden_remainder_x
      - .offset:         108
        .size:           2
        .value_kind:     hidden_remainder_y
      - .offset:         110
        .size:           2
        .value_kind:     hidden_remainder_z
      - .offset:         128
        .size:           8
        .value_kind:     hidden_global_offset_x
      - .offset:         136
        .size:           8
        .value_kind:     hidden_global_offset_y
      - .offset:         144
        .size:           8
        .value_kind:     hidden_global_offset_z
      - .offset:         152
        .size:           2
        .value_kind:     hidden_grid_dims
      - .offset:         208
        .size:           4
        .value_kind:     hidden_dynamic_lds_size
    .group_segment_fixed_size: 4096
    .kernarg_segment_align: 8
    .kernarg_segment_size: 344
    .language:       OpenCL C
    .language_version:
      - 2
      - 0
    .max_flat_workgroup_size: 256
    .name:           _ZN9rocsparseL27csrmvn_symm_adaptive_kernelIiiaaiiEEvbT_S1_PKS1_NS_24const_host_device_scalarIT4_EES3_PKT0_PKT1_PKT2_S6_PT3_21rocsparse_index_base_b
    .private_segment_fixed_size: 0
    .sgpr_count:     42
    .sgpr_spill_count: 0
    .symbol:         _ZN9rocsparseL27csrmvn_symm_adaptive_kernelIiiaaiiEEvbT_S1_PKS1_NS_24const_host_device_scalarIT4_EES3_PKT0_PKT1_PKT2_S6_PT3_21rocsparse_index_base_b.kd
    .uniform_work_group_size: 1
    .uses_dynamic_stack: false
    .vgpr_count:     15
    .vgpr_spill_count: 0
    .wavefront_size: 64
  - .args:
      - .offset:         0
        .size:           1
        .value_kind:     by_value
      - .offset:         4
        .size:           4
        .value_kind:     by_value
      - .actual_access:  read_only
        .address_space:  global
        .offset:         8
        .size:           8
        .value_kind:     global_buffer
      - .offset:         16
        .size:           8
        .value_kind:     by_value
      - .actual_access:  read_only
        .address_space:  global
        .offset:         24
        .size:           8
        .value_kind:     global_buffer
      - .actual_access:  read_only
        .address_space:  global
        .offset:         32
        .size:           8
        .value_kind:     global_buffer
      - .actual_access:  read_only
        .address_space:  global
        .offset:         40
        .size:           8
        .value_kind:     global_buffer
      - .actual_access:  read_only
        .address_space:  global
        .offset:         48
        .size:           8
        .value_kind:     global_buffer
      - .offset:         56
        .size:           8
        .value_kind:     by_value
      - .address_space:  global
        .offset:         64
        .size:           8
        .value_kind:     global_buffer
      - .offset:         72
        .size:           4
        .value_kind:     by_value
      - .offset:         76
        .size:           1
        .value_kind:     by_value
    .group_segment_fixed_size: 4096
    .kernarg_segment_align: 8
    .kernarg_segment_size: 80
    .language:       OpenCL C
    .language_version:
      - 2
      - 0
    .max_flat_workgroup_size: 256
    .name:           _ZL33csrmvn_symm_large_adaptive_kernelIiiaaiiEvbT_PKS0_N9rocsparse24const_host_device_scalarIT4_EES2_PKT0_PKT1_PKT2_S6_PT3_21rocsparse_index_base_b
    .private_segment_fixed_size: 0
    .sgpr_count:     36
    .sgpr_spill_count: 0
    .symbol:         _ZL33csrmvn_symm_large_adaptive_kernelIiiaaiiEvbT_PKS0_N9rocsparse24const_host_device_scalarIT4_EES2_PKT0_PKT1_PKT2_S6_PT3_21rocsparse_index_base_b.kd
    .uniform_work_group_size: 1
    .uses_dynamic_stack: false
    .vgpr_count:     13
    .vgpr_spill_count: 0
    .wavefront_size: 64
  - .args:
      - .offset:         0
        .size:           1
        .value_kind:     by_value
      - .offset:         8
        .size:           8
        .value_kind:     by_value
      - .actual_access:  read_only
        .address_space:  global
        .offset:         16
        .size:           8
        .value_kind:     global_buffer
      - .address_space:  global
        .offset:         24
        .size:           8
        .value_kind:     global_buffer
      - .actual_access:  read_only
        .address_space:  global
        .offset:         32
        .size:           8
        .value_kind:     global_buffer
      - .offset:         40
        .size:           8
        .value_kind:     by_value
      - .actual_access:  read_only
        .address_space:  global
        .offset:         48
        .size:           8
        .value_kind:     global_buffer
      - .actual_access:  read_only
        .address_space:  global
        .offset:         56
        .size:           8
        .value_kind:     global_buffer
      - .actual_access:  read_only
        .address_space:  global
        .offset:         64
        .size:           8
        .value_kind:     global_buffer
      - .actual_access:  read_only
        .address_space:  global
        .offset:         72
        .size:           8
        .value_kind:     global_buffer
      - .offset:         80
        .size:           8
        .value_kind:     by_value
      - .address_space:  global
        .offset:         88
        .size:           8
        .value_kind:     global_buffer
      - .offset:         96
        .size:           4
        .value_kind:     by_value
      - .offset:         100
        .size:           1
        .value_kind:     by_value
    .group_segment_fixed_size: 4096
    .kernarg_segment_align: 8
    .kernarg_segment_size: 104
    .language:       OpenCL C
    .language_version:
      - 2
      - 0
    .max_flat_workgroup_size: 256
    .name:           _ZN9rocsparseL22csrmvn_adaptive_kernelIliaaiiEEvbT_PKS1_PjPKT0_NS_24const_host_device_scalarIT4_EES3_S7_PKT1_PKT2_SA_PT3_21rocsparse_index_base_b
    .private_segment_fixed_size: 0
    .sgpr_count:     61
    .sgpr_spill_count: 0
    .symbol:         _ZN9rocsparseL22csrmvn_adaptive_kernelIliaaiiEEvbT_PKS1_PjPKT0_NS_24const_host_device_scalarIT4_EES3_S7_PKT1_PKT2_SA_PT3_21rocsparse_index_base_b.kd
    .uniform_work_group_size: 1
    .uses_dynamic_stack: false
    .vgpr_count:     18
    .vgpr_spill_count: 0
    .wavefront_size: 64
  - .args:
      - .offset:         0
        .size:           1
        .value_kind:     by_value
      - .offset:         8
        .size:           8
        .value_kind:     by_value
      - .offset:         16
        .size:           8
        .value_kind:     by_value
      - .actual_access:  read_only
        .address_space:  global
        .offset:         24
        .size:           8
        .value_kind:     global_buffer
      - .offset:         32
        .size:           8
        .value_kind:     by_value
      - .actual_access:  read_only
        .address_space:  global
        .offset:         40
        .size:           8
        .value_kind:     global_buffer
      - .actual_access:  read_only
        .address_space:  global
        .offset:         48
        .size:           8
        .value_kind:     global_buffer
      - .actual_access:  read_only
        .address_space:  global
        .offset:         56
        .size:           8
        .value_kind:     global_buffer
      - .actual_access:  read_only
        .address_space:  global
        .offset:         64
        .size:           8
        .value_kind:     global_buffer
      - .offset:         72
        .size:           8
        .value_kind:     by_value
      - .address_space:  global
        .offset:         80
        .size:           8
        .value_kind:     global_buffer
      - .offset:         88
        .size:           4
        .value_kind:     by_value
      - .offset:         92
        .size:           1
        .value_kind:     by_value
      - .offset:         96
        .size:           4
        .value_kind:     hidden_block_count_x
      - .offset:         100
        .size:           4
        .value_kind:     hidden_block_count_y
      - .offset:         104
        .size:           4
        .value_kind:     hidden_block_count_z
      - .offset:         108
        .size:           2
        .value_kind:     hidden_group_size_x
      - .offset:         110
        .size:           2
        .value_kind:     hidden_group_size_y
      - .offset:         112
        .size:           2
        .value_kind:     hidden_group_size_z
      - .offset:         114
        .size:           2
        .value_kind:     hidden_remainder_x
      - .offset:         116
        .size:           2
        .value_kind:     hidden_remainder_y
      - .offset:         118
        .size:           2
        .value_kind:     hidden_remainder_z
      - .offset:         136
        .size:           8
        .value_kind:     hidden_global_offset_x
      - .offset:         144
        .size:           8
        .value_kind:     hidden_global_offset_y
      - .offset:         152
        .size:           8
        .value_kind:     hidden_global_offset_z
      - .offset:         160
        .size:           2
        .value_kind:     hidden_grid_dims
      - .offset:         216
        .size:           4
        .value_kind:     hidden_dynamic_lds_size
    .group_segment_fixed_size: 4096
    .kernarg_segment_align: 8
    .kernarg_segment_size: 352
    .language:       OpenCL C
    .language_version:
      - 2
      - 0
    .max_flat_workgroup_size: 256
    .name:           _ZN9rocsparseL27csrmvn_symm_adaptive_kernelIliaaiiEEvbT_S1_PKS1_NS_24const_host_device_scalarIT4_EES3_PKT0_PKT1_PKT2_S6_PT3_21rocsparse_index_base_b
    .private_segment_fixed_size: 0
    .sgpr_count:     56
    .sgpr_spill_count: 0
    .symbol:         _ZN9rocsparseL27csrmvn_symm_adaptive_kernelIliaaiiEEvbT_S1_PKS1_NS_24const_host_device_scalarIT4_EES3_PKT0_PKT1_PKT2_S6_PT3_21rocsparse_index_base_b.kd
    .uniform_work_group_size: 1
    .uses_dynamic_stack: false
    .vgpr_count:     22
    .vgpr_spill_count: 0
    .wavefront_size: 64
  - .args:
      - .offset:         0
        .size:           1
        .value_kind:     by_value
      - .offset:         8
        .size:           8
        .value_kind:     by_value
      - .actual_access:  read_only
        .address_space:  global
        .offset:         16
        .size:           8
        .value_kind:     global_buffer
      - .offset:         24
        .size:           8
        .value_kind:     by_value
      - .actual_access:  read_only
        .address_space:  global
        .offset:         32
        .size:           8
        .value_kind:     global_buffer
      - .actual_access:  read_only
        .address_space:  global
        .offset:         40
        .size:           8
        .value_kind:     global_buffer
      - .actual_access:  read_only
        .address_space:  global
        .offset:         48
        .size:           8
        .value_kind:     global_buffer
      - .actual_access:  read_only
        .address_space:  global
        .offset:         56
        .size:           8
        .value_kind:     global_buffer
      - .offset:         64
        .size:           8
        .value_kind:     by_value
      - .address_space:  global
        .offset:         72
        .size:           8
        .value_kind:     global_buffer
      - .offset:         80
        .size:           4
        .value_kind:     by_value
      - .offset:         84
        .size:           1
        .value_kind:     by_value
    .group_segment_fixed_size: 4096
    .kernarg_segment_align: 8
    .kernarg_segment_size: 88
    .language:       OpenCL C
    .language_version:
      - 2
      - 0
    .max_flat_workgroup_size: 256
    .name:           _ZL33csrmvn_symm_large_adaptive_kernelIliaaiiEvbT_PKS0_N9rocsparse24const_host_device_scalarIT4_EES2_PKT0_PKT1_PKT2_S6_PT3_21rocsparse_index_base_b
    .private_segment_fixed_size: 0
    .sgpr_count:     44
    .sgpr_spill_count: 0
    .symbol:         _ZL33csrmvn_symm_large_adaptive_kernelIliaaiiEvbT_PKS0_N9rocsparse24const_host_device_scalarIT4_EES2_PKT0_PKT1_PKT2_S6_PT3_21rocsparse_index_base_b.kd
    .uniform_work_group_size: 1
    .uses_dynamic_stack: false
    .vgpr_count:     16
    .vgpr_spill_count: 0
    .wavefront_size: 64
  - .args:
      - .offset:         0
        .size:           1
        .value_kind:     by_value
      - .offset:         8
        .size:           8
        .value_kind:     by_value
      - .actual_access:  read_only
        .address_space:  global
        .offset:         16
        .size:           8
        .value_kind:     global_buffer
      - .address_space:  global
        .offset:         24
        .size:           8
        .value_kind:     global_buffer
      - .actual_access:  read_only
        .address_space:  global
        .offset:         32
        .size:           8
        .value_kind:     global_buffer
      - .offset:         40
        .size:           8
        .value_kind:     by_value
      - .actual_access:  read_only
        .address_space:  global
        .offset:         48
        .size:           8
        .value_kind:     global_buffer
      - .actual_access:  read_only
        .address_space:  global
        .offset:         56
        .size:           8
        .value_kind:     global_buffer
      - .actual_access:  read_only
        .address_space:  global
        .offset:         64
        .size:           8
        .value_kind:     global_buffer
      - .actual_access:  read_only
        .address_space:  global
        .offset:         72
        .size:           8
        .value_kind:     global_buffer
      - .offset:         80
        .size:           8
        .value_kind:     by_value
      - .address_space:  global
        .offset:         88
        .size:           8
        .value_kind:     global_buffer
      - .offset:         96
        .size:           4
        .value_kind:     by_value
      - .offset:         100
        .size:           1
        .value_kind:     by_value
    .group_segment_fixed_size: 4096
    .kernarg_segment_align: 8
    .kernarg_segment_size: 104
    .language:       OpenCL C
    .language_version:
      - 2
      - 0
    .max_flat_workgroup_size: 256
    .name:           _ZN9rocsparseL22csrmvn_adaptive_kernelIllaaiiEEvbT_PKS1_PjPKT0_NS_24const_host_device_scalarIT4_EES3_S7_PKT1_PKT2_SA_PT3_21rocsparse_index_base_b
    .private_segment_fixed_size: 0
    .sgpr_count:     60
    .sgpr_spill_count: 0
    .symbol:         _ZN9rocsparseL22csrmvn_adaptive_kernelIllaaiiEEvbT_PKS1_PjPKT0_NS_24const_host_device_scalarIT4_EES3_S7_PKT1_PKT2_SA_PT3_21rocsparse_index_base_b.kd
    .uniform_work_group_size: 1
    .uses_dynamic_stack: false
    .vgpr_count:     21
    .vgpr_spill_count: 0
    .wavefront_size: 64
  - .args:
      - .offset:         0
        .size:           8
        .value_kind:     by_value
      - .offset:         8
        .size:           8
        .value_kind:     by_value
      - .offset:         16
        .size:           8
        .value_kind:     by_value
      - .offset:         24
        .size:           8
        .value_kind:     by_value
      - .address_space:  global
        .offset:         32
        .size:           8
        .value_kind:     global_buffer
      - .offset:         40
        .size:           1
        .value_kind:     by_value
    .group_segment_fixed_size: 0
    .kernarg_segment_align: 8
    .kernarg_segment_size: 44
    .language:       OpenCL C
    .language_version:
      - 2
      - 0
    .max_flat_workgroup_size: 256
    .name:           _ZN9rocsparseL22partial_scale_y_kernelIliiEEvT_S1_S1_NS_24const_host_device_scalarIT1_EEPT0_b
    .private_segment_fixed_size: 0
    .sgpr_count:     20
    .sgpr_spill_count: 0
    .symbol:         _ZN9rocsparseL22partial_scale_y_kernelIliiEEvT_S1_S1_NS_24const_host_device_scalarIT1_EEPT0_b.kd
    .uniform_work_group_size: 1
    .uses_dynamic_stack: false
    .vgpr_count:     4
    .vgpr_spill_count: 0
    .wavefront_size: 64
  - .args:
      - .offset:         0
        .size:           1
        .value_kind:     by_value
      - .offset:         8
        .size:           8
        .value_kind:     by_value
      - .offset:         16
        .size:           8
        .value_kind:     by_value
      - .actual_access:  read_only
        .address_space:  global
        .offset:         24
        .size:           8
        .value_kind:     global_buffer
      - .offset:         32
        .size:           8
        .value_kind:     by_value
      - .actual_access:  read_only
        .address_space:  global
        .offset:         40
        .size:           8
        .value_kind:     global_buffer
      - .actual_access:  read_only
        .address_space:  global
        .offset:         48
        .size:           8
        .value_kind:     global_buffer
      - .actual_access:  read_only
        .address_space:  global
        .offset:         56
        .size:           8
        .value_kind:     global_buffer
      - .actual_access:  read_only
        .address_space:  global
        .offset:         64
        .size:           8
        .value_kind:     global_buffer
      - .offset:         72
        .size:           8
        .value_kind:     by_value
      - .address_space:  global
        .offset:         80
        .size:           8
        .value_kind:     global_buffer
      - .offset:         88
        .size:           4
        .value_kind:     by_value
      - .offset:         92
        .size:           1
        .value_kind:     by_value
      - .offset:         96
        .size:           4
        .value_kind:     hidden_block_count_x
      - .offset:         100
        .size:           4
        .value_kind:     hidden_block_count_y
      - .offset:         104
        .size:           4
        .value_kind:     hidden_block_count_z
      - .offset:         108
        .size:           2
        .value_kind:     hidden_group_size_x
      - .offset:         110
        .size:           2
        .value_kind:     hidden_group_size_y
      - .offset:         112
        .size:           2
        .value_kind:     hidden_group_size_z
      - .offset:         114
        .size:           2
        .value_kind:     hidden_remainder_x
      - .offset:         116
        .size:           2
        .value_kind:     hidden_remainder_y
      - .offset:         118
        .size:           2
        .value_kind:     hidden_remainder_z
      - .offset:         136
        .size:           8
        .value_kind:     hidden_global_offset_x
      - .offset:         144
        .size:           8
        .value_kind:     hidden_global_offset_y
      - .offset:         152
        .size:           8
        .value_kind:     hidden_global_offset_z
      - .offset:         160
        .size:           2
        .value_kind:     hidden_grid_dims
      - .offset:         216
        .size:           4
        .value_kind:     hidden_dynamic_lds_size
    .group_segment_fixed_size: 4096
    .kernarg_segment_align: 8
    .kernarg_segment_size: 352
    .language:       OpenCL C
    .language_version:
      - 2
      - 0
    .max_flat_workgroup_size: 256
    .name:           _ZN9rocsparseL27csrmvn_symm_adaptive_kernelIllaaiiEEvbT_S1_PKS1_NS_24const_host_device_scalarIT4_EES3_PKT0_PKT1_PKT2_S6_PT3_21rocsparse_index_base_b
    .private_segment_fixed_size: 0
    .sgpr_count:     56
    .sgpr_spill_count: 0
    .symbol:         _ZN9rocsparseL27csrmvn_symm_adaptive_kernelIllaaiiEEvbT_S1_PKS1_NS_24const_host_device_scalarIT4_EES3_PKT0_PKT1_PKT2_S6_PT3_21rocsparse_index_base_b.kd
    .uniform_work_group_size: 1
    .uses_dynamic_stack: false
    .vgpr_count:     22
    .vgpr_spill_count: 0
    .wavefront_size: 64
  - .args:
      - .offset:         0
        .size:           1
        .value_kind:     by_value
      - .offset:         8
        .size:           8
        .value_kind:     by_value
      - .actual_access:  read_only
        .address_space:  global
        .offset:         16
        .size:           8
        .value_kind:     global_buffer
      - .offset:         24
        .size:           8
        .value_kind:     by_value
      - .actual_access:  read_only
        .address_space:  global
        .offset:         32
        .size:           8
        .value_kind:     global_buffer
      - .actual_access:  read_only
        .address_space:  global
        .offset:         40
        .size:           8
        .value_kind:     global_buffer
      - .actual_access:  read_only
        .address_space:  global
        .offset:         48
        .size:           8
        .value_kind:     global_buffer
      - .actual_access:  read_only
        .address_space:  global
        .offset:         56
        .size:           8
        .value_kind:     global_buffer
      - .offset:         64
        .size:           8
        .value_kind:     by_value
      - .address_space:  global
        .offset:         72
        .size:           8
        .value_kind:     global_buffer
      - .offset:         80
        .size:           4
        .value_kind:     by_value
      - .offset:         84
        .size:           1
        .value_kind:     by_value
    .group_segment_fixed_size: 4096
    .kernarg_segment_align: 8
    .kernarg_segment_size: 88
    .language:       OpenCL C
    .language_version:
      - 2
      - 0
    .max_flat_workgroup_size: 256
    .name:           _ZL33csrmvn_symm_large_adaptive_kernelIllaaiiEvbT_PKS0_N9rocsparse24const_host_device_scalarIT4_EES2_PKT0_PKT1_PKT2_S6_PT3_21rocsparse_index_base_b
    .private_segment_fixed_size: 0
    .sgpr_count:     44
    .sgpr_spill_count: 0
    .symbol:         _ZL33csrmvn_symm_large_adaptive_kernelIllaaiiEvbT_PKS0_N9rocsparse24const_host_device_scalarIT4_EES2_PKT0_PKT1_PKT2_S6_PT3_21rocsparse_index_base_b.kd
    .uniform_work_group_size: 1
    .uses_dynamic_stack: false
    .vgpr_count:     16
    .vgpr_spill_count: 0
    .wavefront_size: 64
  - .args:
      - .offset:         0
        .size:           1
        .value_kind:     by_value
      - .offset:         4
        .size:           4
        .value_kind:     by_value
      - .actual_access:  read_only
        .address_space:  global
        .offset:         8
        .size:           8
        .value_kind:     global_buffer
      - .address_space:  global
        .offset:         16
        .size:           8
        .value_kind:     global_buffer
      - .actual_access:  read_only
        .address_space:  global
        .offset:         24
        .size:           8
        .value_kind:     global_buffer
      - .offset:         32
        .size:           8
        .value_kind:     by_value
      - .actual_access:  read_only
        .address_space:  global
        .offset:         40
        .size:           8
        .value_kind:     global_buffer
      - .actual_access:  read_only
        .address_space:  global
        .offset:         48
        .size:           8
        .value_kind:     global_buffer
      - .actual_access:  read_only
        .address_space:  global
        .offset:         56
        .size:           8
        .value_kind:     global_buffer
      - .actual_access:  read_only
        .address_space:  global
        .offset:         64
        .size:           8
        .value_kind:     global_buffer
      - .offset:         72
        .size:           8
        .value_kind:     by_value
      - .address_space:  global
        .offset:         80
        .size:           8
        .value_kind:     global_buffer
      - .offset:         88
        .size:           4
        .value_kind:     by_value
      - .offset:         92
        .size:           1
        .value_kind:     by_value
    .group_segment_fixed_size: 4096
    .kernarg_segment_align: 8
    .kernarg_segment_size: 96
    .language:       OpenCL C
    .language_version:
      - 2
      - 0
    .max_flat_workgroup_size: 256
    .name:           _ZN9rocsparseL22csrmvn_adaptive_kernelIiiaaffEEvbT_PKS1_PjPKT0_NS_24const_host_device_scalarIT4_EES3_S7_PKT1_PKT2_SA_PT3_21rocsparse_index_base_b
    .private_segment_fixed_size: 0
    .sgpr_count:     62
    .sgpr_spill_count: 0
    .symbol:         _ZN9rocsparseL22csrmvn_adaptive_kernelIiiaaffEEvbT_PKS1_PjPKT0_NS_24const_host_device_scalarIT4_EES3_S7_PKT1_PKT2_SA_PT3_21rocsparse_index_base_b.kd
    .uniform_work_group_size: 1
    .uses_dynamic_stack: false
    .vgpr_count:     18
    .vgpr_spill_count: 0
    .wavefront_size: 64
  - .args:
      - .offset:         0
        .size:           1
        .value_kind:     by_value
      - .offset:         4
        .size:           4
        .value_kind:     by_value
      - .offset:         8
        .size:           4
        .value_kind:     by_value
      - .actual_access:  read_only
        .address_space:  global
        .offset:         16
        .size:           8
        .value_kind:     global_buffer
      - .offset:         24
        .size:           8
        .value_kind:     by_value
      - .actual_access:  read_only
        .address_space:  global
        .offset:         32
        .size:           8
        .value_kind:     global_buffer
      - .actual_access:  read_only
        .address_space:  global
        .offset:         40
        .size:           8
        .value_kind:     global_buffer
      - .actual_access:  read_only
        .address_space:  global
        .offset:         48
        .size:           8
        .value_kind:     global_buffer
      - .actual_access:  read_only
        .address_space:  global
        .offset:         56
        .size:           8
        .value_kind:     global_buffer
      - .offset:         64
        .size:           8
        .value_kind:     by_value
      - .address_space:  global
        .offset:         72
        .size:           8
        .value_kind:     global_buffer
      - .offset:         80
        .size:           4
        .value_kind:     by_value
      - .offset:         84
        .size:           1
        .value_kind:     by_value
      - .offset:         88
        .size:           4
        .value_kind:     hidden_block_count_x
      - .offset:         92
        .size:           4
        .value_kind:     hidden_block_count_y
      - .offset:         96
        .size:           4
        .value_kind:     hidden_block_count_z
      - .offset:         100
        .size:           2
        .value_kind:     hidden_group_size_x
      - .offset:         102
        .size:           2
        .value_kind:     hidden_group_size_y
      - .offset:         104
        .size:           2
        .value_kind:     hidden_group_size_z
      - .offset:         106
        .size:           2
        .value_kind:     hidden_remainder_x
      - .offset:         108
        .size:           2
        .value_kind:     hidden_remainder_y
      - .offset:         110
        .size:           2
        .value_kind:     hidden_remainder_z
      - .offset:         128
        .size:           8
        .value_kind:     hidden_global_offset_x
      - .offset:         136
        .size:           8
        .value_kind:     hidden_global_offset_y
      - .offset:         144
        .size:           8
        .value_kind:     hidden_global_offset_z
      - .offset:         152
        .size:           2
        .value_kind:     hidden_grid_dims
      - .offset:         208
        .size:           4
        .value_kind:     hidden_dynamic_lds_size
    .group_segment_fixed_size: 4096
    .kernarg_segment_align: 8
    .kernarg_segment_size: 344
    .language:       OpenCL C
    .language_version:
      - 2
      - 0
    .max_flat_workgroup_size: 256
    .name:           _ZN9rocsparseL27csrmvn_symm_adaptive_kernelIiiaaffEEvbT_S1_PKS1_NS_24const_host_device_scalarIT4_EES3_PKT0_PKT1_PKT2_S6_PT3_21rocsparse_index_base_b
    .private_segment_fixed_size: 0
    .sgpr_count:     42
    .sgpr_spill_count: 0
    .symbol:         _ZN9rocsparseL27csrmvn_symm_adaptive_kernelIiiaaffEEvbT_S1_PKS1_NS_24const_host_device_scalarIT4_EES3_PKT0_PKT1_PKT2_S6_PT3_21rocsparse_index_base_b.kd
    .uniform_work_group_size: 1
    .uses_dynamic_stack: false
    .vgpr_count:     16
    .vgpr_spill_count: 0
    .wavefront_size: 64
  - .args:
      - .offset:         0
        .size:           1
        .value_kind:     by_value
      - .offset:         4
        .size:           4
        .value_kind:     by_value
      - .actual_access:  read_only
        .address_space:  global
        .offset:         8
        .size:           8
        .value_kind:     global_buffer
      - .offset:         16
        .size:           8
        .value_kind:     by_value
      - .actual_access:  read_only
        .address_space:  global
        .offset:         24
        .size:           8
        .value_kind:     global_buffer
      - .actual_access:  read_only
        .address_space:  global
        .offset:         32
        .size:           8
        .value_kind:     global_buffer
      - .actual_access:  read_only
        .address_space:  global
        .offset:         40
        .size:           8
        .value_kind:     global_buffer
      - .actual_access:  read_only
        .address_space:  global
        .offset:         48
        .size:           8
        .value_kind:     global_buffer
      - .offset:         56
        .size:           8
        .value_kind:     by_value
      - .address_space:  global
        .offset:         64
        .size:           8
        .value_kind:     global_buffer
      - .offset:         72
        .size:           4
        .value_kind:     by_value
      - .offset:         76
        .size:           1
        .value_kind:     by_value
    .group_segment_fixed_size: 4096
    .kernarg_segment_align: 8
    .kernarg_segment_size: 80
    .language:       OpenCL C
    .language_version:
      - 2
      - 0
    .max_flat_workgroup_size: 256
    .name:           _ZL33csrmvn_symm_large_adaptive_kernelIiiaaffEvbT_PKS0_N9rocsparse24const_host_device_scalarIT4_EES2_PKT0_PKT1_PKT2_S6_PT3_21rocsparse_index_base_b
    .private_segment_fixed_size: 0
    .sgpr_count:     40
    .sgpr_spill_count: 0
    .symbol:         _ZL33csrmvn_symm_large_adaptive_kernelIiiaaffEvbT_PKS0_N9rocsparse24const_host_device_scalarIT4_EES2_PKT0_PKT1_PKT2_S6_PT3_21rocsparse_index_base_b.kd
    .uniform_work_group_size: 1
    .uses_dynamic_stack: false
    .vgpr_count:     13
    .vgpr_spill_count: 0
    .wavefront_size: 64
  - .args:
      - .offset:         0
        .size:           1
        .value_kind:     by_value
      - .offset:         8
        .size:           8
        .value_kind:     by_value
      - .actual_access:  read_only
        .address_space:  global
        .offset:         16
        .size:           8
        .value_kind:     global_buffer
      - .address_space:  global
        .offset:         24
        .size:           8
        .value_kind:     global_buffer
      - .actual_access:  read_only
        .address_space:  global
        .offset:         32
        .size:           8
        .value_kind:     global_buffer
      - .offset:         40
        .size:           8
        .value_kind:     by_value
      - .actual_access:  read_only
        .address_space:  global
        .offset:         48
        .size:           8
        .value_kind:     global_buffer
      - .actual_access:  read_only
        .address_space:  global
        .offset:         56
        .size:           8
        .value_kind:     global_buffer
      - .actual_access:  read_only
        .address_space:  global
        .offset:         64
        .size:           8
        .value_kind:     global_buffer
      - .actual_access:  read_only
        .address_space:  global
        .offset:         72
        .size:           8
        .value_kind:     global_buffer
      - .offset:         80
        .size:           8
        .value_kind:     by_value
      - .address_space:  global
        .offset:         88
        .size:           8
        .value_kind:     global_buffer
      - .offset:         96
        .size:           4
        .value_kind:     by_value
      - .offset:         100
        .size:           1
        .value_kind:     by_value
    .group_segment_fixed_size: 4096
    .kernarg_segment_align: 8
    .kernarg_segment_size: 104
    .language:       OpenCL C
    .language_version:
      - 2
      - 0
    .max_flat_workgroup_size: 256
    .name:           _ZN9rocsparseL22csrmvn_adaptive_kernelIliaaffEEvbT_PKS1_PjPKT0_NS_24const_host_device_scalarIT4_EES3_S7_PKT1_PKT2_SA_PT3_21rocsparse_index_base_b
    .private_segment_fixed_size: 0
    .sgpr_count:     64
    .sgpr_spill_count: 0
    .symbol:         _ZN9rocsparseL22csrmvn_adaptive_kernelIliaaffEEvbT_PKS1_PjPKT0_NS_24const_host_device_scalarIT4_EES3_S7_PKT1_PKT2_SA_PT3_21rocsparse_index_base_b.kd
    .uniform_work_group_size: 1
    .uses_dynamic_stack: false
    .vgpr_count:     18
    .vgpr_spill_count: 0
    .wavefront_size: 64
  - .args:
      - .offset:         0
        .size:           1
        .value_kind:     by_value
      - .offset:         8
        .size:           8
        .value_kind:     by_value
      - .offset:         16
        .size:           8
        .value_kind:     by_value
      - .actual_access:  read_only
        .address_space:  global
        .offset:         24
        .size:           8
        .value_kind:     global_buffer
      - .offset:         32
        .size:           8
        .value_kind:     by_value
      - .actual_access:  read_only
        .address_space:  global
        .offset:         40
        .size:           8
        .value_kind:     global_buffer
      - .actual_access:  read_only
        .address_space:  global
        .offset:         48
        .size:           8
        .value_kind:     global_buffer
      - .actual_access:  read_only
        .address_space:  global
        .offset:         56
        .size:           8
        .value_kind:     global_buffer
      - .actual_access:  read_only
        .address_space:  global
        .offset:         64
        .size:           8
        .value_kind:     global_buffer
      - .offset:         72
        .size:           8
        .value_kind:     by_value
      - .address_space:  global
        .offset:         80
        .size:           8
        .value_kind:     global_buffer
      - .offset:         88
        .size:           4
        .value_kind:     by_value
      - .offset:         92
        .size:           1
        .value_kind:     by_value
      - .offset:         96
        .size:           4
        .value_kind:     hidden_block_count_x
      - .offset:         100
        .size:           4
        .value_kind:     hidden_block_count_y
      - .offset:         104
        .size:           4
        .value_kind:     hidden_block_count_z
      - .offset:         108
        .size:           2
        .value_kind:     hidden_group_size_x
      - .offset:         110
        .size:           2
        .value_kind:     hidden_group_size_y
      - .offset:         112
        .size:           2
        .value_kind:     hidden_group_size_z
      - .offset:         114
        .size:           2
        .value_kind:     hidden_remainder_x
      - .offset:         116
        .size:           2
        .value_kind:     hidden_remainder_y
      - .offset:         118
        .size:           2
        .value_kind:     hidden_remainder_z
      - .offset:         136
        .size:           8
        .value_kind:     hidden_global_offset_x
      - .offset:         144
        .size:           8
        .value_kind:     hidden_global_offset_y
      - .offset:         152
        .size:           8
        .value_kind:     hidden_global_offset_z
      - .offset:         160
        .size:           2
        .value_kind:     hidden_grid_dims
      - .offset:         216
        .size:           4
        .value_kind:     hidden_dynamic_lds_size
    .group_segment_fixed_size: 4096
    .kernarg_segment_align: 8
    .kernarg_segment_size: 352
    .language:       OpenCL C
    .language_version:
      - 2
      - 0
    .max_flat_workgroup_size: 256
    .name:           _ZN9rocsparseL27csrmvn_symm_adaptive_kernelIliaaffEEvbT_S1_PKS1_NS_24const_host_device_scalarIT4_EES3_PKT0_PKT1_PKT2_S6_PT3_21rocsparse_index_base_b
    .private_segment_fixed_size: 0
    .sgpr_count:     56
    .sgpr_spill_count: 0
    .symbol:         _ZN9rocsparseL27csrmvn_symm_adaptive_kernelIliaaffEEvbT_S1_PKS1_NS_24const_host_device_scalarIT4_EES3_PKT0_PKT1_PKT2_S6_PT3_21rocsparse_index_base_b.kd
    .uniform_work_group_size: 1
    .uses_dynamic_stack: false
    .vgpr_count:     22
    .vgpr_spill_count: 0
    .wavefront_size: 64
  - .args:
      - .offset:         0
        .size:           1
        .value_kind:     by_value
      - .offset:         8
        .size:           8
        .value_kind:     by_value
      - .actual_access:  read_only
        .address_space:  global
        .offset:         16
        .size:           8
        .value_kind:     global_buffer
      - .offset:         24
        .size:           8
        .value_kind:     by_value
      - .actual_access:  read_only
        .address_space:  global
        .offset:         32
        .size:           8
        .value_kind:     global_buffer
      - .actual_access:  read_only
        .address_space:  global
        .offset:         40
        .size:           8
        .value_kind:     global_buffer
      - .actual_access:  read_only
        .address_space:  global
        .offset:         48
        .size:           8
        .value_kind:     global_buffer
      - .actual_access:  read_only
        .address_space:  global
        .offset:         56
        .size:           8
        .value_kind:     global_buffer
      - .offset:         64
        .size:           8
        .value_kind:     by_value
      - .address_space:  global
        .offset:         72
        .size:           8
        .value_kind:     global_buffer
      - .offset:         80
        .size:           4
        .value_kind:     by_value
      - .offset:         84
        .size:           1
        .value_kind:     by_value
    .group_segment_fixed_size: 4096
    .kernarg_segment_align: 8
    .kernarg_segment_size: 88
    .language:       OpenCL C
    .language_version:
      - 2
      - 0
    .max_flat_workgroup_size: 256
    .name:           _ZL33csrmvn_symm_large_adaptive_kernelIliaaffEvbT_PKS0_N9rocsparse24const_host_device_scalarIT4_EES2_PKT0_PKT1_PKT2_S6_PT3_21rocsparse_index_base_b
    .private_segment_fixed_size: 0
    .sgpr_count:     44
    .sgpr_spill_count: 0
    .symbol:         _ZL33csrmvn_symm_large_adaptive_kernelIliaaffEvbT_PKS0_N9rocsparse24const_host_device_scalarIT4_EES2_PKT0_PKT1_PKT2_S6_PT3_21rocsparse_index_base_b.kd
    .uniform_work_group_size: 1
    .uses_dynamic_stack: false
    .vgpr_count:     16
    .vgpr_spill_count: 0
    .wavefront_size: 64
  - .args:
      - .offset:         0
        .size:           1
        .value_kind:     by_value
      - .offset:         8
        .size:           8
        .value_kind:     by_value
      - .actual_access:  read_only
        .address_space:  global
        .offset:         16
        .size:           8
        .value_kind:     global_buffer
      - .address_space:  global
        .offset:         24
        .size:           8
        .value_kind:     global_buffer
      - .actual_access:  read_only
        .address_space:  global
        .offset:         32
        .size:           8
        .value_kind:     global_buffer
      - .offset:         40
        .size:           8
        .value_kind:     by_value
      - .actual_access:  read_only
        .address_space:  global
        .offset:         48
        .size:           8
        .value_kind:     global_buffer
      - .actual_access:  read_only
        .address_space:  global
        .offset:         56
        .size:           8
        .value_kind:     global_buffer
      - .actual_access:  read_only
        .address_space:  global
        .offset:         64
        .size:           8
        .value_kind:     global_buffer
      - .actual_access:  read_only
        .address_space:  global
        .offset:         72
        .size:           8
        .value_kind:     global_buffer
      - .offset:         80
        .size:           8
        .value_kind:     by_value
      - .address_space:  global
        .offset:         88
        .size:           8
        .value_kind:     global_buffer
      - .offset:         96
        .size:           4
        .value_kind:     by_value
      - .offset:         100
        .size:           1
        .value_kind:     by_value
    .group_segment_fixed_size: 4096
    .kernarg_segment_align: 8
    .kernarg_segment_size: 104
    .language:       OpenCL C
    .language_version:
      - 2
      - 0
    .max_flat_workgroup_size: 256
    .name:           _ZN9rocsparseL22csrmvn_adaptive_kernelIllaaffEEvbT_PKS1_PjPKT0_NS_24const_host_device_scalarIT4_EES3_S7_PKT1_PKT2_SA_PT3_21rocsparse_index_base_b
    .private_segment_fixed_size: 0
    .sgpr_count:     64
    .sgpr_spill_count: 0
    .symbol:         _ZN9rocsparseL22csrmvn_adaptive_kernelIllaaffEEvbT_PKS1_PjPKT0_NS_24const_host_device_scalarIT4_EES3_S7_PKT1_PKT2_SA_PT3_21rocsparse_index_base_b.kd
    .uniform_work_group_size: 1
    .uses_dynamic_stack: false
    .vgpr_count:     21
    .vgpr_spill_count: 0
    .wavefront_size: 64
  - .args:
      - .offset:         0
        .size:           1
        .value_kind:     by_value
      - .offset:         8
        .size:           8
        .value_kind:     by_value
      - .offset:         16
        .size:           8
        .value_kind:     by_value
      - .actual_access:  read_only
        .address_space:  global
        .offset:         24
        .size:           8
        .value_kind:     global_buffer
      - .offset:         32
        .size:           8
        .value_kind:     by_value
      - .actual_access:  read_only
        .address_space:  global
        .offset:         40
        .size:           8
        .value_kind:     global_buffer
      - .actual_access:  read_only
        .address_space:  global
        .offset:         48
        .size:           8
        .value_kind:     global_buffer
      - .actual_access:  read_only
        .address_space:  global
        .offset:         56
        .size:           8
        .value_kind:     global_buffer
      - .actual_access:  read_only
        .address_space:  global
        .offset:         64
        .size:           8
        .value_kind:     global_buffer
      - .offset:         72
        .size:           8
        .value_kind:     by_value
      - .address_space:  global
        .offset:         80
        .size:           8
        .value_kind:     global_buffer
      - .offset:         88
        .size:           4
        .value_kind:     by_value
      - .offset:         92
        .size:           1
        .value_kind:     by_value
      - .offset:         96
        .size:           4
        .value_kind:     hidden_block_count_x
      - .offset:         100
        .size:           4
        .value_kind:     hidden_block_count_y
      - .offset:         104
        .size:           4
        .value_kind:     hidden_block_count_z
      - .offset:         108
        .size:           2
        .value_kind:     hidden_group_size_x
      - .offset:         110
        .size:           2
        .value_kind:     hidden_group_size_y
      - .offset:         112
        .size:           2
        .value_kind:     hidden_group_size_z
      - .offset:         114
        .size:           2
        .value_kind:     hidden_remainder_x
      - .offset:         116
        .size:           2
        .value_kind:     hidden_remainder_y
      - .offset:         118
        .size:           2
        .value_kind:     hidden_remainder_z
      - .offset:         136
        .size:           8
        .value_kind:     hidden_global_offset_x
      - .offset:         144
        .size:           8
        .value_kind:     hidden_global_offset_y
      - .offset:         152
        .size:           8
        .value_kind:     hidden_global_offset_z
      - .offset:         160
        .size:           2
        .value_kind:     hidden_grid_dims
      - .offset:         216
        .size:           4
        .value_kind:     hidden_dynamic_lds_size
    .group_segment_fixed_size: 4096
    .kernarg_segment_align: 8
    .kernarg_segment_size: 352
    .language:       OpenCL C
    .language_version:
      - 2
      - 0
    .max_flat_workgroup_size: 256
    .name:           _ZN9rocsparseL27csrmvn_symm_adaptive_kernelIllaaffEEvbT_S1_PKS1_NS_24const_host_device_scalarIT4_EES3_PKT0_PKT1_PKT2_S6_PT3_21rocsparse_index_base_b
    .private_segment_fixed_size: 0
    .sgpr_count:     56
    .sgpr_spill_count: 0
    .symbol:         _ZN9rocsparseL27csrmvn_symm_adaptive_kernelIllaaffEEvbT_S1_PKS1_NS_24const_host_device_scalarIT4_EES3_PKT0_PKT1_PKT2_S6_PT3_21rocsparse_index_base_b.kd
    .uniform_work_group_size: 1
    .uses_dynamic_stack: false
    .vgpr_count:     22
    .vgpr_spill_count: 0
    .wavefront_size: 64
  - .args:
      - .offset:         0
        .size:           1
        .value_kind:     by_value
      - .offset:         8
        .size:           8
        .value_kind:     by_value
      - .actual_access:  read_only
        .address_space:  global
        .offset:         16
        .size:           8
        .value_kind:     global_buffer
      - .offset:         24
        .size:           8
        .value_kind:     by_value
      - .actual_access:  read_only
        .address_space:  global
        .offset:         32
        .size:           8
        .value_kind:     global_buffer
      - .actual_access:  read_only
        .address_space:  global
        .offset:         40
        .size:           8
        .value_kind:     global_buffer
      - .actual_access:  read_only
        .address_space:  global
        .offset:         48
        .size:           8
        .value_kind:     global_buffer
      - .actual_access:  read_only
        .address_space:  global
        .offset:         56
        .size:           8
        .value_kind:     global_buffer
      - .offset:         64
        .size:           8
        .value_kind:     by_value
      - .address_space:  global
        .offset:         72
        .size:           8
        .value_kind:     global_buffer
      - .offset:         80
        .size:           4
        .value_kind:     by_value
      - .offset:         84
        .size:           1
        .value_kind:     by_value
    .group_segment_fixed_size: 4096
    .kernarg_segment_align: 8
    .kernarg_segment_size: 88
    .language:       OpenCL C
    .language_version:
      - 2
      - 0
    .max_flat_workgroup_size: 256
    .name:           _ZL33csrmvn_symm_large_adaptive_kernelIllaaffEvbT_PKS0_N9rocsparse24const_host_device_scalarIT4_EES2_PKT0_PKT1_PKT2_S6_PT3_21rocsparse_index_base_b
    .private_segment_fixed_size: 0
    .sgpr_count:     44
    .sgpr_spill_count: 0
    .symbol:         _ZL33csrmvn_symm_large_adaptive_kernelIllaaffEvbT_PKS0_N9rocsparse24const_host_device_scalarIT4_EES2_PKT0_PKT1_PKT2_S6_PT3_21rocsparse_index_base_b.kd
    .uniform_work_group_size: 1
    .uses_dynamic_stack: false
    .vgpr_count:     16
    .vgpr_spill_count: 0
    .wavefront_size: 64
  - .args:
      - .offset:         0
        .size:           1
        .value_kind:     by_value
      - .offset:         4
        .size:           4
        .value_kind:     by_value
      - .actual_access:  read_only
        .address_space:  global
        .offset:         8
        .size:           8
        .value_kind:     global_buffer
      - .address_space:  global
        .offset:         16
        .size:           8
        .value_kind:     global_buffer
      - .actual_access:  read_only
        .address_space:  global
        .offset:         24
        .size:           8
        .value_kind:     global_buffer
      - .offset:         32
        .size:           8
        .value_kind:     by_value
      - .actual_access:  read_only
        .address_space:  global
        .offset:         40
        .size:           8
        .value_kind:     global_buffer
      - .actual_access:  read_only
        .address_space:  global
        .offset:         48
        .size:           8
        .value_kind:     global_buffer
      - .actual_access:  read_only
        .address_space:  global
        .offset:         56
        .size:           8
        .value_kind:     global_buffer
      - .actual_access:  read_only
        .address_space:  global
        .offset:         64
        .size:           8
        .value_kind:     global_buffer
      - .offset:         72
        .size:           8
        .value_kind:     by_value
      - .address_space:  global
        .offset:         80
        .size:           8
        .value_kind:     global_buffer
      - .offset:         88
        .size:           4
        .value_kind:     by_value
      - .offset:         92
        .size:           1
        .value_kind:     by_value
    .group_segment_fixed_size: 4096
    .kernarg_segment_align: 8
    .kernarg_segment_size: 96
    .language:       OpenCL C
    .language_version:
      - 2
      - 0
    .max_flat_workgroup_size: 256
    .name:           _ZN9rocsparseL22csrmvn_adaptive_kernelIiiDF16_DF16_ffEEvbT_PKS1_PjPKT0_NS_24const_host_device_scalarIT4_EES3_S7_PKT1_PKT2_SA_PT3_21rocsparse_index_base_b
    .private_segment_fixed_size: 0
    .sgpr_count:     62
    .sgpr_spill_count: 0
    .symbol:         _ZN9rocsparseL22csrmvn_adaptive_kernelIiiDF16_DF16_ffEEvbT_PKS1_PjPKT0_NS_24const_host_device_scalarIT4_EES3_S7_PKT1_PKT2_SA_PT3_21rocsparse_index_base_b.kd
    .uniform_work_group_size: 1
    .uses_dynamic_stack: false
    .vgpr_count:     19
    .vgpr_spill_count: 0
    .wavefront_size: 64
  - .args:
      - .offset:         0
        .size:           1
        .value_kind:     by_value
      - .offset:         4
        .size:           4
        .value_kind:     by_value
      - .offset:         8
        .size:           4
        .value_kind:     by_value
      - .actual_access:  read_only
        .address_space:  global
        .offset:         16
        .size:           8
        .value_kind:     global_buffer
      - .offset:         24
        .size:           8
        .value_kind:     by_value
      - .actual_access:  read_only
        .address_space:  global
        .offset:         32
        .size:           8
        .value_kind:     global_buffer
      - .actual_access:  read_only
        .address_space:  global
        .offset:         40
        .size:           8
        .value_kind:     global_buffer
      - .actual_access:  read_only
        .address_space:  global
        .offset:         48
        .size:           8
        .value_kind:     global_buffer
      - .actual_access:  read_only
        .address_space:  global
        .offset:         56
        .size:           8
        .value_kind:     global_buffer
      - .offset:         64
        .size:           8
        .value_kind:     by_value
      - .address_space:  global
        .offset:         72
        .size:           8
        .value_kind:     global_buffer
      - .offset:         80
        .size:           4
        .value_kind:     by_value
      - .offset:         84
        .size:           1
        .value_kind:     by_value
      - .offset:         88
        .size:           4
        .value_kind:     hidden_block_count_x
      - .offset:         92
        .size:           4
        .value_kind:     hidden_block_count_y
      - .offset:         96
        .size:           4
        .value_kind:     hidden_block_count_z
      - .offset:         100
        .size:           2
        .value_kind:     hidden_group_size_x
      - .offset:         102
        .size:           2
        .value_kind:     hidden_group_size_y
      - .offset:         104
        .size:           2
        .value_kind:     hidden_group_size_z
      - .offset:         106
        .size:           2
        .value_kind:     hidden_remainder_x
      - .offset:         108
        .size:           2
        .value_kind:     hidden_remainder_y
      - .offset:         110
        .size:           2
        .value_kind:     hidden_remainder_z
      - .offset:         128
        .size:           8
        .value_kind:     hidden_global_offset_x
      - .offset:         136
        .size:           8
        .value_kind:     hidden_global_offset_y
      - .offset:         144
        .size:           8
        .value_kind:     hidden_global_offset_z
      - .offset:         152
        .size:           2
        .value_kind:     hidden_grid_dims
      - .offset:         208
        .size:           4
        .value_kind:     hidden_dynamic_lds_size
    .group_segment_fixed_size: 4096
    .kernarg_segment_align: 8
    .kernarg_segment_size: 344
    .language:       OpenCL C
    .language_version:
      - 2
      - 0
    .max_flat_workgroup_size: 256
    .name:           _ZN9rocsparseL27csrmvn_symm_adaptive_kernelIiiDF16_DF16_ffEEvbT_S1_PKS1_NS_24const_host_device_scalarIT4_EES3_PKT0_PKT1_PKT2_S6_PT3_21rocsparse_index_base_b
    .private_segment_fixed_size: 0
    .sgpr_count:     42
    .sgpr_spill_count: 0
    .symbol:         _ZN9rocsparseL27csrmvn_symm_adaptive_kernelIiiDF16_DF16_ffEEvbT_S1_PKS1_NS_24const_host_device_scalarIT4_EES3_PKT0_PKT1_PKT2_S6_PT3_21rocsparse_index_base_b.kd
    .uniform_work_group_size: 1
    .uses_dynamic_stack: false
    .vgpr_count:     16
    .vgpr_spill_count: 0
    .wavefront_size: 64
  - .args:
      - .offset:         0
        .size:           1
        .value_kind:     by_value
      - .offset:         4
        .size:           4
        .value_kind:     by_value
      - .actual_access:  read_only
        .address_space:  global
        .offset:         8
        .size:           8
        .value_kind:     global_buffer
      - .offset:         16
        .size:           8
        .value_kind:     by_value
      - .actual_access:  read_only
        .address_space:  global
        .offset:         24
        .size:           8
        .value_kind:     global_buffer
      - .actual_access:  read_only
        .address_space:  global
        .offset:         32
        .size:           8
        .value_kind:     global_buffer
      - .actual_access:  read_only
        .address_space:  global
        .offset:         40
        .size:           8
        .value_kind:     global_buffer
      - .actual_access:  read_only
        .address_space:  global
        .offset:         48
        .size:           8
        .value_kind:     global_buffer
      - .offset:         56
        .size:           8
        .value_kind:     by_value
      - .address_space:  global
        .offset:         64
        .size:           8
        .value_kind:     global_buffer
      - .offset:         72
        .size:           4
        .value_kind:     by_value
      - .offset:         76
        .size:           1
        .value_kind:     by_value
    .group_segment_fixed_size: 4096
    .kernarg_segment_align: 8
    .kernarg_segment_size: 80
    .language:       OpenCL C
    .language_version:
      - 2
      - 0
    .max_flat_workgroup_size: 256
    .name:           _ZL33csrmvn_symm_large_adaptive_kernelIiiDF16_DF16_ffEvbT_PKS0_N9rocsparse24const_host_device_scalarIT4_EES2_PKT0_PKT1_PKT2_S6_PT3_21rocsparse_index_base_b
    .private_segment_fixed_size: 0
    .sgpr_count:     40
    .sgpr_spill_count: 0
    .symbol:         _ZL33csrmvn_symm_large_adaptive_kernelIiiDF16_DF16_ffEvbT_PKS0_N9rocsparse24const_host_device_scalarIT4_EES2_PKT0_PKT1_PKT2_S6_PT3_21rocsparse_index_base_b.kd
    .uniform_work_group_size: 1
    .uses_dynamic_stack: false
    .vgpr_count:     13
    .vgpr_spill_count: 0
    .wavefront_size: 64
  - .args:
      - .offset:         0
        .size:           1
        .value_kind:     by_value
      - .offset:         8
        .size:           8
        .value_kind:     by_value
      - .actual_access:  read_only
        .address_space:  global
        .offset:         16
        .size:           8
        .value_kind:     global_buffer
      - .address_space:  global
        .offset:         24
        .size:           8
        .value_kind:     global_buffer
      - .actual_access:  read_only
        .address_space:  global
        .offset:         32
        .size:           8
        .value_kind:     global_buffer
      - .offset:         40
        .size:           8
        .value_kind:     by_value
      - .actual_access:  read_only
        .address_space:  global
        .offset:         48
        .size:           8
        .value_kind:     global_buffer
      - .actual_access:  read_only
        .address_space:  global
        .offset:         56
        .size:           8
        .value_kind:     global_buffer
      - .actual_access:  read_only
        .address_space:  global
        .offset:         64
        .size:           8
        .value_kind:     global_buffer
      - .actual_access:  read_only
        .address_space:  global
        .offset:         72
        .size:           8
        .value_kind:     global_buffer
      - .offset:         80
        .size:           8
        .value_kind:     by_value
      - .address_space:  global
        .offset:         88
        .size:           8
        .value_kind:     global_buffer
      - .offset:         96
        .size:           4
        .value_kind:     by_value
      - .offset:         100
        .size:           1
        .value_kind:     by_value
    .group_segment_fixed_size: 4096
    .kernarg_segment_align: 8
    .kernarg_segment_size: 104
    .language:       OpenCL C
    .language_version:
      - 2
      - 0
    .max_flat_workgroup_size: 256
    .name:           _ZN9rocsparseL22csrmvn_adaptive_kernelIliDF16_DF16_ffEEvbT_PKS1_PjPKT0_NS_24const_host_device_scalarIT4_EES3_S7_PKT1_PKT2_SA_PT3_21rocsparse_index_base_b
    .private_segment_fixed_size: 0
    .sgpr_count:     64
    .sgpr_spill_count: 0
    .symbol:         _ZN9rocsparseL22csrmvn_adaptive_kernelIliDF16_DF16_ffEEvbT_PKS1_PjPKT0_NS_24const_host_device_scalarIT4_EES3_S7_PKT1_PKT2_SA_PT3_21rocsparse_index_base_b.kd
    .uniform_work_group_size: 1
    .uses_dynamic_stack: false
    .vgpr_count:     18
    .vgpr_spill_count: 0
    .wavefront_size: 64
  - .args:
      - .offset:         0
        .size:           1
        .value_kind:     by_value
      - .offset:         8
        .size:           8
        .value_kind:     by_value
      - .offset:         16
        .size:           8
        .value_kind:     by_value
      - .actual_access:  read_only
        .address_space:  global
        .offset:         24
        .size:           8
        .value_kind:     global_buffer
      - .offset:         32
        .size:           8
        .value_kind:     by_value
      - .actual_access:  read_only
        .address_space:  global
        .offset:         40
        .size:           8
        .value_kind:     global_buffer
      - .actual_access:  read_only
        .address_space:  global
        .offset:         48
        .size:           8
        .value_kind:     global_buffer
      - .actual_access:  read_only
        .address_space:  global
        .offset:         56
        .size:           8
        .value_kind:     global_buffer
      - .actual_access:  read_only
        .address_space:  global
        .offset:         64
        .size:           8
        .value_kind:     global_buffer
      - .offset:         72
        .size:           8
        .value_kind:     by_value
      - .address_space:  global
        .offset:         80
        .size:           8
        .value_kind:     global_buffer
      - .offset:         88
        .size:           4
        .value_kind:     by_value
      - .offset:         92
        .size:           1
        .value_kind:     by_value
      - .offset:         96
        .size:           4
        .value_kind:     hidden_block_count_x
      - .offset:         100
        .size:           4
        .value_kind:     hidden_block_count_y
      - .offset:         104
        .size:           4
        .value_kind:     hidden_block_count_z
      - .offset:         108
        .size:           2
        .value_kind:     hidden_group_size_x
      - .offset:         110
        .size:           2
        .value_kind:     hidden_group_size_y
      - .offset:         112
        .size:           2
        .value_kind:     hidden_group_size_z
      - .offset:         114
        .size:           2
        .value_kind:     hidden_remainder_x
      - .offset:         116
        .size:           2
        .value_kind:     hidden_remainder_y
      - .offset:         118
        .size:           2
        .value_kind:     hidden_remainder_z
      - .offset:         136
        .size:           8
        .value_kind:     hidden_global_offset_x
      - .offset:         144
        .size:           8
        .value_kind:     hidden_global_offset_y
      - .offset:         152
        .size:           8
        .value_kind:     hidden_global_offset_z
      - .offset:         160
        .size:           2
        .value_kind:     hidden_grid_dims
      - .offset:         216
        .size:           4
        .value_kind:     hidden_dynamic_lds_size
    .group_segment_fixed_size: 4096
    .kernarg_segment_align: 8
    .kernarg_segment_size: 352
    .language:       OpenCL C
    .language_version:
      - 2
      - 0
    .max_flat_workgroup_size: 256
    .name:           _ZN9rocsparseL27csrmvn_symm_adaptive_kernelIliDF16_DF16_ffEEvbT_S1_PKS1_NS_24const_host_device_scalarIT4_EES3_PKT0_PKT1_PKT2_S6_PT3_21rocsparse_index_base_b
    .private_segment_fixed_size: 0
    .sgpr_count:     56
    .sgpr_spill_count: 0
    .symbol:         _ZN9rocsparseL27csrmvn_symm_adaptive_kernelIliDF16_DF16_ffEEvbT_S1_PKS1_NS_24const_host_device_scalarIT4_EES3_PKT0_PKT1_PKT2_S6_PT3_21rocsparse_index_base_b.kd
    .uniform_work_group_size: 1
    .uses_dynamic_stack: false
    .vgpr_count:     22
    .vgpr_spill_count: 0
    .wavefront_size: 64
  - .args:
      - .offset:         0
        .size:           1
        .value_kind:     by_value
      - .offset:         8
        .size:           8
        .value_kind:     by_value
      - .actual_access:  read_only
        .address_space:  global
        .offset:         16
        .size:           8
        .value_kind:     global_buffer
      - .offset:         24
        .size:           8
        .value_kind:     by_value
      - .actual_access:  read_only
        .address_space:  global
        .offset:         32
        .size:           8
        .value_kind:     global_buffer
      - .actual_access:  read_only
        .address_space:  global
        .offset:         40
        .size:           8
        .value_kind:     global_buffer
      - .actual_access:  read_only
        .address_space:  global
        .offset:         48
        .size:           8
        .value_kind:     global_buffer
      - .actual_access:  read_only
        .address_space:  global
        .offset:         56
        .size:           8
        .value_kind:     global_buffer
      - .offset:         64
        .size:           8
        .value_kind:     by_value
      - .address_space:  global
        .offset:         72
        .size:           8
        .value_kind:     global_buffer
      - .offset:         80
        .size:           4
        .value_kind:     by_value
      - .offset:         84
        .size:           1
        .value_kind:     by_value
    .group_segment_fixed_size: 4096
    .kernarg_segment_align: 8
    .kernarg_segment_size: 88
    .language:       OpenCL C
    .language_version:
      - 2
      - 0
    .max_flat_workgroup_size: 256
    .name:           _ZL33csrmvn_symm_large_adaptive_kernelIliDF16_DF16_ffEvbT_PKS0_N9rocsparse24const_host_device_scalarIT4_EES2_PKT0_PKT1_PKT2_S6_PT3_21rocsparse_index_base_b
    .private_segment_fixed_size: 0
    .sgpr_count:     44
    .sgpr_spill_count: 0
    .symbol:         _ZL33csrmvn_symm_large_adaptive_kernelIliDF16_DF16_ffEvbT_PKS0_N9rocsparse24const_host_device_scalarIT4_EES2_PKT0_PKT1_PKT2_S6_PT3_21rocsparse_index_base_b.kd
    .uniform_work_group_size: 1
    .uses_dynamic_stack: false
    .vgpr_count:     17
    .vgpr_spill_count: 0
    .wavefront_size: 64
  - .args:
      - .offset:         0
        .size:           1
        .value_kind:     by_value
      - .offset:         8
        .size:           8
        .value_kind:     by_value
      - .actual_access:  read_only
        .address_space:  global
        .offset:         16
        .size:           8
        .value_kind:     global_buffer
      - .address_space:  global
        .offset:         24
        .size:           8
        .value_kind:     global_buffer
      - .actual_access:  read_only
        .address_space:  global
        .offset:         32
        .size:           8
        .value_kind:     global_buffer
      - .offset:         40
        .size:           8
        .value_kind:     by_value
      - .actual_access:  read_only
        .address_space:  global
        .offset:         48
        .size:           8
        .value_kind:     global_buffer
      - .actual_access:  read_only
        .address_space:  global
        .offset:         56
        .size:           8
        .value_kind:     global_buffer
      - .actual_access:  read_only
        .address_space:  global
        .offset:         64
        .size:           8
        .value_kind:     global_buffer
      - .actual_access:  read_only
        .address_space:  global
        .offset:         72
        .size:           8
        .value_kind:     global_buffer
      - .offset:         80
        .size:           8
        .value_kind:     by_value
      - .address_space:  global
        .offset:         88
        .size:           8
        .value_kind:     global_buffer
      - .offset:         96
        .size:           4
        .value_kind:     by_value
      - .offset:         100
        .size:           1
        .value_kind:     by_value
    .group_segment_fixed_size: 4096
    .kernarg_segment_align: 8
    .kernarg_segment_size: 104
    .language:       OpenCL C
    .language_version:
      - 2
      - 0
    .max_flat_workgroup_size: 256
    .name:           _ZN9rocsparseL22csrmvn_adaptive_kernelIllDF16_DF16_ffEEvbT_PKS1_PjPKT0_NS_24const_host_device_scalarIT4_EES3_S7_PKT1_PKT2_SA_PT3_21rocsparse_index_base_b
    .private_segment_fixed_size: 0
    .sgpr_count:     64
    .sgpr_spill_count: 0
    .symbol:         _ZN9rocsparseL22csrmvn_adaptive_kernelIllDF16_DF16_ffEEvbT_PKS1_PjPKT0_NS_24const_host_device_scalarIT4_EES3_S7_PKT1_PKT2_SA_PT3_21rocsparse_index_base_b.kd
    .uniform_work_group_size: 1
    .uses_dynamic_stack: false
    .vgpr_count:     22
    .vgpr_spill_count: 0
    .wavefront_size: 64
  - .args:
      - .offset:         0
        .size:           1
        .value_kind:     by_value
      - .offset:         8
        .size:           8
        .value_kind:     by_value
      - .offset:         16
        .size:           8
        .value_kind:     by_value
      - .actual_access:  read_only
        .address_space:  global
        .offset:         24
        .size:           8
        .value_kind:     global_buffer
      - .offset:         32
        .size:           8
        .value_kind:     by_value
      - .actual_access:  read_only
        .address_space:  global
        .offset:         40
        .size:           8
        .value_kind:     global_buffer
      - .actual_access:  read_only
        .address_space:  global
        .offset:         48
        .size:           8
        .value_kind:     global_buffer
      - .actual_access:  read_only
        .address_space:  global
        .offset:         56
        .size:           8
        .value_kind:     global_buffer
      - .actual_access:  read_only
        .address_space:  global
        .offset:         64
        .size:           8
        .value_kind:     global_buffer
      - .offset:         72
        .size:           8
        .value_kind:     by_value
      - .address_space:  global
        .offset:         80
        .size:           8
        .value_kind:     global_buffer
      - .offset:         88
        .size:           4
        .value_kind:     by_value
      - .offset:         92
        .size:           1
        .value_kind:     by_value
      - .offset:         96
        .size:           4
        .value_kind:     hidden_block_count_x
      - .offset:         100
        .size:           4
        .value_kind:     hidden_block_count_y
      - .offset:         104
        .size:           4
        .value_kind:     hidden_block_count_z
      - .offset:         108
        .size:           2
        .value_kind:     hidden_group_size_x
      - .offset:         110
        .size:           2
        .value_kind:     hidden_group_size_y
      - .offset:         112
        .size:           2
        .value_kind:     hidden_group_size_z
      - .offset:         114
        .size:           2
        .value_kind:     hidden_remainder_x
      - .offset:         116
        .size:           2
        .value_kind:     hidden_remainder_y
      - .offset:         118
        .size:           2
        .value_kind:     hidden_remainder_z
      - .offset:         136
        .size:           8
        .value_kind:     hidden_global_offset_x
      - .offset:         144
        .size:           8
        .value_kind:     hidden_global_offset_y
      - .offset:         152
        .size:           8
        .value_kind:     hidden_global_offset_z
      - .offset:         160
        .size:           2
        .value_kind:     hidden_grid_dims
      - .offset:         216
        .size:           4
        .value_kind:     hidden_dynamic_lds_size
    .group_segment_fixed_size: 4096
    .kernarg_segment_align: 8
    .kernarg_segment_size: 352
    .language:       OpenCL C
    .language_version:
      - 2
      - 0
    .max_flat_workgroup_size: 256
    .name:           _ZN9rocsparseL27csrmvn_symm_adaptive_kernelIllDF16_DF16_ffEEvbT_S1_PKS1_NS_24const_host_device_scalarIT4_EES3_PKT0_PKT1_PKT2_S6_PT3_21rocsparse_index_base_b
    .private_segment_fixed_size: 0
    .sgpr_count:     56
    .sgpr_spill_count: 0
    .symbol:         _ZN9rocsparseL27csrmvn_symm_adaptive_kernelIllDF16_DF16_ffEEvbT_S1_PKS1_NS_24const_host_device_scalarIT4_EES3_PKT0_PKT1_PKT2_S6_PT3_21rocsparse_index_base_b.kd
    .uniform_work_group_size: 1
    .uses_dynamic_stack: false
    .vgpr_count:     22
    .vgpr_spill_count: 0
    .wavefront_size: 64
  - .args:
      - .offset:         0
        .size:           1
        .value_kind:     by_value
      - .offset:         8
        .size:           8
        .value_kind:     by_value
      - .actual_access:  read_only
        .address_space:  global
        .offset:         16
        .size:           8
        .value_kind:     global_buffer
      - .offset:         24
        .size:           8
        .value_kind:     by_value
      - .actual_access:  read_only
        .address_space:  global
        .offset:         32
        .size:           8
        .value_kind:     global_buffer
      - .actual_access:  read_only
        .address_space:  global
        .offset:         40
        .size:           8
        .value_kind:     global_buffer
      - .actual_access:  read_only
        .address_space:  global
        .offset:         48
        .size:           8
        .value_kind:     global_buffer
      - .actual_access:  read_only
        .address_space:  global
        .offset:         56
        .size:           8
        .value_kind:     global_buffer
      - .offset:         64
        .size:           8
        .value_kind:     by_value
      - .address_space:  global
        .offset:         72
        .size:           8
        .value_kind:     global_buffer
      - .offset:         80
        .size:           4
        .value_kind:     by_value
      - .offset:         84
        .size:           1
        .value_kind:     by_value
    .group_segment_fixed_size: 4096
    .kernarg_segment_align: 8
    .kernarg_segment_size: 88
    .language:       OpenCL C
    .language_version:
      - 2
      - 0
    .max_flat_workgroup_size: 256
    .name:           _ZL33csrmvn_symm_large_adaptive_kernelIllDF16_DF16_ffEvbT_PKS0_N9rocsparse24const_host_device_scalarIT4_EES2_PKT0_PKT1_PKT2_S6_PT3_21rocsparse_index_base_b
    .private_segment_fixed_size: 0
    .sgpr_count:     44
    .sgpr_spill_count: 0
    .symbol:         _ZL33csrmvn_symm_large_adaptive_kernelIllDF16_DF16_ffEvbT_PKS0_N9rocsparse24const_host_device_scalarIT4_EES2_PKT0_PKT1_PKT2_S6_PT3_21rocsparse_index_base_b.kd
    .uniform_work_group_size: 1
    .uses_dynamic_stack: false
    .vgpr_count:     17
    .vgpr_spill_count: 0
    .wavefront_size: 64
  - .args:
      - .offset:         0
        .size:           1
        .value_kind:     by_value
      - .offset:         4
        .size:           4
        .value_kind:     by_value
      - .actual_access:  read_only
        .address_space:  global
        .offset:         8
        .size:           8
        .value_kind:     global_buffer
      - .address_space:  global
        .offset:         16
        .size:           8
        .value_kind:     global_buffer
      - .actual_access:  read_only
        .address_space:  global
        .offset:         24
        .size:           8
        .value_kind:     global_buffer
      - .offset:         32
        .size:           8
        .value_kind:     by_value
      - .actual_access:  read_only
        .address_space:  global
        .offset:         40
        .size:           8
        .value_kind:     global_buffer
      - .actual_access:  read_only
        .address_space:  global
        .offset:         48
        .size:           8
        .value_kind:     global_buffer
      - .actual_access:  read_only
        .address_space:  global
        .offset:         56
        .size:           8
        .value_kind:     global_buffer
      - .actual_access:  read_only
        .address_space:  global
        .offset:         64
        .size:           8
        .value_kind:     global_buffer
      - .offset:         72
        .size:           8
        .value_kind:     by_value
      - .address_space:  global
        .offset:         80
        .size:           8
        .value_kind:     global_buffer
      - .offset:         88
        .size:           4
        .value_kind:     by_value
      - .offset:         92
        .size:           1
        .value_kind:     by_value
    .group_segment_fixed_size: 4096
    .kernarg_segment_align: 8
    .kernarg_segment_size: 96
    .language:       OpenCL C
    .language_version:
      - 2
      - 0
    .max_flat_workgroup_size: 256
    .name:           _ZN9rocsparseL22csrmvn_adaptive_kernelIii18rocsparse_bfloat16S1_ffEEvbT_PKS2_PjPKT0_NS_24const_host_device_scalarIT4_EES4_S8_PKT1_PKT2_SB_PT3_21rocsparse_index_base_b
    .private_segment_fixed_size: 0
    .sgpr_count:     62
    .sgpr_spill_count: 0
    .symbol:         _ZN9rocsparseL22csrmvn_adaptive_kernelIii18rocsparse_bfloat16S1_ffEEvbT_PKS2_PjPKT0_NS_24const_host_device_scalarIT4_EES4_S8_PKT1_PKT2_SB_PT3_21rocsparse_index_base_b.kd
    .uniform_work_group_size: 1
    .uses_dynamic_stack: false
    .vgpr_count:     19
    .vgpr_spill_count: 0
    .wavefront_size: 64
  - .args:
      - .offset:         0
        .size:           1
        .value_kind:     by_value
      - .offset:         4
        .size:           4
        .value_kind:     by_value
      - .offset:         8
        .size:           4
        .value_kind:     by_value
      - .actual_access:  read_only
        .address_space:  global
        .offset:         16
        .size:           8
        .value_kind:     global_buffer
      - .offset:         24
        .size:           8
        .value_kind:     by_value
      - .actual_access:  read_only
        .address_space:  global
        .offset:         32
        .size:           8
        .value_kind:     global_buffer
      - .actual_access:  read_only
        .address_space:  global
        .offset:         40
        .size:           8
        .value_kind:     global_buffer
      - .actual_access:  read_only
        .address_space:  global
        .offset:         48
        .size:           8
        .value_kind:     global_buffer
      - .actual_access:  read_only
        .address_space:  global
        .offset:         56
        .size:           8
        .value_kind:     global_buffer
      - .offset:         64
        .size:           8
        .value_kind:     by_value
      - .address_space:  global
        .offset:         72
        .size:           8
        .value_kind:     global_buffer
      - .offset:         80
        .size:           4
        .value_kind:     by_value
      - .offset:         84
        .size:           1
        .value_kind:     by_value
      - .offset:         88
        .size:           4
        .value_kind:     hidden_block_count_x
      - .offset:         92
        .size:           4
        .value_kind:     hidden_block_count_y
      - .offset:         96
        .size:           4
        .value_kind:     hidden_block_count_z
      - .offset:         100
        .size:           2
        .value_kind:     hidden_group_size_x
      - .offset:         102
        .size:           2
        .value_kind:     hidden_group_size_y
      - .offset:         104
        .size:           2
        .value_kind:     hidden_group_size_z
      - .offset:         106
        .size:           2
        .value_kind:     hidden_remainder_x
      - .offset:         108
        .size:           2
        .value_kind:     hidden_remainder_y
      - .offset:         110
        .size:           2
        .value_kind:     hidden_remainder_z
      - .offset:         128
        .size:           8
        .value_kind:     hidden_global_offset_x
      - .offset:         136
        .size:           8
        .value_kind:     hidden_global_offset_y
      - .offset:         144
        .size:           8
        .value_kind:     hidden_global_offset_z
      - .offset:         152
        .size:           2
        .value_kind:     hidden_grid_dims
      - .offset:         208
        .size:           4
        .value_kind:     hidden_dynamic_lds_size
    .group_segment_fixed_size: 4096
    .kernarg_segment_align: 8
    .kernarg_segment_size: 344
    .language:       OpenCL C
    .language_version:
      - 2
      - 0
    .max_flat_workgroup_size: 256
    .name:           _ZN9rocsparseL27csrmvn_symm_adaptive_kernelIii18rocsparse_bfloat16S1_ffEEvbT_S2_PKS2_NS_24const_host_device_scalarIT4_EES4_PKT0_PKT1_PKT2_S7_PT3_21rocsparse_index_base_b
    .private_segment_fixed_size: 0
    .sgpr_count:     42
    .sgpr_spill_count: 0
    .symbol:         _ZN9rocsparseL27csrmvn_symm_adaptive_kernelIii18rocsparse_bfloat16S1_ffEEvbT_S2_PKS2_NS_24const_host_device_scalarIT4_EES4_PKT0_PKT1_PKT2_S7_PT3_21rocsparse_index_base_b.kd
    .uniform_work_group_size: 1
    .uses_dynamic_stack: false
    .vgpr_count:     14
    .vgpr_spill_count: 0
    .wavefront_size: 64
  - .args:
      - .offset:         0
        .size:           1
        .value_kind:     by_value
      - .offset:         4
        .size:           4
        .value_kind:     by_value
      - .actual_access:  read_only
        .address_space:  global
        .offset:         8
        .size:           8
        .value_kind:     global_buffer
      - .offset:         16
        .size:           8
        .value_kind:     by_value
      - .actual_access:  read_only
        .address_space:  global
        .offset:         24
        .size:           8
        .value_kind:     global_buffer
      - .actual_access:  read_only
        .address_space:  global
        .offset:         32
        .size:           8
        .value_kind:     global_buffer
      - .actual_access:  read_only
        .address_space:  global
        .offset:         40
        .size:           8
        .value_kind:     global_buffer
      - .actual_access:  read_only
        .address_space:  global
        .offset:         48
        .size:           8
        .value_kind:     global_buffer
      - .offset:         56
        .size:           8
        .value_kind:     by_value
      - .address_space:  global
        .offset:         64
        .size:           8
        .value_kind:     global_buffer
      - .offset:         72
        .size:           4
        .value_kind:     by_value
      - .offset:         76
        .size:           1
        .value_kind:     by_value
    .group_segment_fixed_size: 4096
    .kernarg_segment_align: 8
    .kernarg_segment_size: 80
    .language:       OpenCL C
    .language_version:
      - 2
      - 0
    .max_flat_workgroup_size: 256
    .name:           _ZL33csrmvn_symm_large_adaptive_kernelIii18rocsparse_bfloat16S0_ffEvbT_PKS1_N9rocsparse24const_host_device_scalarIT4_EES3_PKT0_PKT1_PKT2_S7_PT3_21rocsparse_index_base_b
    .private_segment_fixed_size: 0
    .sgpr_count:     40
    .sgpr_spill_count: 0
    .symbol:         _ZL33csrmvn_symm_large_adaptive_kernelIii18rocsparse_bfloat16S0_ffEvbT_PKS1_N9rocsparse24const_host_device_scalarIT4_EES3_PKT0_PKT1_PKT2_S7_PT3_21rocsparse_index_base_b.kd
    .uniform_work_group_size: 1
    .uses_dynamic_stack: false
    .vgpr_count:     13
    .vgpr_spill_count: 0
    .wavefront_size: 64
  - .args:
      - .offset:         0
        .size:           1
        .value_kind:     by_value
      - .offset:         8
        .size:           8
        .value_kind:     by_value
      - .actual_access:  read_only
        .address_space:  global
        .offset:         16
        .size:           8
        .value_kind:     global_buffer
      - .address_space:  global
        .offset:         24
        .size:           8
        .value_kind:     global_buffer
      - .actual_access:  read_only
        .address_space:  global
        .offset:         32
        .size:           8
        .value_kind:     global_buffer
      - .offset:         40
        .size:           8
        .value_kind:     by_value
      - .actual_access:  read_only
        .address_space:  global
        .offset:         48
        .size:           8
        .value_kind:     global_buffer
      - .actual_access:  read_only
        .address_space:  global
        .offset:         56
        .size:           8
        .value_kind:     global_buffer
      - .actual_access:  read_only
        .address_space:  global
        .offset:         64
        .size:           8
        .value_kind:     global_buffer
      - .actual_access:  read_only
        .address_space:  global
        .offset:         72
        .size:           8
        .value_kind:     global_buffer
      - .offset:         80
        .size:           8
        .value_kind:     by_value
      - .address_space:  global
        .offset:         88
        .size:           8
        .value_kind:     global_buffer
      - .offset:         96
        .size:           4
        .value_kind:     by_value
      - .offset:         100
        .size:           1
        .value_kind:     by_value
    .group_segment_fixed_size: 4096
    .kernarg_segment_align: 8
    .kernarg_segment_size: 104
    .language:       OpenCL C
    .language_version:
      - 2
      - 0
    .max_flat_workgroup_size: 256
    .name:           _ZN9rocsparseL22csrmvn_adaptive_kernelIli18rocsparse_bfloat16S1_ffEEvbT_PKS2_PjPKT0_NS_24const_host_device_scalarIT4_EES4_S8_PKT1_PKT2_SB_PT3_21rocsparse_index_base_b
    .private_segment_fixed_size: 0
    .sgpr_count:     64
    .sgpr_spill_count: 0
    .symbol:         _ZN9rocsparseL22csrmvn_adaptive_kernelIli18rocsparse_bfloat16S1_ffEEvbT_PKS2_PjPKT0_NS_24const_host_device_scalarIT4_EES4_S8_PKT1_PKT2_SB_PT3_21rocsparse_index_base_b.kd
    .uniform_work_group_size: 1
    .uses_dynamic_stack: false
    .vgpr_count:     18
    .vgpr_spill_count: 0
    .wavefront_size: 64
  - .args:
      - .offset:         0
        .size:           1
        .value_kind:     by_value
      - .offset:         8
        .size:           8
        .value_kind:     by_value
      - .offset:         16
        .size:           8
        .value_kind:     by_value
      - .actual_access:  read_only
        .address_space:  global
        .offset:         24
        .size:           8
        .value_kind:     global_buffer
      - .offset:         32
        .size:           8
        .value_kind:     by_value
      - .actual_access:  read_only
        .address_space:  global
        .offset:         40
        .size:           8
        .value_kind:     global_buffer
      - .actual_access:  read_only
        .address_space:  global
        .offset:         48
        .size:           8
        .value_kind:     global_buffer
      - .actual_access:  read_only
        .address_space:  global
        .offset:         56
        .size:           8
        .value_kind:     global_buffer
      - .actual_access:  read_only
        .address_space:  global
        .offset:         64
        .size:           8
        .value_kind:     global_buffer
      - .offset:         72
        .size:           8
        .value_kind:     by_value
      - .address_space:  global
        .offset:         80
        .size:           8
        .value_kind:     global_buffer
      - .offset:         88
        .size:           4
        .value_kind:     by_value
      - .offset:         92
        .size:           1
        .value_kind:     by_value
      - .offset:         96
        .size:           4
        .value_kind:     hidden_block_count_x
      - .offset:         100
        .size:           4
        .value_kind:     hidden_block_count_y
      - .offset:         104
        .size:           4
        .value_kind:     hidden_block_count_z
      - .offset:         108
        .size:           2
        .value_kind:     hidden_group_size_x
      - .offset:         110
        .size:           2
        .value_kind:     hidden_group_size_y
      - .offset:         112
        .size:           2
        .value_kind:     hidden_group_size_z
      - .offset:         114
        .size:           2
        .value_kind:     hidden_remainder_x
      - .offset:         116
        .size:           2
        .value_kind:     hidden_remainder_y
      - .offset:         118
        .size:           2
        .value_kind:     hidden_remainder_z
      - .offset:         136
        .size:           8
        .value_kind:     hidden_global_offset_x
      - .offset:         144
        .size:           8
        .value_kind:     hidden_global_offset_y
      - .offset:         152
        .size:           8
        .value_kind:     hidden_global_offset_z
      - .offset:         160
        .size:           2
        .value_kind:     hidden_grid_dims
      - .offset:         216
        .size:           4
        .value_kind:     hidden_dynamic_lds_size
    .group_segment_fixed_size: 4096
    .kernarg_segment_align: 8
    .kernarg_segment_size: 352
    .language:       OpenCL C
    .language_version:
      - 2
      - 0
    .max_flat_workgroup_size: 256
    .name:           _ZN9rocsparseL27csrmvn_symm_adaptive_kernelIli18rocsparse_bfloat16S1_ffEEvbT_S2_PKS2_NS_24const_host_device_scalarIT4_EES4_PKT0_PKT1_PKT2_S7_PT3_21rocsparse_index_base_b
    .private_segment_fixed_size: 0
    .sgpr_count:     56
    .sgpr_spill_count: 0
    .symbol:         _ZN9rocsparseL27csrmvn_symm_adaptive_kernelIli18rocsparse_bfloat16S1_ffEEvbT_S2_PKS2_NS_24const_host_device_scalarIT4_EES4_PKT0_PKT1_PKT2_S7_PT3_21rocsparse_index_base_b.kd
    .uniform_work_group_size: 1
    .uses_dynamic_stack: false
    .vgpr_count:     22
    .vgpr_spill_count: 0
    .wavefront_size: 64
  - .args:
      - .offset:         0
        .size:           1
        .value_kind:     by_value
      - .offset:         8
        .size:           8
        .value_kind:     by_value
      - .actual_access:  read_only
        .address_space:  global
        .offset:         16
        .size:           8
        .value_kind:     global_buffer
      - .offset:         24
        .size:           8
        .value_kind:     by_value
      - .actual_access:  read_only
        .address_space:  global
        .offset:         32
        .size:           8
        .value_kind:     global_buffer
      - .actual_access:  read_only
        .address_space:  global
        .offset:         40
        .size:           8
        .value_kind:     global_buffer
      - .actual_access:  read_only
        .address_space:  global
        .offset:         48
        .size:           8
        .value_kind:     global_buffer
      - .actual_access:  read_only
        .address_space:  global
        .offset:         56
        .size:           8
        .value_kind:     global_buffer
      - .offset:         64
        .size:           8
        .value_kind:     by_value
      - .address_space:  global
        .offset:         72
        .size:           8
        .value_kind:     global_buffer
      - .offset:         80
        .size:           4
        .value_kind:     by_value
      - .offset:         84
        .size:           1
        .value_kind:     by_value
    .group_segment_fixed_size: 4096
    .kernarg_segment_align: 8
    .kernarg_segment_size: 88
    .language:       OpenCL C
    .language_version:
      - 2
      - 0
    .max_flat_workgroup_size: 256
    .name:           _ZL33csrmvn_symm_large_adaptive_kernelIli18rocsparse_bfloat16S0_ffEvbT_PKS1_N9rocsparse24const_host_device_scalarIT4_EES3_PKT0_PKT1_PKT2_S7_PT3_21rocsparse_index_base_b
    .private_segment_fixed_size: 0
    .sgpr_count:     44
    .sgpr_spill_count: 0
    .symbol:         _ZL33csrmvn_symm_large_adaptive_kernelIli18rocsparse_bfloat16S0_ffEvbT_PKS1_N9rocsparse24const_host_device_scalarIT4_EES3_PKT0_PKT1_PKT2_S7_PT3_21rocsparse_index_base_b.kd
    .uniform_work_group_size: 1
    .uses_dynamic_stack: false
    .vgpr_count:     17
    .vgpr_spill_count: 0
    .wavefront_size: 64
  - .args:
      - .offset:         0
        .size:           1
        .value_kind:     by_value
      - .offset:         8
        .size:           8
        .value_kind:     by_value
      - .actual_access:  read_only
        .address_space:  global
        .offset:         16
        .size:           8
        .value_kind:     global_buffer
      - .address_space:  global
        .offset:         24
        .size:           8
        .value_kind:     global_buffer
      - .actual_access:  read_only
        .address_space:  global
        .offset:         32
        .size:           8
        .value_kind:     global_buffer
      - .offset:         40
        .size:           8
        .value_kind:     by_value
      - .actual_access:  read_only
        .address_space:  global
        .offset:         48
        .size:           8
        .value_kind:     global_buffer
      - .actual_access:  read_only
        .address_space:  global
        .offset:         56
        .size:           8
        .value_kind:     global_buffer
      - .actual_access:  read_only
        .address_space:  global
        .offset:         64
        .size:           8
        .value_kind:     global_buffer
      - .actual_access:  read_only
        .address_space:  global
        .offset:         72
        .size:           8
        .value_kind:     global_buffer
      - .offset:         80
        .size:           8
        .value_kind:     by_value
      - .address_space:  global
        .offset:         88
        .size:           8
        .value_kind:     global_buffer
      - .offset:         96
        .size:           4
        .value_kind:     by_value
      - .offset:         100
        .size:           1
        .value_kind:     by_value
    .group_segment_fixed_size: 4096
    .kernarg_segment_align: 8
    .kernarg_segment_size: 104
    .language:       OpenCL C
    .language_version:
      - 2
      - 0
    .max_flat_workgroup_size: 256
    .name:           _ZN9rocsparseL22csrmvn_adaptive_kernelIll18rocsparse_bfloat16S1_ffEEvbT_PKS2_PjPKT0_NS_24const_host_device_scalarIT4_EES4_S8_PKT1_PKT2_SB_PT3_21rocsparse_index_base_b
    .private_segment_fixed_size: 0
    .sgpr_count:     64
    .sgpr_spill_count: 0
    .symbol:         _ZN9rocsparseL22csrmvn_adaptive_kernelIll18rocsparse_bfloat16S1_ffEEvbT_PKS2_PjPKT0_NS_24const_host_device_scalarIT4_EES4_S8_PKT1_PKT2_SB_PT3_21rocsparse_index_base_b.kd
    .uniform_work_group_size: 1
    .uses_dynamic_stack: false
    .vgpr_count:     22
    .vgpr_spill_count: 0
    .wavefront_size: 64
  - .args:
      - .offset:         0
        .size:           1
        .value_kind:     by_value
      - .offset:         8
        .size:           8
        .value_kind:     by_value
      - .offset:         16
        .size:           8
        .value_kind:     by_value
      - .actual_access:  read_only
        .address_space:  global
        .offset:         24
        .size:           8
        .value_kind:     global_buffer
      - .offset:         32
        .size:           8
        .value_kind:     by_value
      - .actual_access:  read_only
        .address_space:  global
        .offset:         40
        .size:           8
        .value_kind:     global_buffer
      - .actual_access:  read_only
        .address_space:  global
        .offset:         48
        .size:           8
        .value_kind:     global_buffer
      - .actual_access:  read_only
        .address_space:  global
        .offset:         56
        .size:           8
        .value_kind:     global_buffer
      - .actual_access:  read_only
        .address_space:  global
        .offset:         64
        .size:           8
        .value_kind:     global_buffer
      - .offset:         72
        .size:           8
        .value_kind:     by_value
      - .address_space:  global
        .offset:         80
        .size:           8
        .value_kind:     global_buffer
      - .offset:         88
        .size:           4
        .value_kind:     by_value
      - .offset:         92
        .size:           1
        .value_kind:     by_value
      - .offset:         96
        .size:           4
        .value_kind:     hidden_block_count_x
      - .offset:         100
        .size:           4
        .value_kind:     hidden_block_count_y
      - .offset:         104
        .size:           4
        .value_kind:     hidden_block_count_z
      - .offset:         108
        .size:           2
        .value_kind:     hidden_group_size_x
      - .offset:         110
        .size:           2
        .value_kind:     hidden_group_size_y
      - .offset:         112
        .size:           2
        .value_kind:     hidden_group_size_z
      - .offset:         114
        .size:           2
        .value_kind:     hidden_remainder_x
      - .offset:         116
        .size:           2
        .value_kind:     hidden_remainder_y
      - .offset:         118
        .size:           2
        .value_kind:     hidden_remainder_z
      - .offset:         136
        .size:           8
        .value_kind:     hidden_global_offset_x
      - .offset:         144
        .size:           8
        .value_kind:     hidden_global_offset_y
      - .offset:         152
        .size:           8
        .value_kind:     hidden_global_offset_z
      - .offset:         160
        .size:           2
        .value_kind:     hidden_grid_dims
      - .offset:         216
        .size:           4
        .value_kind:     hidden_dynamic_lds_size
    .group_segment_fixed_size: 4096
    .kernarg_segment_align: 8
    .kernarg_segment_size: 352
    .language:       OpenCL C
    .language_version:
      - 2
      - 0
    .max_flat_workgroup_size: 256
    .name:           _ZN9rocsparseL27csrmvn_symm_adaptive_kernelIll18rocsparse_bfloat16S1_ffEEvbT_S2_PKS2_NS_24const_host_device_scalarIT4_EES4_PKT0_PKT1_PKT2_S7_PT3_21rocsparse_index_base_b
    .private_segment_fixed_size: 0
    .sgpr_count:     56
    .sgpr_spill_count: 0
    .symbol:         _ZN9rocsparseL27csrmvn_symm_adaptive_kernelIll18rocsparse_bfloat16S1_ffEEvbT_S2_PKS2_NS_24const_host_device_scalarIT4_EES4_PKT0_PKT1_PKT2_S7_PT3_21rocsparse_index_base_b.kd
    .uniform_work_group_size: 1
    .uses_dynamic_stack: false
    .vgpr_count:     22
    .vgpr_spill_count: 0
    .wavefront_size: 64
  - .args:
      - .offset:         0
        .size:           1
        .value_kind:     by_value
      - .offset:         8
        .size:           8
        .value_kind:     by_value
      - .actual_access:  read_only
        .address_space:  global
        .offset:         16
        .size:           8
        .value_kind:     global_buffer
      - .offset:         24
        .size:           8
        .value_kind:     by_value
      - .actual_access:  read_only
        .address_space:  global
        .offset:         32
        .size:           8
        .value_kind:     global_buffer
      - .actual_access:  read_only
        .address_space:  global
        .offset:         40
        .size:           8
        .value_kind:     global_buffer
      - .actual_access:  read_only
        .address_space:  global
        .offset:         48
        .size:           8
        .value_kind:     global_buffer
      - .actual_access:  read_only
        .address_space:  global
        .offset:         56
        .size:           8
        .value_kind:     global_buffer
      - .offset:         64
        .size:           8
        .value_kind:     by_value
      - .address_space:  global
        .offset:         72
        .size:           8
        .value_kind:     global_buffer
      - .offset:         80
        .size:           4
        .value_kind:     by_value
      - .offset:         84
        .size:           1
        .value_kind:     by_value
    .group_segment_fixed_size: 4096
    .kernarg_segment_align: 8
    .kernarg_segment_size: 88
    .language:       OpenCL C
    .language_version:
      - 2
      - 0
    .max_flat_workgroup_size: 256
    .name:           _ZL33csrmvn_symm_large_adaptive_kernelIll18rocsparse_bfloat16S0_ffEvbT_PKS1_N9rocsparse24const_host_device_scalarIT4_EES3_PKT0_PKT1_PKT2_S7_PT3_21rocsparse_index_base_b
    .private_segment_fixed_size: 0
    .sgpr_count:     44
    .sgpr_spill_count: 0
    .symbol:         _ZL33csrmvn_symm_large_adaptive_kernelIll18rocsparse_bfloat16S0_ffEvbT_PKS1_N9rocsparse24const_host_device_scalarIT4_EES3_PKT0_PKT1_PKT2_S7_PT3_21rocsparse_index_base_b.kd
    .uniform_work_group_size: 1
    .uses_dynamic_stack: false
    .vgpr_count:     17
    .vgpr_spill_count: 0
    .wavefront_size: 64
  - .args:
      - .offset:         0
        .size:           1
        .value_kind:     by_value
      - .offset:         4
        .size:           4
        .value_kind:     by_value
      - .actual_access:  read_only
        .address_space:  global
        .offset:         8
        .size:           8
        .value_kind:     global_buffer
      - .address_space:  global
        .offset:         16
        .size:           8
        .value_kind:     global_buffer
      - .actual_access:  read_only
        .address_space:  global
        .offset:         24
        .size:           8
        .value_kind:     global_buffer
      - .offset:         32
        .size:           8
        .value_kind:     by_value
      - .actual_access:  read_only
        .address_space:  global
        .offset:         40
        .size:           8
        .value_kind:     global_buffer
      - .actual_access:  read_only
        .address_space:  global
        .offset:         48
        .size:           8
        .value_kind:     global_buffer
      - .actual_access:  read_only
        .address_space:  global
        .offset:         56
        .size:           8
        .value_kind:     global_buffer
      - .actual_access:  read_only
        .address_space:  global
        .offset:         64
        .size:           8
        .value_kind:     global_buffer
      - .offset:         72
        .size:           8
        .value_kind:     by_value
      - .address_space:  global
        .offset:         80
        .size:           8
        .value_kind:     global_buffer
      - .offset:         88
        .size:           4
        .value_kind:     by_value
      - .offset:         92
        .size:           1
        .value_kind:     by_value
    .group_segment_fixed_size: 8192
    .kernarg_segment_align: 8
    .kernarg_segment_size: 96
    .language:       OpenCL C
    .language_version:
      - 2
      - 0
    .max_flat_workgroup_size: 256
    .name:           _ZN9rocsparseL22csrmvn_adaptive_kernelIiif21rocsparse_complex_numIfES2_S2_EEvbT_PKS3_PjPKT0_NS_24const_host_device_scalarIT4_EES5_S9_PKT1_PKT2_SC_PT3_21rocsparse_index_base_b
    .private_segment_fixed_size: 0
    .sgpr_count:     56
    .sgpr_spill_count: 0
    .symbol:         _ZN9rocsparseL22csrmvn_adaptive_kernelIiif21rocsparse_complex_numIfES2_S2_EEvbT_PKS3_PjPKT0_NS_24const_host_device_scalarIT4_EES5_S9_PKT1_PKT2_SC_PT3_21rocsparse_index_base_b.kd
    .uniform_work_group_size: 1
    .uses_dynamic_stack: false
    .vgpr_count:     29
    .vgpr_spill_count: 0
    .wavefront_size: 64
  - .args:
      - .offset:         0
        .size:           1
        .value_kind:     by_value
      - .offset:         4
        .size:           4
        .value_kind:     by_value
      - .offset:         8
        .size:           4
        .value_kind:     by_value
      - .actual_access:  read_only
        .address_space:  global
        .offset:         16
        .size:           8
        .value_kind:     global_buffer
      - .offset:         24
        .size:           8
        .value_kind:     by_value
      - .actual_access:  read_only
        .address_space:  global
        .offset:         32
        .size:           8
        .value_kind:     global_buffer
      - .actual_access:  read_only
        .address_space:  global
        .offset:         40
        .size:           8
        .value_kind:     global_buffer
      - .actual_access:  read_only
        .address_space:  global
        .offset:         48
        .size:           8
        .value_kind:     global_buffer
      - .actual_access:  read_only
        .address_space:  global
        .offset:         56
        .size:           8
        .value_kind:     global_buffer
      - .offset:         64
        .size:           8
        .value_kind:     by_value
      - .address_space:  global
        .offset:         72
        .size:           8
        .value_kind:     global_buffer
      - .offset:         80
        .size:           4
        .value_kind:     by_value
      - .offset:         84
        .size:           1
        .value_kind:     by_value
      - .offset:         88
        .size:           4
        .value_kind:     hidden_block_count_x
      - .offset:         92
        .size:           4
        .value_kind:     hidden_block_count_y
      - .offset:         96
        .size:           4
        .value_kind:     hidden_block_count_z
      - .offset:         100
        .size:           2
        .value_kind:     hidden_group_size_x
      - .offset:         102
        .size:           2
        .value_kind:     hidden_group_size_y
      - .offset:         104
        .size:           2
        .value_kind:     hidden_group_size_z
      - .offset:         106
        .size:           2
        .value_kind:     hidden_remainder_x
      - .offset:         108
        .size:           2
        .value_kind:     hidden_remainder_y
      - .offset:         110
        .size:           2
        .value_kind:     hidden_remainder_z
      - .offset:         128
        .size:           8
        .value_kind:     hidden_global_offset_x
      - .offset:         136
        .size:           8
        .value_kind:     hidden_global_offset_y
      - .offset:         144
        .size:           8
        .value_kind:     hidden_global_offset_z
      - .offset:         152
        .size:           2
        .value_kind:     hidden_grid_dims
      - .offset:         208
        .size:           4
        .value_kind:     hidden_dynamic_lds_size
    .group_segment_fixed_size: 8192
    .kernarg_segment_align: 8
    .kernarg_segment_size: 344
    .language:       OpenCL C
    .language_version:
      - 2
      - 0
    .max_flat_workgroup_size: 256
    .name:           _ZN9rocsparseL27csrmvn_symm_adaptive_kernelIiif21rocsparse_complex_numIfES2_S2_EEvbT_S3_PKS3_NS_24const_host_device_scalarIT4_EES5_PKT0_PKT1_PKT2_S8_PT3_21rocsparse_index_base_b
    .private_segment_fixed_size: 0
    .sgpr_count:     42
    .sgpr_spill_count: 0
    .symbol:         _ZN9rocsparseL27csrmvn_symm_adaptive_kernelIiif21rocsparse_complex_numIfES2_S2_EEvbT_S3_PKS3_NS_24const_host_device_scalarIT4_EES5_PKT0_PKT1_PKT2_S8_PT3_21rocsparse_index_base_b.kd
    .uniform_work_group_size: 1
    .uses_dynamic_stack: false
    .vgpr_count:     19
    .vgpr_spill_count: 0
    .wavefront_size: 64
  - .args:
      - .offset:         0
        .size:           1
        .value_kind:     by_value
      - .offset:         4
        .size:           4
        .value_kind:     by_value
      - .actual_access:  read_only
        .address_space:  global
        .offset:         8
        .size:           8
        .value_kind:     global_buffer
      - .offset:         16
        .size:           8
        .value_kind:     by_value
      - .actual_access:  read_only
        .address_space:  global
        .offset:         24
        .size:           8
        .value_kind:     global_buffer
      - .actual_access:  read_only
        .address_space:  global
        .offset:         32
        .size:           8
        .value_kind:     global_buffer
      - .actual_access:  read_only
        .address_space:  global
        .offset:         40
        .size:           8
        .value_kind:     global_buffer
      - .actual_access:  read_only
        .address_space:  global
        .offset:         48
        .size:           8
        .value_kind:     global_buffer
      - .offset:         56
        .size:           8
        .value_kind:     by_value
      - .address_space:  global
        .offset:         64
        .size:           8
        .value_kind:     global_buffer
      - .offset:         72
        .size:           4
        .value_kind:     by_value
      - .offset:         76
        .size:           1
        .value_kind:     by_value
    .group_segment_fixed_size: 8192
    .kernarg_segment_align: 8
    .kernarg_segment_size: 80
    .language:       OpenCL C
    .language_version:
      - 2
      - 0
    .max_flat_workgroup_size: 256
    .name:           _ZL33csrmvn_symm_large_adaptive_kernelIiif21rocsparse_complex_numIfES1_S1_EvbT_PKS2_N9rocsparse24const_host_device_scalarIT4_EES4_PKT0_PKT1_PKT2_S8_PT3_21rocsparse_index_base_b
    .private_segment_fixed_size: 0
    .sgpr_count:     36
    .sgpr_spill_count: 0
    .symbol:         _ZL33csrmvn_symm_large_adaptive_kernelIiif21rocsparse_complex_numIfES1_S1_EvbT_PKS2_N9rocsparse24const_host_device_scalarIT4_EES4_PKT0_PKT1_PKT2_S8_PT3_21rocsparse_index_base_b.kd
    .uniform_work_group_size: 1
    .uses_dynamic_stack: false
    .vgpr_count:     16
    .vgpr_spill_count: 0
    .wavefront_size: 64
  - .args:
      - .offset:         0
        .size:           1
        .value_kind:     by_value
      - .offset:         8
        .size:           8
        .value_kind:     by_value
      - .actual_access:  read_only
        .address_space:  global
        .offset:         16
        .size:           8
        .value_kind:     global_buffer
      - .address_space:  global
        .offset:         24
        .size:           8
        .value_kind:     global_buffer
      - .actual_access:  read_only
        .address_space:  global
        .offset:         32
        .size:           8
        .value_kind:     global_buffer
      - .offset:         40
        .size:           8
        .value_kind:     by_value
      - .actual_access:  read_only
        .address_space:  global
        .offset:         48
        .size:           8
        .value_kind:     global_buffer
      - .actual_access:  read_only
        .address_space:  global
        .offset:         56
        .size:           8
        .value_kind:     global_buffer
      - .actual_access:  read_only
        .address_space:  global
        .offset:         64
        .size:           8
        .value_kind:     global_buffer
      - .actual_access:  read_only
        .address_space:  global
        .offset:         72
        .size:           8
        .value_kind:     global_buffer
      - .offset:         80
        .size:           8
        .value_kind:     by_value
      - .address_space:  global
        .offset:         88
        .size:           8
        .value_kind:     global_buffer
      - .offset:         96
        .size:           4
        .value_kind:     by_value
      - .offset:         100
        .size:           1
        .value_kind:     by_value
    .group_segment_fixed_size: 8192
    .kernarg_segment_align: 8
    .kernarg_segment_size: 104
    .language:       OpenCL C
    .language_version:
      - 2
      - 0
    .max_flat_workgroup_size: 256
    .name:           _ZN9rocsparseL22csrmvn_adaptive_kernelIlif21rocsparse_complex_numIfES2_S2_EEvbT_PKS3_PjPKT0_NS_24const_host_device_scalarIT4_EES5_S9_PKT1_PKT2_SC_PT3_21rocsparse_index_base_b
    .private_segment_fixed_size: 0
    .sgpr_count:     64
    .sgpr_spill_count: 0
    .symbol:         _ZN9rocsparseL22csrmvn_adaptive_kernelIlif21rocsparse_complex_numIfES2_S2_EEvbT_PKS3_PjPKT0_NS_24const_host_device_scalarIT4_EES5_S9_PKT1_PKT2_SC_PT3_21rocsparse_index_base_b.kd
    .uniform_work_group_size: 1
    .uses_dynamic_stack: false
    .vgpr_count:     29
    .vgpr_spill_count: 0
    .wavefront_size: 64
  - .args:
      - .offset:         0
        .size:           1
        .value_kind:     by_value
      - .offset:         8
        .size:           8
        .value_kind:     by_value
      - .offset:         16
        .size:           8
        .value_kind:     by_value
      - .actual_access:  read_only
        .address_space:  global
        .offset:         24
        .size:           8
        .value_kind:     global_buffer
      - .offset:         32
        .size:           8
        .value_kind:     by_value
      - .actual_access:  read_only
        .address_space:  global
        .offset:         40
        .size:           8
        .value_kind:     global_buffer
      - .actual_access:  read_only
        .address_space:  global
        .offset:         48
        .size:           8
        .value_kind:     global_buffer
      - .actual_access:  read_only
        .address_space:  global
        .offset:         56
        .size:           8
        .value_kind:     global_buffer
      - .actual_access:  read_only
        .address_space:  global
        .offset:         64
        .size:           8
        .value_kind:     global_buffer
      - .offset:         72
        .size:           8
        .value_kind:     by_value
      - .address_space:  global
        .offset:         80
        .size:           8
        .value_kind:     global_buffer
      - .offset:         88
        .size:           4
        .value_kind:     by_value
      - .offset:         92
        .size:           1
        .value_kind:     by_value
      - .offset:         96
        .size:           4
        .value_kind:     hidden_block_count_x
      - .offset:         100
        .size:           4
        .value_kind:     hidden_block_count_y
      - .offset:         104
        .size:           4
        .value_kind:     hidden_block_count_z
      - .offset:         108
        .size:           2
        .value_kind:     hidden_group_size_x
      - .offset:         110
        .size:           2
        .value_kind:     hidden_group_size_y
      - .offset:         112
        .size:           2
        .value_kind:     hidden_group_size_z
      - .offset:         114
        .size:           2
        .value_kind:     hidden_remainder_x
      - .offset:         116
        .size:           2
        .value_kind:     hidden_remainder_y
      - .offset:         118
        .size:           2
        .value_kind:     hidden_remainder_z
      - .offset:         136
        .size:           8
        .value_kind:     hidden_global_offset_x
      - .offset:         144
        .size:           8
        .value_kind:     hidden_global_offset_y
      - .offset:         152
        .size:           8
        .value_kind:     hidden_global_offset_z
      - .offset:         160
        .size:           2
        .value_kind:     hidden_grid_dims
      - .offset:         216
        .size:           4
        .value_kind:     hidden_dynamic_lds_size
    .group_segment_fixed_size: 8192
    .kernarg_segment_align: 8
    .kernarg_segment_size: 352
    .language:       OpenCL C
    .language_version:
      - 2
      - 0
    .max_flat_workgroup_size: 256
    .name:           _ZN9rocsparseL27csrmvn_symm_adaptive_kernelIlif21rocsparse_complex_numIfES2_S2_EEvbT_S3_PKS3_NS_24const_host_device_scalarIT4_EES5_PKT0_PKT1_PKT2_S8_PT3_21rocsparse_index_base_b
    .private_segment_fixed_size: 0
    .sgpr_count:     56
    .sgpr_spill_count: 0
    .symbol:         _ZN9rocsparseL27csrmvn_symm_adaptive_kernelIlif21rocsparse_complex_numIfES2_S2_EEvbT_S3_PKS3_NS_24const_host_device_scalarIT4_EES5_PKT0_PKT1_PKT2_S8_PT3_21rocsparse_index_base_b.kd
    .uniform_work_group_size: 1
    .uses_dynamic_stack: false
    .vgpr_count:     23
    .vgpr_spill_count: 0
    .wavefront_size: 64
  - .args:
      - .offset:         0
        .size:           1
        .value_kind:     by_value
      - .offset:         8
        .size:           8
        .value_kind:     by_value
      - .actual_access:  read_only
        .address_space:  global
        .offset:         16
        .size:           8
        .value_kind:     global_buffer
      - .offset:         24
        .size:           8
        .value_kind:     by_value
      - .actual_access:  read_only
        .address_space:  global
        .offset:         32
        .size:           8
        .value_kind:     global_buffer
      - .actual_access:  read_only
        .address_space:  global
        .offset:         40
        .size:           8
        .value_kind:     global_buffer
      - .actual_access:  read_only
        .address_space:  global
        .offset:         48
        .size:           8
        .value_kind:     global_buffer
      - .actual_access:  read_only
        .address_space:  global
        .offset:         56
        .size:           8
        .value_kind:     global_buffer
      - .offset:         64
        .size:           8
        .value_kind:     by_value
      - .address_space:  global
        .offset:         72
        .size:           8
        .value_kind:     global_buffer
      - .offset:         80
        .size:           4
        .value_kind:     by_value
      - .offset:         84
        .size:           1
        .value_kind:     by_value
    .group_segment_fixed_size: 8192
    .kernarg_segment_align: 8
    .kernarg_segment_size: 88
    .language:       OpenCL C
    .language_version:
      - 2
      - 0
    .max_flat_workgroup_size: 256
    .name:           _ZL33csrmvn_symm_large_adaptive_kernelIlif21rocsparse_complex_numIfES1_S1_EvbT_PKS2_N9rocsparse24const_host_device_scalarIT4_EES4_PKT0_PKT1_PKT2_S8_PT3_21rocsparse_index_base_b
    .private_segment_fixed_size: 0
    .sgpr_count:     44
    .sgpr_spill_count: 0
    .symbol:         _ZL33csrmvn_symm_large_adaptive_kernelIlif21rocsparse_complex_numIfES1_S1_EvbT_PKS2_N9rocsparse24const_host_device_scalarIT4_EES4_PKT0_PKT1_PKT2_S8_PT3_21rocsparse_index_base_b.kd
    .uniform_work_group_size: 1
    .uses_dynamic_stack: false
    .vgpr_count:     21
    .vgpr_spill_count: 0
    .wavefront_size: 64
  - .args:
      - .offset:         0
        .size:           1
        .value_kind:     by_value
      - .offset:         8
        .size:           8
        .value_kind:     by_value
      - .actual_access:  read_only
        .address_space:  global
        .offset:         16
        .size:           8
        .value_kind:     global_buffer
      - .address_space:  global
        .offset:         24
        .size:           8
        .value_kind:     global_buffer
      - .actual_access:  read_only
        .address_space:  global
        .offset:         32
        .size:           8
        .value_kind:     global_buffer
      - .offset:         40
        .size:           8
        .value_kind:     by_value
      - .actual_access:  read_only
        .address_space:  global
        .offset:         48
        .size:           8
        .value_kind:     global_buffer
      - .actual_access:  read_only
        .address_space:  global
        .offset:         56
        .size:           8
        .value_kind:     global_buffer
      - .actual_access:  read_only
        .address_space:  global
        .offset:         64
        .size:           8
        .value_kind:     global_buffer
      - .actual_access:  read_only
        .address_space:  global
        .offset:         72
        .size:           8
        .value_kind:     global_buffer
      - .offset:         80
        .size:           8
        .value_kind:     by_value
      - .address_space:  global
        .offset:         88
        .size:           8
        .value_kind:     global_buffer
      - .offset:         96
        .size:           4
        .value_kind:     by_value
      - .offset:         100
        .size:           1
        .value_kind:     by_value
    .group_segment_fixed_size: 8192
    .kernarg_segment_align: 8
    .kernarg_segment_size: 104
    .language:       OpenCL C
    .language_version:
      - 2
      - 0
    .max_flat_workgroup_size: 256
    .name:           _ZN9rocsparseL22csrmvn_adaptive_kernelIllf21rocsparse_complex_numIfES2_S2_EEvbT_PKS3_PjPKT0_NS_24const_host_device_scalarIT4_EES5_S9_PKT1_PKT2_SC_PT3_21rocsparse_index_base_b
    .private_segment_fixed_size: 0
    .sgpr_count:     64
    .sgpr_spill_count: 0
    .symbol:         _ZN9rocsparseL22csrmvn_adaptive_kernelIllf21rocsparse_complex_numIfES2_S2_EEvbT_PKS3_PjPKT0_NS_24const_host_device_scalarIT4_EES5_S9_PKT1_PKT2_SC_PT3_21rocsparse_index_base_b.kd
    .uniform_work_group_size: 1
    .uses_dynamic_stack: false
    .vgpr_count:     26
    .vgpr_spill_count: 0
    .wavefront_size: 64
  - .args:
      - .offset:         0
        .size:           1
        .value_kind:     by_value
      - .offset:         8
        .size:           8
        .value_kind:     by_value
      - .offset:         16
        .size:           8
        .value_kind:     by_value
      - .actual_access:  read_only
        .address_space:  global
        .offset:         24
        .size:           8
        .value_kind:     global_buffer
      - .offset:         32
        .size:           8
        .value_kind:     by_value
      - .actual_access:  read_only
        .address_space:  global
        .offset:         40
        .size:           8
        .value_kind:     global_buffer
      - .actual_access:  read_only
        .address_space:  global
        .offset:         48
        .size:           8
        .value_kind:     global_buffer
      - .actual_access:  read_only
        .address_space:  global
        .offset:         56
        .size:           8
        .value_kind:     global_buffer
      - .actual_access:  read_only
        .address_space:  global
        .offset:         64
        .size:           8
        .value_kind:     global_buffer
      - .offset:         72
        .size:           8
        .value_kind:     by_value
      - .address_space:  global
        .offset:         80
        .size:           8
        .value_kind:     global_buffer
      - .offset:         88
        .size:           4
        .value_kind:     by_value
      - .offset:         92
        .size:           1
        .value_kind:     by_value
      - .offset:         96
        .size:           4
        .value_kind:     hidden_block_count_x
      - .offset:         100
        .size:           4
        .value_kind:     hidden_block_count_y
      - .offset:         104
        .size:           4
        .value_kind:     hidden_block_count_z
      - .offset:         108
        .size:           2
        .value_kind:     hidden_group_size_x
      - .offset:         110
        .size:           2
        .value_kind:     hidden_group_size_y
      - .offset:         112
        .size:           2
        .value_kind:     hidden_group_size_z
      - .offset:         114
        .size:           2
        .value_kind:     hidden_remainder_x
      - .offset:         116
        .size:           2
        .value_kind:     hidden_remainder_y
      - .offset:         118
        .size:           2
        .value_kind:     hidden_remainder_z
      - .offset:         136
        .size:           8
        .value_kind:     hidden_global_offset_x
      - .offset:         144
        .size:           8
        .value_kind:     hidden_global_offset_y
      - .offset:         152
        .size:           8
        .value_kind:     hidden_global_offset_z
      - .offset:         160
        .size:           2
        .value_kind:     hidden_grid_dims
      - .offset:         216
        .size:           4
        .value_kind:     hidden_dynamic_lds_size
    .group_segment_fixed_size: 8192
    .kernarg_segment_align: 8
    .kernarg_segment_size: 352
    .language:       OpenCL C
    .language_version:
      - 2
      - 0
    .max_flat_workgroup_size: 256
    .name:           _ZN9rocsparseL27csrmvn_symm_adaptive_kernelIllf21rocsparse_complex_numIfES2_S2_EEvbT_S3_PKS3_NS_24const_host_device_scalarIT4_EES5_PKT0_PKT1_PKT2_S8_PT3_21rocsparse_index_base_b
    .private_segment_fixed_size: 0
    .sgpr_count:     56
    .sgpr_spill_count: 0
    .symbol:         _ZN9rocsparseL27csrmvn_symm_adaptive_kernelIllf21rocsparse_complex_numIfES2_S2_EEvbT_S3_PKS3_NS_24const_host_device_scalarIT4_EES5_PKT0_PKT1_PKT2_S8_PT3_21rocsparse_index_base_b.kd
    .uniform_work_group_size: 1
    .uses_dynamic_stack: false
    .vgpr_count:     23
    .vgpr_spill_count: 0
    .wavefront_size: 64
  - .args:
      - .offset:         0
        .size:           1
        .value_kind:     by_value
      - .offset:         8
        .size:           8
        .value_kind:     by_value
      - .actual_access:  read_only
        .address_space:  global
        .offset:         16
        .size:           8
        .value_kind:     global_buffer
      - .offset:         24
        .size:           8
        .value_kind:     by_value
      - .actual_access:  read_only
        .address_space:  global
        .offset:         32
        .size:           8
        .value_kind:     global_buffer
      - .actual_access:  read_only
        .address_space:  global
        .offset:         40
        .size:           8
        .value_kind:     global_buffer
      - .actual_access:  read_only
        .address_space:  global
        .offset:         48
        .size:           8
        .value_kind:     global_buffer
      - .actual_access:  read_only
        .address_space:  global
        .offset:         56
        .size:           8
        .value_kind:     global_buffer
      - .offset:         64
        .size:           8
        .value_kind:     by_value
      - .address_space:  global
        .offset:         72
        .size:           8
        .value_kind:     global_buffer
      - .offset:         80
        .size:           4
        .value_kind:     by_value
      - .offset:         84
        .size:           1
        .value_kind:     by_value
    .group_segment_fixed_size: 8192
    .kernarg_segment_align: 8
    .kernarg_segment_size: 88
    .language:       OpenCL C
    .language_version:
      - 2
      - 0
    .max_flat_workgroup_size: 256
    .name:           _ZL33csrmvn_symm_large_adaptive_kernelIllf21rocsparse_complex_numIfES1_S1_EvbT_PKS2_N9rocsparse24const_host_device_scalarIT4_EES4_PKT0_PKT1_PKT2_S8_PT3_21rocsparse_index_base_b
    .private_segment_fixed_size: 0
    .sgpr_count:     44
    .sgpr_spill_count: 0
    .symbol:         _ZL33csrmvn_symm_large_adaptive_kernelIllf21rocsparse_complex_numIfES1_S1_EvbT_PKS2_N9rocsparse24const_host_device_scalarIT4_EES4_PKT0_PKT1_PKT2_S8_PT3_21rocsparse_index_base_b.kd
    .uniform_work_group_size: 1
    .uses_dynamic_stack: false
    .vgpr_count:     20
    .vgpr_spill_count: 0
    .wavefront_size: 64
  - .args:
      - .offset:         0
        .size:           1
        .value_kind:     by_value
      - .offset:         4
        .size:           4
        .value_kind:     by_value
      - .actual_access:  read_only
        .address_space:  global
        .offset:         8
        .size:           8
        .value_kind:     global_buffer
      - .address_space:  global
        .offset:         16
        .size:           8
        .value_kind:     global_buffer
      - .actual_access:  read_only
        .address_space:  global
        .offset:         24
        .size:           8
        .value_kind:     global_buffer
      - .offset:         32
        .size:           8
        .value_kind:     by_value
      - .actual_access:  read_only
        .address_space:  global
        .offset:         40
        .size:           8
        .value_kind:     global_buffer
      - .actual_access:  read_only
        .address_space:  global
        .offset:         48
        .size:           8
        .value_kind:     global_buffer
      - .actual_access:  read_only
        .address_space:  global
        .offset:         56
        .size:           8
        .value_kind:     global_buffer
      - .actual_access:  read_only
        .address_space:  global
        .offset:         64
        .size:           8
        .value_kind:     global_buffer
      - .offset:         72
        .size:           8
        .value_kind:     by_value
      - .address_space:  global
        .offset:         80
        .size:           8
        .value_kind:     global_buffer
      - .offset:         88
        .size:           4
        .value_kind:     by_value
      - .offset:         92
        .size:           1
        .value_kind:     by_value
    .group_segment_fixed_size: 8192
    .kernarg_segment_align: 8
    .kernarg_segment_size: 96
    .language:       OpenCL C
    .language_version:
      - 2
      - 0
    .max_flat_workgroup_size: 256
    .name:           _ZN9rocsparseL22csrmvn_adaptive_kernelIiifdddEEvbT_PKS1_PjPKT0_NS_24const_host_device_scalarIT4_EES3_S7_PKT1_PKT2_SA_PT3_21rocsparse_index_base_b
    .private_segment_fixed_size: 0
    .sgpr_count:     56
    .sgpr_spill_count: 0
    .symbol:         _ZN9rocsparseL22csrmvn_adaptive_kernelIiifdddEEvbT_PKS1_PjPKT0_NS_24const_host_device_scalarIT4_EES3_S7_PKT1_PKT2_SA_PT3_21rocsparse_index_base_b.kd
    .uniform_work_group_size: 1
    .uses_dynamic_stack: false
    .vgpr_count:     26
    .vgpr_spill_count: 0
    .wavefront_size: 64
  - .args:
      - .offset:         0
        .size:           1
        .value_kind:     by_value
      - .offset:         4
        .size:           4
        .value_kind:     by_value
      - .offset:         8
        .size:           4
        .value_kind:     by_value
      - .actual_access:  read_only
        .address_space:  global
        .offset:         16
        .size:           8
        .value_kind:     global_buffer
      - .offset:         24
        .size:           8
        .value_kind:     by_value
      - .actual_access:  read_only
        .address_space:  global
        .offset:         32
        .size:           8
        .value_kind:     global_buffer
      - .actual_access:  read_only
        .address_space:  global
        .offset:         40
        .size:           8
        .value_kind:     global_buffer
      - .actual_access:  read_only
        .address_space:  global
        .offset:         48
        .size:           8
        .value_kind:     global_buffer
      - .actual_access:  read_only
        .address_space:  global
        .offset:         56
        .size:           8
        .value_kind:     global_buffer
      - .offset:         64
        .size:           8
        .value_kind:     by_value
      - .address_space:  global
        .offset:         72
        .size:           8
        .value_kind:     global_buffer
      - .offset:         80
        .size:           4
        .value_kind:     by_value
      - .offset:         84
        .size:           1
        .value_kind:     by_value
      - .offset:         88
        .size:           4
        .value_kind:     hidden_block_count_x
      - .offset:         92
        .size:           4
        .value_kind:     hidden_block_count_y
      - .offset:         96
        .size:           4
        .value_kind:     hidden_block_count_z
      - .offset:         100
        .size:           2
        .value_kind:     hidden_group_size_x
      - .offset:         102
        .size:           2
        .value_kind:     hidden_group_size_y
      - .offset:         104
        .size:           2
        .value_kind:     hidden_group_size_z
      - .offset:         106
        .size:           2
        .value_kind:     hidden_remainder_x
      - .offset:         108
        .size:           2
        .value_kind:     hidden_remainder_y
      - .offset:         110
        .size:           2
        .value_kind:     hidden_remainder_z
      - .offset:         128
        .size:           8
        .value_kind:     hidden_global_offset_x
      - .offset:         136
        .size:           8
        .value_kind:     hidden_global_offset_y
      - .offset:         144
        .size:           8
        .value_kind:     hidden_global_offset_z
      - .offset:         152
        .size:           2
        .value_kind:     hidden_grid_dims
      - .offset:         208
        .size:           4
        .value_kind:     hidden_dynamic_lds_size
    .group_segment_fixed_size: 8192
    .kernarg_segment_align: 8
    .kernarg_segment_size: 344
    .language:       OpenCL C
    .language_version:
      - 2
      - 0
    .max_flat_workgroup_size: 256
    .name:           _ZN9rocsparseL27csrmvn_symm_adaptive_kernelIiifdddEEvbT_S1_PKS1_NS_24const_host_device_scalarIT4_EES3_PKT0_PKT1_PKT2_S6_PT3_21rocsparse_index_base_b
    .private_segment_fixed_size: 0
    .sgpr_count:     42
    .sgpr_spill_count: 0
    .symbol:         _ZN9rocsparseL27csrmvn_symm_adaptive_kernelIiifdddEEvbT_S1_PKS1_NS_24const_host_device_scalarIT4_EES3_PKT0_PKT1_PKT2_S6_PT3_21rocsparse_index_base_b.kd
    .uniform_work_group_size: 1
    .uses_dynamic_stack: false
    .vgpr_count:     21
    .vgpr_spill_count: 0
    .wavefront_size: 64
  - .args:
      - .offset:         0
        .size:           1
        .value_kind:     by_value
      - .offset:         4
        .size:           4
        .value_kind:     by_value
      - .actual_access:  read_only
        .address_space:  global
        .offset:         8
        .size:           8
        .value_kind:     global_buffer
      - .offset:         16
        .size:           8
        .value_kind:     by_value
      - .actual_access:  read_only
        .address_space:  global
        .offset:         24
        .size:           8
        .value_kind:     global_buffer
      - .actual_access:  read_only
        .address_space:  global
        .offset:         32
        .size:           8
        .value_kind:     global_buffer
      - .actual_access:  read_only
        .address_space:  global
        .offset:         40
        .size:           8
        .value_kind:     global_buffer
      - .actual_access:  read_only
        .address_space:  global
        .offset:         48
        .size:           8
        .value_kind:     global_buffer
      - .offset:         56
        .size:           8
        .value_kind:     by_value
      - .address_space:  global
        .offset:         64
        .size:           8
        .value_kind:     global_buffer
      - .offset:         72
        .size:           4
        .value_kind:     by_value
      - .offset:         76
        .size:           1
        .value_kind:     by_value
    .group_segment_fixed_size: 8192
    .kernarg_segment_align: 8
    .kernarg_segment_size: 80
    .language:       OpenCL C
    .language_version:
      - 2
      - 0
    .max_flat_workgroup_size: 256
    .name:           _ZL33csrmvn_symm_large_adaptive_kernelIiifdddEvbT_PKS0_N9rocsparse24const_host_device_scalarIT4_EES2_PKT0_PKT1_PKT2_S6_PT3_21rocsparse_index_base_b
    .private_segment_fixed_size: 0
    .sgpr_count:     34
    .sgpr_spill_count: 0
    .symbol:         _ZL33csrmvn_symm_large_adaptive_kernelIiifdddEvbT_PKS0_N9rocsparse24const_host_device_scalarIT4_EES2_PKT0_PKT1_PKT2_S6_PT3_21rocsparse_index_base_b.kd
    .uniform_work_group_size: 1
    .uses_dynamic_stack: false
    .vgpr_count:     17
    .vgpr_spill_count: 0
    .wavefront_size: 64
  - .args:
      - .offset:         0
        .size:           1
        .value_kind:     by_value
      - .offset:         8
        .size:           8
        .value_kind:     by_value
      - .actual_access:  read_only
        .address_space:  global
        .offset:         16
        .size:           8
        .value_kind:     global_buffer
      - .address_space:  global
        .offset:         24
        .size:           8
        .value_kind:     global_buffer
      - .actual_access:  read_only
        .address_space:  global
        .offset:         32
        .size:           8
        .value_kind:     global_buffer
      - .offset:         40
        .size:           8
        .value_kind:     by_value
      - .actual_access:  read_only
        .address_space:  global
        .offset:         48
        .size:           8
        .value_kind:     global_buffer
      - .actual_access:  read_only
        .address_space:  global
        .offset:         56
        .size:           8
        .value_kind:     global_buffer
      - .actual_access:  read_only
        .address_space:  global
        .offset:         64
        .size:           8
        .value_kind:     global_buffer
      - .actual_access:  read_only
        .address_space:  global
        .offset:         72
        .size:           8
        .value_kind:     global_buffer
      - .offset:         80
        .size:           8
        .value_kind:     by_value
      - .address_space:  global
        .offset:         88
        .size:           8
        .value_kind:     global_buffer
      - .offset:         96
        .size:           4
        .value_kind:     by_value
      - .offset:         100
        .size:           1
        .value_kind:     by_value
    .group_segment_fixed_size: 8192
    .kernarg_segment_align: 8
    .kernarg_segment_size: 104
    .language:       OpenCL C
    .language_version:
      - 2
      - 0
    .max_flat_workgroup_size: 256
    .name:           _ZN9rocsparseL22csrmvn_adaptive_kernelIlifdddEEvbT_PKS1_PjPKT0_NS_24const_host_device_scalarIT4_EES3_S7_PKT1_PKT2_SA_PT3_21rocsparse_index_base_b
    .private_segment_fixed_size: 0
    .sgpr_count:     64
    .sgpr_spill_count: 0
    .symbol:         _ZN9rocsparseL22csrmvn_adaptive_kernelIlifdddEEvbT_PKS1_PjPKT0_NS_24const_host_device_scalarIT4_EES3_S7_PKT1_PKT2_SA_PT3_21rocsparse_index_base_b.kd
    .uniform_work_group_size: 1
    .uses_dynamic_stack: false
    .vgpr_count:     26
    .vgpr_spill_count: 0
    .wavefront_size: 64
  - .args:
      - .offset:         0
        .size:           1
        .value_kind:     by_value
      - .offset:         8
        .size:           8
        .value_kind:     by_value
      - .offset:         16
        .size:           8
        .value_kind:     by_value
      - .actual_access:  read_only
        .address_space:  global
        .offset:         24
        .size:           8
        .value_kind:     global_buffer
      - .offset:         32
        .size:           8
        .value_kind:     by_value
      - .actual_access:  read_only
        .address_space:  global
        .offset:         40
        .size:           8
        .value_kind:     global_buffer
      - .actual_access:  read_only
        .address_space:  global
        .offset:         48
        .size:           8
        .value_kind:     global_buffer
      - .actual_access:  read_only
        .address_space:  global
        .offset:         56
        .size:           8
        .value_kind:     global_buffer
      - .actual_access:  read_only
        .address_space:  global
        .offset:         64
        .size:           8
        .value_kind:     global_buffer
      - .offset:         72
        .size:           8
        .value_kind:     by_value
      - .address_space:  global
        .offset:         80
        .size:           8
        .value_kind:     global_buffer
      - .offset:         88
        .size:           4
        .value_kind:     by_value
      - .offset:         92
        .size:           1
        .value_kind:     by_value
      - .offset:         96
        .size:           4
        .value_kind:     hidden_block_count_x
      - .offset:         100
        .size:           4
        .value_kind:     hidden_block_count_y
      - .offset:         104
        .size:           4
        .value_kind:     hidden_block_count_z
      - .offset:         108
        .size:           2
        .value_kind:     hidden_group_size_x
      - .offset:         110
        .size:           2
        .value_kind:     hidden_group_size_y
      - .offset:         112
        .size:           2
        .value_kind:     hidden_group_size_z
      - .offset:         114
        .size:           2
        .value_kind:     hidden_remainder_x
      - .offset:         116
        .size:           2
        .value_kind:     hidden_remainder_y
      - .offset:         118
        .size:           2
        .value_kind:     hidden_remainder_z
      - .offset:         136
        .size:           8
        .value_kind:     hidden_global_offset_x
      - .offset:         144
        .size:           8
        .value_kind:     hidden_global_offset_y
      - .offset:         152
        .size:           8
        .value_kind:     hidden_global_offset_z
      - .offset:         160
        .size:           2
        .value_kind:     hidden_grid_dims
      - .offset:         216
        .size:           4
        .value_kind:     hidden_dynamic_lds_size
    .group_segment_fixed_size: 8192
    .kernarg_segment_align: 8
    .kernarg_segment_size: 352
    .language:       OpenCL C
    .language_version:
      - 2
      - 0
    .max_flat_workgroup_size: 256
    .name:           _ZN9rocsparseL27csrmvn_symm_adaptive_kernelIlifdddEEvbT_S1_PKS1_NS_24const_host_device_scalarIT4_EES3_PKT0_PKT1_PKT2_S6_PT3_21rocsparse_index_base_b
    .private_segment_fixed_size: 0
    .sgpr_count:     56
    .sgpr_spill_count: 0
    .symbol:         _ZN9rocsparseL27csrmvn_symm_adaptive_kernelIlifdddEEvbT_S1_PKS1_NS_24const_host_device_scalarIT4_EES3_PKT0_PKT1_PKT2_S6_PT3_21rocsparse_index_base_b.kd
    .uniform_work_group_size: 1
    .uses_dynamic_stack: false
    .vgpr_count:     23
    .vgpr_spill_count: 0
    .wavefront_size: 64
  - .args:
      - .offset:         0
        .size:           1
        .value_kind:     by_value
      - .offset:         8
        .size:           8
        .value_kind:     by_value
      - .actual_access:  read_only
        .address_space:  global
        .offset:         16
        .size:           8
        .value_kind:     global_buffer
      - .offset:         24
        .size:           8
        .value_kind:     by_value
      - .actual_access:  read_only
        .address_space:  global
        .offset:         32
        .size:           8
        .value_kind:     global_buffer
      - .actual_access:  read_only
        .address_space:  global
        .offset:         40
        .size:           8
        .value_kind:     global_buffer
      - .actual_access:  read_only
        .address_space:  global
        .offset:         48
        .size:           8
        .value_kind:     global_buffer
      - .actual_access:  read_only
        .address_space:  global
        .offset:         56
        .size:           8
        .value_kind:     global_buffer
      - .offset:         64
        .size:           8
        .value_kind:     by_value
      - .address_space:  global
        .offset:         72
        .size:           8
        .value_kind:     global_buffer
      - .offset:         80
        .size:           4
        .value_kind:     by_value
      - .offset:         84
        .size:           1
        .value_kind:     by_value
    .group_segment_fixed_size: 8192
    .kernarg_segment_align: 8
    .kernarg_segment_size: 88
    .language:       OpenCL C
    .language_version:
      - 2
      - 0
    .max_flat_workgroup_size: 256
    .name:           _ZL33csrmvn_symm_large_adaptive_kernelIlifdddEvbT_PKS0_N9rocsparse24const_host_device_scalarIT4_EES2_PKT0_PKT1_PKT2_S6_PT3_21rocsparse_index_base_b
    .private_segment_fixed_size: 0
    .sgpr_count:     44
    .sgpr_spill_count: 0
    .symbol:         _ZL33csrmvn_symm_large_adaptive_kernelIlifdddEvbT_PKS0_N9rocsparse24const_host_device_scalarIT4_EES2_PKT0_PKT1_PKT2_S6_PT3_21rocsparse_index_base_b.kd
    .uniform_work_group_size: 1
    .uses_dynamic_stack: false
    .vgpr_count:     20
    .vgpr_spill_count: 0
    .wavefront_size: 64
  - .args:
      - .offset:         0
        .size:           1
        .value_kind:     by_value
      - .offset:         8
        .size:           8
        .value_kind:     by_value
      - .actual_access:  read_only
        .address_space:  global
        .offset:         16
        .size:           8
        .value_kind:     global_buffer
      - .address_space:  global
        .offset:         24
        .size:           8
        .value_kind:     global_buffer
      - .actual_access:  read_only
        .address_space:  global
        .offset:         32
        .size:           8
        .value_kind:     global_buffer
      - .offset:         40
        .size:           8
        .value_kind:     by_value
      - .actual_access:  read_only
        .address_space:  global
        .offset:         48
        .size:           8
        .value_kind:     global_buffer
      - .actual_access:  read_only
        .address_space:  global
        .offset:         56
        .size:           8
        .value_kind:     global_buffer
      - .actual_access:  read_only
        .address_space:  global
        .offset:         64
        .size:           8
        .value_kind:     global_buffer
      - .actual_access:  read_only
        .address_space:  global
        .offset:         72
        .size:           8
        .value_kind:     global_buffer
      - .offset:         80
        .size:           8
        .value_kind:     by_value
      - .address_space:  global
        .offset:         88
        .size:           8
        .value_kind:     global_buffer
      - .offset:         96
        .size:           4
        .value_kind:     by_value
      - .offset:         100
        .size:           1
        .value_kind:     by_value
    .group_segment_fixed_size: 8192
    .kernarg_segment_align: 8
    .kernarg_segment_size: 104
    .language:       OpenCL C
    .language_version:
      - 2
      - 0
    .max_flat_workgroup_size: 256
    .name:           _ZN9rocsparseL22csrmvn_adaptive_kernelIllfdddEEvbT_PKS1_PjPKT0_NS_24const_host_device_scalarIT4_EES3_S7_PKT1_PKT2_SA_PT3_21rocsparse_index_base_b
    .private_segment_fixed_size: 0
    .sgpr_count:     64
    .sgpr_spill_count: 0
    .symbol:         _ZN9rocsparseL22csrmvn_adaptive_kernelIllfdddEEvbT_PKS1_PjPKT0_NS_24const_host_device_scalarIT4_EES3_S7_PKT1_PKT2_SA_PT3_21rocsparse_index_base_b.kd
    .uniform_work_group_size: 1
    .uses_dynamic_stack: false
    .vgpr_count:     26
    .vgpr_spill_count: 0
    .wavefront_size: 64
  - .args:
      - .offset:         0
        .size:           1
        .value_kind:     by_value
      - .offset:         8
        .size:           8
        .value_kind:     by_value
      - .offset:         16
        .size:           8
        .value_kind:     by_value
      - .actual_access:  read_only
        .address_space:  global
        .offset:         24
        .size:           8
        .value_kind:     global_buffer
      - .offset:         32
        .size:           8
        .value_kind:     by_value
      - .actual_access:  read_only
        .address_space:  global
        .offset:         40
        .size:           8
        .value_kind:     global_buffer
      - .actual_access:  read_only
        .address_space:  global
        .offset:         48
        .size:           8
        .value_kind:     global_buffer
      - .actual_access:  read_only
        .address_space:  global
        .offset:         56
        .size:           8
        .value_kind:     global_buffer
      - .actual_access:  read_only
        .address_space:  global
        .offset:         64
        .size:           8
        .value_kind:     global_buffer
      - .offset:         72
        .size:           8
        .value_kind:     by_value
      - .address_space:  global
        .offset:         80
        .size:           8
        .value_kind:     global_buffer
      - .offset:         88
        .size:           4
        .value_kind:     by_value
      - .offset:         92
        .size:           1
        .value_kind:     by_value
      - .offset:         96
        .size:           4
        .value_kind:     hidden_block_count_x
      - .offset:         100
        .size:           4
        .value_kind:     hidden_block_count_y
      - .offset:         104
        .size:           4
        .value_kind:     hidden_block_count_z
      - .offset:         108
        .size:           2
        .value_kind:     hidden_group_size_x
      - .offset:         110
        .size:           2
        .value_kind:     hidden_group_size_y
      - .offset:         112
        .size:           2
        .value_kind:     hidden_group_size_z
      - .offset:         114
        .size:           2
        .value_kind:     hidden_remainder_x
      - .offset:         116
        .size:           2
        .value_kind:     hidden_remainder_y
      - .offset:         118
        .size:           2
        .value_kind:     hidden_remainder_z
      - .offset:         136
        .size:           8
        .value_kind:     hidden_global_offset_x
      - .offset:         144
        .size:           8
        .value_kind:     hidden_global_offset_y
      - .offset:         152
        .size:           8
        .value_kind:     hidden_global_offset_z
      - .offset:         160
        .size:           2
        .value_kind:     hidden_grid_dims
      - .offset:         216
        .size:           4
        .value_kind:     hidden_dynamic_lds_size
    .group_segment_fixed_size: 8192
    .kernarg_segment_align: 8
    .kernarg_segment_size: 352
    .language:       OpenCL C
    .language_version:
      - 2
      - 0
    .max_flat_workgroup_size: 256
    .name:           _ZN9rocsparseL27csrmvn_symm_adaptive_kernelIllfdddEEvbT_S1_PKS1_NS_24const_host_device_scalarIT4_EES3_PKT0_PKT1_PKT2_S6_PT3_21rocsparse_index_base_b
    .private_segment_fixed_size: 0
    .sgpr_count:     56
    .sgpr_spill_count: 0
    .symbol:         _ZN9rocsparseL27csrmvn_symm_adaptive_kernelIllfdddEEvbT_S1_PKS1_NS_24const_host_device_scalarIT4_EES3_PKT0_PKT1_PKT2_S6_PT3_21rocsparse_index_base_b.kd
    .uniform_work_group_size: 1
    .uses_dynamic_stack: false
    .vgpr_count:     23
    .vgpr_spill_count: 0
    .wavefront_size: 64
  - .args:
      - .offset:         0
        .size:           1
        .value_kind:     by_value
      - .offset:         8
        .size:           8
        .value_kind:     by_value
      - .actual_access:  read_only
        .address_space:  global
        .offset:         16
        .size:           8
        .value_kind:     global_buffer
      - .offset:         24
        .size:           8
        .value_kind:     by_value
      - .actual_access:  read_only
        .address_space:  global
        .offset:         32
        .size:           8
        .value_kind:     global_buffer
      - .actual_access:  read_only
        .address_space:  global
        .offset:         40
        .size:           8
        .value_kind:     global_buffer
      - .actual_access:  read_only
        .address_space:  global
        .offset:         48
        .size:           8
        .value_kind:     global_buffer
      - .actual_access:  read_only
        .address_space:  global
        .offset:         56
        .size:           8
        .value_kind:     global_buffer
      - .offset:         64
        .size:           8
        .value_kind:     by_value
      - .address_space:  global
        .offset:         72
        .size:           8
        .value_kind:     global_buffer
      - .offset:         80
        .size:           4
        .value_kind:     by_value
      - .offset:         84
        .size:           1
        .value_kind:     by_value
    .group_segment_fixed_size: 8192
    .kernarg_segment_align: 8
    .kernarg_segment_size: 88
    .language:       OpenCL C
    .language_version:
      - 2
      - 0
    .max_flat_workgroup_size: 256
    .name:           _ZL33csrmvn_symm_large_adaptive_kernelIllfdddEvbT_PKS0_N9rocsparse24const_host_device_scalarIT4_EES2_PKT0_PKT1_PKT2_S6_PT3_21rocsparse_index_base_b
    .private_segment_fixed_size: 0
    .sgpr_count:     44
    .sgpr_spill_count: 0
    .symbol:         _ZL33csrmvn_symm_large_adaptive_kernelIllfdddEvbT_PKS0_N9rocsparse24const_host_device_scalarIT4_EES2_PKT0_PKT1_PKT2_S6_PT3_21rocsparse_index_base_b.kd
    .uniform_work_group_size: 1
    .uses_dynamic_stack: false
    .vgpr_count:     20
    .vgpr_spill_count: 0
    .wavefront_size: 64
  - .args:
      - .offset:         0
        .size:           1
        .value_kind:     by_value
      - .offset:         4
        .size:           4
        .value_kind:     by_value
      - .actual_access:  read_only
        .address_space:  global
        .offset:         8
        .size:           8
        .value_kind:     global_buffer
      - .address_space:  global
        .offset:         16
        .size:           8
        .value_kind:     global_buffer
      - .actual_access:  read_only
        .address_space:  global
        .offset:         24
        .size:           8
        .value_kind:     global_buffer
      - .offset:         32
        .size:           16
        .value_kind:     by_value
      - .actual_access:  read_only
        .address_space:  global
        .offset:         48
        .size:           8
        .value_kind:     global_buffer
      - .actual_access:  read_only
        .address_space:  global
        .offset:         56
        .size:           8
        .value_kind:     global_buffer
      - .actual_access:  read_only
        .address_space:  global
        .offset:         64
        .size:           8
        .value_kind:     global_buffer
      - .actual_access:  read_only
        .address_space:  global
        .offset:         72
        .size:           8
        .value_kind:     global_buffer
      - .offset:         80
        .size:           16
        .value_kind:     by_value
      - .address_space:  global
        .offset:         96
        .size:           8
        .value_kind:     global_buffer
      - .offset:         104
        .size:           4
        .value_kind:     by_value
      - .offset:         108
        .size:           1
        .value_kind:     by_value
    .group_segment_fixed_size: 16384
    .kernarg_segment_align: 8
    .kernarg_segment_size: 112
    .language:       OpenCL C
    .language_version:
      - 2
      - 0
    .max_flat_workgroup_size: 256
    .name:           _ZN9rocsparseL22csrmvn_adaptive_kernelIiid21rocsparse_complex_numIdES2_S2_EEvbT_PKS3_PjPKT0_NS_24const_host_device_scalarIT4_EES5_S9_PKT1_PKT2_SC_PT3_21rocsparse_index_base_b
    .private_segment_fixed_size: 0
    .sgpr_count:     56
    .sgpr_spill_count: 0
    .symbol:         _ZN9rocsparseL22csrmvn_adaptive_kernelIiid21rocsparse_complex_numIdES2_S2_EEvbT_PKS3_PjPKT0_NS_24const_host_device_scalarIT4_EES5_S9_PKT1_PKT2_SC_PT3_21rocsparse_index_base_b.kd
    .uniform_work_group_size: 1
    .uses_dynamic_stack: false
    .vgpr_count:     46
    .vgpr_spill_count: 0
    .wavefront_size: 64
  - .args:
      - .offset:         0
        .size:           1
        .value_kind:     by_value
      - .offset:         4
        .size:           4
        .value_kind:     by_value
      - .offset:         8
        .size:           4
        .value_kind:     by_value
      - .actual_access:  read_only
        .address_space:  global
        .offset:         16
        .size:           8
        .value_kind:     global_buffer
      - .offset:         24
        .size:           16
        .value_kind:     by_value
      - .actual_access:  read_only
        .address_space:  global
        .offset:         40
        .size:           8
        .value_kind:     global_buffer
      - .actual_access:  read_only
        .address_space:  global
        .offset:         48
        .size:           8
        .value_kind:     global_buffer
      - .actual_access:  read_only
        .address_space:  global
        .offset:         56
        .size:           8
        .value_kind:     global_buffer
      - .actual_access:  read_only
        .address_space:  global
        .offset:         64
        .size:           8
        .value_kind:     global_buffer
      - .offset:         72
        .size:           16
        .value_kind:     by_value
      - .address_space:  global
        .offset:         88
        .size:           8
        .value_kind:     global_buffer
      - .offset:         96
        .size:           4
        .value_kind:     by_value
      - .offset:         100
        .size:           1
        .value_kind:     by_value
      - .offset:         104
        .size:           4
        .value_kind:     hidden_block_count_x
      - .offset:         108
        .size:           4
        .value_kind:     hidden_block_count_y
      - .offset:         112
        .size:           4
        .value_kind:     hidden_block_count_z
      - .offset:         116
        .size:           2
        .value_kind:     hidden_group_size_x
      - .offset:         118
        .size:           2
        .value_kind:     hidden_group_size_y
      - .offset:         120
        .size:           2
        .value_kind:     hidden_group_size_z
      - .offset:         122
        .size:           2
        .value_kind:     hidden_remainder_x
      - .offset:         124
        .size:           2
        .value_kind:     hidden_remainder_y
      - .offset:         126
        .size:           2
        .value_kind:     hidden_remainder_z
      - .offset:         144
        .size:           8
        .value_kind:     hidden_global_offset_x
      - .offset:         152
        .size:           8
        .value_kind:     hidden_global_offset_y
      - .offset:         160
        .size:           8
        .value_kind:     hidden_global_offset_z
      - .offset:         168
        .size:           2
        .value_kind:     hidden_grid_dims
      - .offset:         224
        .size:           4
        .value_kind:     hidden_dynamic_lds_size
    .group_segment_fixed_size: 16384
    .kernarg_segment_align: 8
    .kernarg_segment_size: 360
    .language:       OpenCL C
    .language_version:
      - 2
      - 0
    .max_flat_workgroup_size: 256
    .name:           _ZN9rocsparseL27csrmvn_symm_adaptive_kernelIiid21rocsparse_complex_numIdES2_S2_EEvbT_S3_PKS3_NS_24const_host_device_scalarIT4_EES5_PKT0_PKT1_PKT2_S8_PT3_21rocsparse_index_base_b
    .private_segment_fixed_size: 0
    .sgpr_count:     42
    .sgpr_spill_count: 0
    .symbol:         _ZN9rocsparseL27csrmvn_symm_adaptive_kernelIiid21rocsparse_complex_numIdES2_S2_EEvbT_S3_PKS3_NS_24const_host_device_scalarIT4_EES5_PKT0_PKT1_PKT2_S8_PT3_21rocsparse_index_base_b.kd
    .uniform_work_group_size: 1
    .uses_dynamic_stack: false
    .vgpr_count:     31
    .vgpr_spill_count: 0
    .wavefront_size: 64
  - .args:
      - .offset:         0
        .size:           1
        .value_kind:     by_value
      - .offset:         4
        .size:           4
        .value_kind:     by_value
      - .actual_access:  read_only
        .address_space:  global
        .offset:         8
        .size:           8
        .value_kind:     global_buffer
      - .offset:         16
        .size:           16
        .value_kind:     by_value
      - .actual_access:  read_only
        .address_space:  global
        .offset:         32
        .size:           8
        .value_kind:     global_buffer
      - .actual_access:  read_only
        .address_space:  global
        .offset:         40
        .size:           8
        .value_kind:     global_buffer
      - .actual_access:  read_only
        .address_space:  global
        .offset:         48
        .size:           8
        .value_kind:     global_buffer
      - .actual_access:  read_only
        .address_space:  global
        .offset:         56
        .size:           8
        .value_kind:     global_buffer
      - .offset:         64
        .size:           16
        .value_kind:     by_value
      - .address_space:  global
        .offset:         80
        .size:           8
        .value_kind:     global_buffer
      - .offset:         88
        .size:           4
        .value_kind:     by_value
      - .offset:         92
        .size:           1
        .value_kind:     by_value
    .group_segment_fixed_size: 16384
    .kernarg_segment_align: 8
    .kernarg_segment_size: 96
    .language:       OpenCL C
    .language_version:
      - 2
      - 0
    .max_flat_workgroup_size: 256
    .name:           _ZL33csrmvn_symm_large_adaptive_kernelIiid21rocsparse_complex_numIdES1_S1_EvbT_PKS2_N9rocsparse24const_host_device_scalarIT4_EES4_PKT0_PKT1_PKT2_S8_PT3_21rocsparse_index_base_b
    .private_segment_fixed_size: 0
    .sgpr_count:     40
    .sgpr_spill_count: 0
    .symbol:         _ZL33csrmvn_symm_large_adaptive_kernelIiid21rocsparse_complex_numIdES1_S1_EvbT_PKS2_N9rocsparse24const_host_device_scalarIT4_EES4_PKT0_PKT1_PKT2_S8_PT3_21rocsparse_index_base_b.kd
    .uniform_work_group_size: 1
    .uses_dynamic_stack: false
    .vgpr_count:     28
    .vgpr_spill_count: 0
    .wavefront_size: 64
  - .args:
      - .offset:         0
        .size:           1
        .value_kind:     by_value
      - .offset:         8
        .size:           8
        .value_kind:     by_value
      - .actual_access:  read_only
        .address_space:  global
        .offset:         16
        .size:           8
        .value_kind:     global_buffer
      - .address_space:  global
        .offset:         24
        .size:           8
        .value_kind:     global_buffer
      - .actual_access:  read_only
        .address_space:  global
        .offset:         32
        .size:           8
        .value_kind:     global_buffer
      - .offset:         40
        .size:           16
        .value_kind:     by_value
      - .actual_access:  read_only
        .address_space:  global
        .offset:         56
        .size:           8
        .value_kind:     global_buffer
      - .actual_access:  read_only
        .address_space:  global
        .offset:         64
        .size:           8
        .value_kind:     global_buffer
      - .actual_access:  read_only
        .address_space:  global
        .offset:         72
        .size:           8
        .value_kind:     global_buffer
      - .actual_access:  read_only
        .address_space:  global
        .offset:         80
        .size:           8
        .value_kind:     global_buffer
      - .offset:         88
        .size:           16
        .value_kind:     by_value
      - .address_space:  global
        .offset:         104
        .size:           8
        .value_kind:     global_buffer
      - .offset:         112
        .size:           4
        .value_kind:     by_value
      - .offset:         116
        .size:           1
        .value_kind:     by_value
    .group_segment_fixed_size: 16384
    .kernarg_segment_align: 8
    .kernarg_segment_size: 120
    .language:       OpenCL C
    .language_version:
      - 2
      - 0
    .max_flat_workgroup_size: 256
    .name:           _ZN9rocsparseL22csrmvn_adaptive_kernelIlid21rocsparse_complex_numIdES2_S2_EEvbT_PKS3_PjPKT0_NS_24const_host_device_scalarIT4_EES5_S9_PKT1_PKT2_SC_PT3_21rocsparse_index_base_b
    .private_segment_fixed_size: 0
    .sgpr_count:     60
    .sgpr_spill_count: 0
    .symbol:         _ZN9rocsparseL22csrmvn_adaptive_kernelIlid21rocsparse_complex_numIdES2_S2_EEvbT_PKS3_PjPKT0_NS_24const_host_device_scalarIT4_EES5_S9_PKT1_PKT2_SC_PT3_21rocsparse_index_base_b.kd
    .uniform_work_group_size: 1
    .uses_dynamic_stack: false
    .vgpr_count:     46
    .vgpr_spill_count: 0
    .wavefront_size: 64
  - .args:
      - .offset:         0
        .size:           1
        .value_kind:     by_value
      - .offset:         8
        .size:           8
        .value_kind:     by_value
      - .offset:         16
        .size:           8
        .value_kind:     by_value
      - .actual_access:  read_only
        .address_space:  global
        .offset:         24
        .size:           8
        .value_kind:     global_buffer
      - .offset:         32
        .size:           16
        .value_kind:     by_value
      - .actual_access:  read_only
        .address_space:  global
        .offset:         48
        .size:           8
        .value_kind:     global_buffer
      - .actual_access:  read_only
        .address_space:  global
        .offset:         56
        .size:           8
        .value_kind:     global_buffer
      - .actual_access:  read_only
        .address_space:  global
        .offset:         64
        .size:           8
        .value_kind:     global_buffer
      - .actual_access:  read_only
        .address_space:  global
        .offset:         72
        .size:           8
        .value_kind:     global_buffer
      - .offset:         80
        .size:           16
        .value_kind:     by_value
      - .address_space:  global
        .offset:         96
        .size:           8
        .value_kind:     global_buffer
      - .offset:         104
        .size:           4
        .value_kind:     by_value
      - .offset:         108
        .size:           1
        .value_kind:     by_value
      - .offset:         112
        .size:           4
        .value_kind:     hidden_block_count_x
      - .offset:         116
        .size:           4
        .value_kind:     hidden_block_count_y
      - .offset:         120
        .size:           4
        .value_kind:     hidden_block_count_z
      - .offset:         124
        .size:           2
        .value_kind:     hidden_group_size_x
      - .offset:         126
        .size:           2
        .value_kind:     hidden_group_size_y
      - .offset:         128
        .size:           2
        .value_kind:     hidden_group_size_z
      - .offset:         130
        .size:           2
        .value_kind:     hidden_remainder_x
      - .offset:         132
        .size:           2
        .value_kind:     hidden_remainder_y
      - .offset:         134
        .size:           2
        .value_kind:     hidden_remainder_z
      - .offset:         152
        .size:           8
        .value_kind:     hidden_global_offset_x
      - .offset:         160
        .size:           8
        .value_kind:     hidden_global_offset_y
      - .offset:         168
        .size:           8
        .value_kind:     hidden_global_offset_z
      - .offset:         176
        .size:           2
        .value_kind:     hidden_grid_dims
      - .offset:         232
        .size:           4
        .value_kind:     hidden_dynamic_lds_size
    .group_segment_fixed_size: 16384
    .kernarg_segment_align: 8
    .kernarg_segment_size: 368
    .language:       OpenCL C
    .language_version:
      - 2
      - 0
    .max_flat_workgroup_size: 256
    .name:           _ZN9rocsparseL27csrmvn_symm_adaptive_kernelIlid21rocsparse_complex_numIdES2_S2_EEvbT_S3_PKS3_NS_24const_host_device_scalarIT4_EES5_PKT0_PKT1_PKT2_S8_PT3_21rocsparse_index_base_b
    .private_segment_fixed_size: 0
    .sgpr_count:     56
    .sgpr_spill_count: 0
    .symbol:         _ZN9rocsparseL27csrmvn_symm_adaptive_kernelIlid21rocsparse_complex_numIdES2_S2_EEvbT_S3_PKS3_NS_24const_host_device_scalarIT4_EES5_PKT0_PKT1_PKT2_S8_PT3_21rocsparse_index_base_b.kd
    .uniform_work_group_size: 1
    .uses_dynamic_stack: false
    .vgpr_count:     30
    .vgpr_spill_count: 0
    .wavefront_size: 64
  - .args:
      - .offset:         0
        .size:           1
        .value_kind:     by_value
      - .offset:         8
        .size:           8
        .value_kind:     by_value
      - .actual_access:  read_only
        .address_space:  global
        .offset:         16
        .size:           8
        .value_kind:     global_buffer
      - .offset:         24
        .size:           16
        .value_kind:     by_value
      - .actual_access:  read_only
        .address_space:  global
        .offset:         40
        .size:           8
        .value_kind:     global_buffer
      - .actual_access:  read_only
        .address_space:  global
        .offset:         48
        .size:           8
        .value_kind:     global_buffer
      - .actual_access:  read_only
        .address_space:  global
        .offset:         56
        .size:           8
        .value_kind:     global_buffer
      - .actual_access:  read_only
        .address_space:  global
        .offset:         64
        .size:           8
        .value_kind:     global_buffer
      - .offset:         72
        .size:           16
        .value_kind:     by_value
      - .address_space:  global
        .offset:         88
        .size:           8
        .value_kind:     global_buffer
      - .offset:         96
        .size:           4
        .value_kind:     by_value
      - .offset:         100
        .size:           1
        .value_kind:     by_value
    .group_segment_fixed_size: 16384
    .kernarg_segment_align: 8
    .kernarg_segment_size: 104
    .language:       OpenCL C
    .language_version:
      - 2
      - 0
    .max_flat_workgroup_size: 256
    .name:           _ZL33csrmvn_symm_large_adaptive_kernelIlid21rocsparse_complex_numIdES1_S1_EvbT_PKS2_N9rocsparse24const_host_device_scalarIT4_EES4_PKT0_PKT1_PKT2_S8_PT3_21rocsparse_index_base_b
    .private_segment_fixed_size: 0
    .sgpr_count:     44
    .sgpr_spill_count: 0
    .symbol:         _ZL33csrmvn_symm_large_adaptive_kernelIlid21rocsparse_complex_numIdES1_S1_EvbT_PKS2_N9rocsparse24const_host_device_scalarIT4_EES4_PKT0_PKT1_PKT2_S8_PT3_21rocsparse_index_base_b.kd
    .uniform_work_group_size: 1
    .uses_dynamic_stack: false
    .vgpr_count:     29
    .vgpr_spill_count: 0
    .wavefront_size: 64
  - .args:
      - .offset:         0
        .size:           1
        .value_kind:     by_value
      - .offset:         8
        .size:           8
        .value_kind:     by_value
      - .actual_access:  read_only
        .address_space:  global
        .offset:         16
        .size:           8
        .value_kind:     global_buffer
      - .address_space:  global
        .offset:         24
        .size:           8
        .value_kind:     global_buffer
      - .actual_access:  read_only
        .address_space:  global
        .offset:         32
        .size:           8
        .value_kind:     global_buffer
      - .offset:         40
        .size:           16
        .value_kind:     by_value
      - .actual_access:  read_only
        .address_space:  global
        .offset:         56
        .size:           8
        .value_kind:     global_buffer
      - .actual_access:  read_only
        .address_space:  global
        .offset:         64
        .size:           8
        .value_kind:     global_buffer
      - .actual_access:  read_only
        .address_space:  global
        .offset:         72
        .size:           8
        .value_kind:     global_buffer
      - .actual_access:  read_only
        .address_space:  global
        .offset:         80
        .size:           8
        .value_kind:     global_buffer
      - .offset:         88
        .size:           16
        .value_kind:     by_value
      - .address_space:  global
        .offset:         104
        .size:           8
        .value_kind:     global_buffer
      - .offset:         112
        .size:           4
        .value_kind:     by_value
      - .offset:         116
        .size:           1
        .value_kind:     by_value
    .group_segment_fixed_size: 16384
    .kernarg_segment_align: 8
    .kernarg_segment_size: 120
    .language:       OpenCL C
    .language_version:
      - 2
      - 0
    .max_flat_workgroup_size: 256
    .name:           _ZN9rocsparseL22csrmvn_adaptive_kernelIlld21rocsparse_complex_numIdES2_S2_EEvbT_PKS3_PjPKT0_NS_24const_host_device_scalarIT4_EES5_S9_PKT1_PKT2_SC_PT3_21rocsparse_index_base_b
    .private_segment_fixed_size: 0
    .sgpr_count:     60
    .sgpr_spill_count: 0
    .symbol:         _ZN9rocsparseL22csrmvn_adaptive_kernelIlld21rocsparse_complex_numIdES2_S2_EEvbT_PKS3_PjPKT0_NS_24const_host_device_scalarIT4_EES5_S9_PKT1_PKT2_SC_PT3_21rocsparse_index_base_b.kd
    .uniform_work_group_size: 1
    .uses_dynamic_stack: false
    .vgpr_count:     46
    .vgpr_spill_count: 0
    .wavefront_size: 64
  - .args:
      - .offset:         0
        .size:           1
        .value_kind:     by_value
      - .offset:         8
        .size:           8
        .value_kind:     by_value
      - .offset:         16
        .size:           8
        .value_kind:     by_value
      - .actual_access:  read_only
        .address_space:  global
        .offset:         24
        .size:           8
        .value_kind:     global_buffer
      - .offset:         32
        .size:           16
        .value_kind:     by_value
      - .actual_access:  read_only
        .address_space:  global
        .offset:         48
        .size:           8
        .value_kind:     global_buffer
      - .actual_access:  read_only
        .address_space:  global
        .offset:         56
        .size:           8
        .value_kind:     global_buffer
      - .actual_access:  read_only
        .address_space:  global
        .offset:         64
        .size:           8
        .value_kind:     global_buffer
      - .actual_access:  read_only
        .address_space:  global
        .offset:         72
        .size:           8
        .value_kind:     global_buffer
      - .offset:         80
        .size:           16
        .value_kind:     by_value
      - .address_space:  global
        .offset:         96
        .size:           8
        .value_kind:     global_buffer
      - .offset:         104
        .size:           4
        .value_kind:     by_value
      - .offset:         108
        .size:           1
        .value_kind:     by_value
      - .offset:         112
        .size:           4
        .value_kind:     hidden_block_count_x
      - .offset:         116
        .size:           4
        .value_kind:     hidden_block_count_y
      - .offset:         120
        .size:           4
        .value_kind:     hidden_block_count_z
      - .offset:         124
        .size:           2
        .value_kind:     hidden_group_size_x
      - .offset:         126
        .size:           2
        .value_kind:     hidden_group_size_y
      - .offset:         128
        .size:           2
        .value_kind:     hidden_group_size_z
      - .offset:         130
        .size:           2
        .value_kind:     hidden_remainder_x
      - .offset:         132
        .size:           2
        .value_kind:     hidden_remainder_y
      - .offset:         134
        .size:           2
        .value_kind:     hidden_remainder_z
      - .offset:         152
        .size:           8
        .value_kind:     hidden_global_offset_x
      - .offset:         160
        .size:           8
        .value_kind:     hidden_global_offset_y
      - .offset:         168
        .size:           8
        .value_kind:     hidden_global_offset_z
      - .offset:         176
        .size:           2
        .value_kind:     hidden_grid_dims
      - .offset:         232
        .size:           4
        .value_kind:     hidden_dynamic_lds_size
    .group_segment_fixed_size: 16384
    .kernarg_segment_align: 8
    .kernarg_segment_size: 368
    .language:       OpenCL C
    .language_version:
      - 2
      - 0
    .max_flat_workgroup_size: 256
    .name:           _ZN9rocsparseL27csrmvn_symm_adaptive_kernelIlld21rocsparse_complex_numIdES2_S2_EEvbT_S3_PKS3_NS_24const_host_device_scalarIT4_EES5_PKT0_PKT1_PKT2_S8_PT3_21rocsparse_index_base_b
    .private_segment_fixed_size: 0
    .sgpr_count:     56
    .sgpr_spill_count: 0
    .symbol:         _ZN9rocsparseL27csrmvn_symm_adaptive_kernelIlld21rocsparse_complex_numIdES2_S2_EEvbT_S3_PKS3_NS_24const_host_device_scalarIT4_EES5_PKT0_PKT1_PKT2_S8_PT3_21rocsparse_index_base_b.kd
    .uniform_work_group_size: 1
    .uses_dynamic_stack: false
    .vgpr_count:     33
    .vgpr_spill_count: 0
    .wavefront_size: 64
  - .args:
      - .offset:         0
        .size:           1
        .value_kind:     by_value
      - .offset:         8
        .size:           8
        .value_kind:     by_value
      - .actual_access:  read_only
        .address_space:  global
        .offset:         16
        .size:           8
        .value_kind:     global_buffer
      - .offset:         24
        .size:           16
        .value_kind:     by_value
      - .actual_access:  read_only
        .address_space:  global
        .offset:         40
        .size:           8
        .value_kind:     global_buffer
      - .actual_access:  read_only
        .address_space:  global
        .offset:         48
        .size:           8
        .value_kind:     global_buffer
      - .actual_access:  read_only
        .address_space:  global
        .offset:         56
        .size:           8
        .value_kind:     global_buffer
      - .actual_access:  read_only
        .address_space:  global
        .offset:         64
        .size:           8
        .value_kind:     global_buffer
      - .offset:         72
        .size:           16
        .value_kind:     by_value
      - .address_space:  global
        .offset:         88
        .size:           8
        .value_kind:     global_buffer
      - .offset:         96
        .size:           4
        .value_kind:     by_value
      - .offset:         100
        .size:           1
        .value_kind:     by_value
    .group_segment_fixed_size: 16384
    .kernarg_segment_align: 8
    .kernarg_segment_size: 104
    .language:       OpenCL C
    .language_version:
      - 2
      - 0
    .max_flat_workgroup_size: 256
    .name:           _ZL33csrmvn_symm_large_adaptive_kernelIlld21rocsparse_complex_numIdES1_S1_EvbT_PKS2_N9rocsparse24const_host_device_scalarIT4_EES4_PKT0_PKT1_PKT2_S8_PT3_21rocsparse_index_base_b
    .private_segment_fixed_size: 0
    .sgpr_count:     44
    .sgpr_spill_count: 0
    .symbol:         _ZL33csrmvn_symm_large_adaptive_kernelIlld21rocsparse_complex_numIdES1_S1_EvbT_PKS2_N9rocsparse24const_host_device_scalarIT4_EES4_PKT0_PKT1_PKT2_S8_PT3_21rocsparse_index_base_b.kd
    .uniform_work_group_size: 1
    .uses_dynamic_stack: false
    .vgpr_count:     29
    .vgpr_spill_count: 0
    .wavefront_size: 64
  - .args:
      - .offset:         0
        .size:           1
        .value_kind:     by_value
      - .offset:         4
        .size:           4
        .value_kind:     by_value
      - .actual_access:  read_only
        .address_space:  global
        .offset:         8
        .size:           8
        .value_kind:     global_buffer
      - .address_space:  global
        .offset:         16
        .size:           8
        .value_kind:     global_buffer
      - .actual_access:  read_only
        .address_space:  global
        .offset:         24
        .size:           8
        .value_kind:     global_buffer
      - .offset:         32
        .size:           16
        .value_kind:     by_value
      - .actual_access:  read_only
        .address_space:  global
        .offset:         48
        .size:           8
        .value_kind:     global_buffer
      - .actual_access:  read_only
        .address_space:  global
        .offset:         56
        .size:           8
        .value_kind:     global_buffer
      - .actual_access:  read_only
        .address_space:  global
        .offset:         64
        .size:           8
        .value_kind:     global_buffer
      - .actual_access:  read_only
        .address_space:  global
        .offset:         72
        .size:           8
        .value_kind:     global_buffer
      - .offset:         80
        .size:           16
        .value_kind:     by_value
      - .address_space:  global
        .offset:         96
        .size:           8
        .value_kind:     global_buffer
      - .offset:         104
        .size:           4
        .value_kind:     by_value
      - .offset:         108
        .size:           1
        .value_kind:     by_value
    .group_segment_fixed_size: 16384
    .kernarg_segment_align: 8
    .kernarg_segment_size: 112
    .language:       OpenCL C
    .language_version:
      - 2
      - 0
    .max_flat_workgroup_size: 256
    .name:           _ZN9rocsparseL22csrmvn_adaptive_kernelIii21rocsparse_complex_numIfES1_IdES3_S3_EEvbT_PKS4_PjPKT0_NS_24const_host_device_scalarIT4_EES6_SA_PKT1_PKT2_SD_PT3_21rocsparse_index_base_b
    .private_segment_fixed_size: 0
    .sgpr_count:     61
    .sgpr_spill_count: 0
    .symbol:         _ZN9rocsparseL22csrmvn_adaptive_kernelIii21rocsparse_complex_numIfES1_IdES3_S3_EEvbT_PKS4_PjPKT0_NS_24const_host_device_scalarIT4_EES6_SA_PKT1_PKT2_SD_PT3_21rocsparse_index_base_b.kd
    .uniform_work_group_size: 1
    .uses_dynamic_stack: false
    .vgpr_count:     50
    .vgpr_spill_count: 0
    .wavefront_size: 64
  - .args:
      - .offset:         0
        .size:           1
        .value_kind:     by_value
      - .offset:         4
        .size:           4
        .value_kind:     by_value
      - .offset:         8
        .size:           4
        .value_kind:     by_value
      - .actual_access:  read_only
        .address_space:  global
        .offset:         16
        .size:           8
        .value_kind:     global_buffer
      - .offset:         24
        .size:           16
        .value_kind:     by_value
      - .actual_access:  read_only
        .address_space:  global
        .offset:         40
        .size:           8
        .value_kind:     global_buffer
      - .actual_access:  read_only
        .address_space:  global
        .offset:         48
        .size:           8
        .value_kind:     global_buffer
      - .actual_access:  read_only
        .address_space:  global
        .offset:         56
        .size:           8
        .value_kind:     global_buffer
      - .actual_access:  read_only
        .address_space:  global
        .offset:         64
        .size:           8
        .value_kind:     global_buffer
      - .offset:         72
        .size:           16
        .value_kind:     by_value
      - .address_space:  global
        .offset:         88
        .size:           8
        .value_kind:     global_buffer
      - .offset:         96
        .size:           4
        .value_kind:     by_value
      - .offset:         100
        .size:           1
        .value_kind:     by_value
      - .offset:         104
        .size:           4
        .value_kind:     hidden_block_count_x
      - .offset:         108
        .size:           4
        .value_kind:     hidden_block_count_y
      - .offset:         112
        .size:           4
        .value_kind:     hidden_block_count_z
      - .offset:         116
        .size:           2
        .value_kind:     hidden_group_size_x
      - .offset:         118
        .size:           2
        .value_kind:     hidden_group_size_y
      - .offset:         120
        .size:           2
        .value_kind:     hidden_group_size_z
      - .offset:         122
        .size:           2
        .value_kind:     hidden_remainder_x
      - .offset:         124
        .size:           2
        .value_kind:     hidden_remainder_y
      - .offset:         126
        .size:           2
        .value_kind:     hidden_remainder_z
      - .offset:         144
        .size:           8
        .value_kind:     hidden_global_offset_x
      - .offset:         152
        .size:           8
        .value_kind:     hidden_global_offset_y
      - .offset:         160
        .size:           8
        .value_kind:     hidden_global_offset_z
      - .offset:         168
        .size:           2
        .value_kind:     hidden_grid_dims
      - .offset:         224
        .size:           4
        .value_kind:     hidden_dynamic_lds_size
    .group_segment_fixed_size: 16384
    .kernarg_segment_align: 8
    .kernarg_segment_size: 360
    .language:       OpenCL C
    .language_version:
      - 2
      - 0
    .max_flat_workgroup_size: 256
    .name:           _ZN9rocsparseL27csrmvn_symm_adaptive_kernelIii21rocsparse_complex_numIfES1_IdES3_S3_EEvbT_S4_PKS4_NS_24const_host_device_scalarIT4_EES6_PKT0_PKT1_PKT2_S9_PT3_21rocsparse_index_base_b
    .private_segment_fixed_size: 0
    .sgpr_count:     46
    .sgpr_spill_count: 0
    .symbol:         _ZN9rocsparseL27csrmvn_symm_adaptive_kernelIii21rocsparse_complex_numIfES1_IdES3_S3_EEvbT_S4_PKS4_NS_24const_host_device_scalarIT4_EES6_PKT0_PKT1_PKT2_S9_PT3_21rocsparse_index_base_b.kd
    .uniform_work_group_size: 1
    .uses_dynamic_stack: false
    .vgpr_count:     43
    .vgpr_spill_count: 0
    .wavefront_size: 64
  - .args:
      - .offset:         0
        .size:           1
        .value_kind:     by_value
      - .offset:         4
        .size:           4
        .value_kind:     by_value
      - .actual_access:  read_only
        .address_space:  global
        .offset:         8
        .size:           8
        .value_kind:     global_buffer
      - .offset:         16
        .size:           16
        .value_kind:     by_value
      - .actual_access:  read_only
        .address_space:  global
        .offset:         32
        .size:           8
        .value_kind:     global_buffer
      - .actual_access:  read_only
        .address_space:  global
        .offset:         40
        .size:           8
        .value_kind:     global_buffer
      - .actual_access:  read_only
        .address_space:  global
        .offset:         48
        .size:           8
        .value_kind:     global_buffer
      - .actual_access:  read_only
        .address_space:  global
        .offset:         56
        .size:           8
        .value_kind:     global_buffer
      - .offset:         64
        .size:           16
        .value_kind:     by_value
      - .address_space:  global
        .offset:         80
        .size:           8
        .value_kind:     global_buffer
      - .offset:         88
        .size:           4
        .value_kind:     by_value
      - .offset:         92
        .size:           1
        .value_kind:     by_value
    .group_segment_fixed_size: 16384
    .kernarg_segment_align: 8
    .kernarg_segment_size: 96
    .language:       OpenCL C
    .language_version:
      - 2
      - 0
    .max_flat_workgroup_size: 256
    .name:           _ZL33csrmvn_symm_large_adaptive_kernelIii21rocsparse_complex_numIfES0_IdES2_S2_EvbT_PKS3_N9rocsparse24const_host_device_scalarIT4_EES5_PKT0_PKT1_PKT2_S9_PT3_21rocsparse_index_base_b
    .private_segment_fixed_size: 0
    .sgpr_count:     40
    .sgpr_spill_count: 0
    .symbol:         _ZL33csrmvn_symm_large_adaptive_kernelIii21rocsparse_complex_numIfES0_IdES2_S2_EvbT_PKS3_N9rocsparse24const_host_device_scalarIT4_EES5_PKT0_PKT1_PKT2_S9_PT3_21rocsparse_index_base_b.kd
    .uniform_work_group_size: 1
    .uses_dynamic_stack: false
    .vgpr_count:     25
    .vgpr_spill_count: 0
    .wavefront_size: 64
  - .args:
      - .offset:         0
        .size:           1
        .value_kind:     by_value
      - .offset:         8
        .size:           8
        .value_kind:     by_value
      - .actual_access:  read_only
        .address_space:  global
        .offset:         16
        .size:           8
        .value_kind:     global_buffer
      - .address_space:  global
        .offset:         24
        .size:           8
        .value_kind:     global_buffer
      - .actual_access:  read_only
        .address_space:  global
        .offset:         32
        .size:           8
        .value_kind:     global_buffer
      - .offset:         40
        .size:           16
        .value_kind:     by_value
      - .actual_access:  read_only
        .address_space:  global
        .offset:         56
        .size:           8
        .value_kind:     global_buffer
      - .actual_access:  read_only
        .address_space:  global
        .offset:         64
        .size:           8
        .value_kind:     global_buffer
      - .actual_access:  read_only
        .address_space:  global
        .offset:         72
        .size:           8
        .value_kind:     global_buffer
      - .actual_access:  read_only
        .address_space:  global
        .offset:         80
        .size:           8
        .value_kind:     global_buffer
      - .offset:         88
        .size:           16
        .value_kind:     by_value
      - .address_space:  global
        .offset:         104
        .size:           8
        .value_kind:     global_buffer
      - .offset:         112
        .size:           4
        .value_kind:     by_value
      - .offset:         116
        .size:           1
        .value_kind:     by_value
    .group_segment_fixed_size: 16384
    .kernarg_segment_align: 8
    .kernarg_segment_size: 120
    .language:       OpenCL C
    .language_version:
      - 2
      - 0
    .max_flat_workgroup_size: 256
    .name:           _ZN9rocsparseL22csrmvn_adaptive_kernelIli21rocsparse_complex_numIfES1_IdES3_S3_EEvbT_PKS4_PjPKT0_NS_24const_host_device_scalarIT4_EES6_SA_PKT1_PKT2_SD_PT3_21rocsparse_index_base_b
    .private_segment_fixed_size: 0
    .sgpr_count:     68
    .sgpr_spill_count: 0
    .symbol:         _ZN9rocsparseL22csrmvn_adaptive_kernelIli21rocsparse_complex_numIfES1_IdES3_S3_EEvbT_PKS4_PjPKT0_NS_24const_host_device_scalarIT4_EES6_SA_PKT1_PKT2_SD_PT3_21rocsparse_index_base_b.kd
    .uniform_work_group_size: 1
    .uses_dynamic_stack: false
    .vgpr_count:     50
    .vgpr_spill_count: 0
    .wavefront_size: 64
  - .args:
      - .offset:         0
        .size:           1
        .value_kind:     by_value
      - .offset:         8
        .size:           8
        .value_kind:     by_value
      - .offset:         16
        .size:           8
        .value_kind:     by_value
      - .actual_access:  read_only
        .address_space:  global
        .offset:         24
        .size:           8
        .value_kind:     global_buffer
      - .offset:         32
        .size:           16
        .value_kind:     by_value
      - .actual_access:  read_only
        .address_space:  global
        .offset:         48
        .size:           8
        .value_kind:     global_buffer
      - .actual_access:  read_only
        .address_space:  global
        .offset:         56
        .size:           8
        .value_kind:     global_buffer
      - .actual_access:  read_only
        .address_space:  global
        .offset:         64
        .size:           8
        .value_kind:     global_buffer
      - .actual_access:  read_only
        .address_space:  global
        .offset:         72
        .size:           8
        .value_kind:     global_buffer
      - .offset:         80
        .size:           16
        .value_kind:     by_value
      - .address_space:  global
        .offset:         96
        .size:           8
        .value_kind:     global_buffer
      - .offset:         104
        .size:           4
        .value_kind:     by_value
      - .offset:         108
        .size:           1
        .value_kind:     by_value
      - .offset:         112
        .size:           4
        .value_kind:     hidden_block_count_x
      - .offset:         116
        .size:           4
        .value_kind:     hidden_block_count_y
      - .offset:         120
        .size:           4
        .value_kind:     hidden_block_count_z
      - .offset:         124
        .size:           2
        .value_kind:     hidden_group_size_x
      - .offset:         126
        .size:           2
        .value_kind:     hidden_group_size_y
      - .offset:         128
        .size:           2
        .value_kind:     hidden_group_size_z
      - .offset:         130
        .size:           2
        .value_kind:     hidden_remainder_x
      - .offset:         132
        .size:           2
        .value_kind:     hidden_remainder_y
      - .offset:         134
        .size:           2
        .value_kind:     hidden_remainder_z
      - .offset:         152
        .size:           8
        .value_kind:     hidden_global_offset_x
      - .offset:         160
        .size:           8
        .value_kind:     hidden_global_offset_y
      - .offset:         168
        .size:           8
        .value_kind:     hidden_global_offset_z
      - .offset:         176
        .size:           2
        .value_kind:     hidden_grid_dims
      - .offset:         232
        .size:           4
        .value_kind:     hidden_dynamic_lds_size
    .group_segment_fixed_size: 16384
    .kernarg_segment_align: 8
    .kernarg_segment_size: 368
    .language:       OpenCL C
    .language_version:
      - 2
      - 0
    .max_flat_workgroup_size: 256
    .name:           _ZN9rocsparseL27csrmvn_symm_adaptive_kernelIli21rocsparse_complex_numIfES1_IdES3_S3_EEvbT_S4_PKS4_NS_24const_host_device_scalarIT4_EES6_PKT0_PKT1_PKT2_S9_PT3_21rocsparse_index_base_b
    .private_segment_fixed_size: 0
    .sgpr_count:     56
    .sgpr_spill_count: 0
    .symbol:         _ZN9rocsparseL27csrmvn_symm_adaptive_kernelIli21rocsparse_complex_numIfES1_IdES3_S3_EEvbT_S4_PKS4_NS_24const_host_device_scalarIT4_EES6_PKT0_PKT1_PKT2_S9_PT3_21rocsparse_index_base_b.kd
    .uniform_work_group_size: 1
    .uses_dynamic_stack: false
    .vgpr_count:     43
    .vgpr_spill_count: 0
    .wavefront_size: 64
  - .args:
      - .offset:         0
        .size:           1
        .value_kind:     by_value
      - .offset:         8
        .size:           8
        .value_kind:     by_value
      - .actual_access:  read_only
        .address_space:  global
        .offset:         16
        .size:           8
        .value_kind:     global_buffer
      - .offset:         24
        .size:           16
        .value_kind:     by_value
      - .actual_access:  read_only
        .address_space:  global
        .offset:         40
        .size:           8
        .value_kind:     global_buffer
      - .actual_access:  read_only
        .address_space:  global
        .offset:         48
        .size:           8
        .value_kind:     global_buffer
      - .actual_access:  read_only
        .address_space:  global
        .offset:         56
        .size:           8
        .value_kind:     global_buffer
      - .actual_access:  read_only
        .address_space:  global
        .offset:         64
        .size:           8
        .value_kind:     global_buffer
      - .offset:         72
        .size:           16
        .value_kind:     by_value
      - .address_space:  global
        .offset:         88
        .size:           8
        .value_kind:     global_buffer
      - .offset:         96
        .size:           4
        .value_kind:     by_value
      - .offset:         100
        .size:           1
        .value_kind:     by_value
    .group_segment_fixed_size: 16384
    .kernarg_segment_align: 8
    .kernarg_segment_size: 104
    .language:       OpenCL C
    .language_version:
      - 2
      - 0
    .max_flat_workgroup_size: 256
    .name:           _ZL33csrmvn_symm_large_adaptive_kernelIli21rocsparse_complex_numIfES0_IdES2_S2_EvbT_PKS3_N9rocsparse24const_host_device_scalarIT4_EES5_PKT0_PKT1_PKT2_S9_PT3_21rocsparse_index_base_b
    .private_segment_fixed_size: 0
    .sgpr_count:     48
    .sgpr_spill_count: 0
    .symbol:         _ZL33csrmvn_symm_large_adaptive_kernelIli21rocsparse_complex_numIfES0_IdES2_S2_EvbT_PKS3_N9rocsparse24const_host_device_scalarIT4_EES5_PKT0_PKT1_PKT2_S9_PT3_21rocsparse_index_base_b.kd
    .uniform_work_group_size: 1
    .uses_dynamic_stack: false
    .vgpr_count:     29
    .vgpr_spill_count: 0
    .wavefront_size: 64
  - .args:
      - .offset:         0
        .size:           1
        .value_kind:     by_value
      - .offset:         8
        .size:           8
        .value_kind:     by_value
      - .actual_access:  read_only
        .address_space:  global
        .offset:         16
        .size:           8
        .value_kind:     global_buffer
      - .address_space:  global
        .offset:         24
        .size:           8
        .value_kind:     global_buffer
      - .actual_access:  read_only
        .address_space:  global
        .offset:         32
        .size:           8
        .value_kind:     global_buffer
      - .offset:         40
        .size:           16
        .value_kind:     by_value
      - .actual_access:  read_only
        .address_space:  global
        .offset:         56
        .size:           8
        .value_kind:     global_buffer
      - .actual_access:  read_only
        .address_space:  global
        .offset:         64
        .size:           8
        .value_kind:     global_buffer
      - .actual_access:  read_only
        .address_space:  global
        .offset:         72
        .size:           8
        .value_kind:     global_buffer
      - .actual_access:  read_only
        .address_space:  global
        .offset:         80
        .size:           8
        .value_kind:     global_buffer
      - .offset:         88
        .size:           16
        .value_kind:     by_value
      - .address_space:  global
        .offset:         104
        .size:           8
        .value_kind:     global_buffer
      - .offset:         112
        .size:           4
        .value_kind:     by_value
      - .offset:         116
        .size:           1
        .value_kind:     by_value
    .group_segment_fixed_size: 16384
    .kernarg_segment_align: 8
    .kernarg_segment_size: 120
    .language:       OpenCL C
    .language_version:
      - 2
      - 0
    .max_flat_workgroup_size: 256
    .name:           _ZN9rocsparseL22csrmvn_adaptive_kernelIll21rocsparse_complex_numIfES1_IdES3_S3_EEvbT_PKS4_PjPKT0_NS_24const_host_device_scalarIT4_EES6_SA_PKT1_PKT2_SD_PT3_21rocsparse_index_base_b
    .private_segment_fixed_size: 0
    .sgpr_count:     68
    .sgpr_spill_count: 0
    .symbol:         _ZN9rocsparseL22csrmvn_adaptive_kernelIll21rocsparse_complex_numIfES1_IdES3_S3_EEvbT_PKS4_PjPKT0_NS_24const_host_device_scalarIT4_EES6_SA_PKT1_PKT2_SD_PT3_21rocsparse_index_base_b.kd
    .uniform_work_group_size: 1
    .uses_dynamic_stack: false
    .vgpr_count:     50
    .vgpr_spill_count: 0
    .wavefront_size: 64
  - .args:
      - .offset:         0
        .size:           1
        .value_kind:     by_value
      - .offset:         8
        .size:           8
        .value_kind:     by_value
      - .offset:         16
        .size:           8
        .value_kind:     by_value
      - .actual_access:  read_only
        .address_space:  global
        .offset:         24
        .size:           8
        .value_kind:     global_buffer
      - .offset:         32
        .size:           16
        .value_kind:     by_value
      - .actual_access:  read_only
        .address_space:  global
        .offset:         48
        .size:           8
        .value_kind:     global_buffer
      - .actual_access:  read_only
        .address_space:  global
        .offset:         56
        .size:           8
        .value_kind:     global_buffer
      - .actual_access:  read_only
        .address_space:  global
        .offset:         64
        .size:           8
        .value_kind:     global_buffer
      - .actual_access:  read_only
        .address_space:  global
        .offset:         72
        .size:           8
        .value_kind:     global_buffer
      - .offset:         80
        .size:           16
        .value_kind:     by_value
      - .address_space:  global
        .offset:         96
        .size:           8
        .value_kind:     global_buffer
      - .offset:         104
        .size:           4
        .value_kind:     by_value
      - .offset:         108
        .size:           1
        .value_kind:     by_value
      - .offset:         112
        .size:           4
        .value_kind:     hidden_block_count_x
      - .offset:         116
        .size:           4
        .value_kind:     hidden_block_count_y
      - .offset:         120
        .size:           4
        .value_kind:     hidden_block_count_z
      - .offset:         124
        .size:           2
        .value_kind:     hidden_group_size_x
      - .offset:         126
        .size:           2
        .value_kind:     hidden_group_size_y
      - .offset:         128
        .size:           2
        .value_kind:     hidden_group_size_z
      - .offset:         130
        .size:           2
        .value_kind:     hidden_remainder_x
      - .offset:         132
        .size:           2
        .value_kind:     hidden_remainder_y
      - .offset:         134
        .size:           2
        .value_kind:     hidden_remainder_z
      - .offset:         152
        .size:           8
        .value_kind:     hidden_global_offset_x
      - .offset:         160
        .size:           8
        .value_kind:     hidden_global_offset_y
      - .offset:         168
        .size:           8
        .value_kind:     hidden_global_offset_z
      - .offset:         176
        .size:           2
        .value_kind:     hidden_grid_dims
      - .offset:         232
        .size:           4
        .value_kind:     hidden_dynamic_lds_size
    .group_segment_fixed_size: 16384
    .kernarg_segment_align: 8
    .kernarg_segment_size: 368
    .language:       OpenCL C
    .language_version:
      - 2
      - 0
    .max_flat_workgroup_size: 256
    .name:           _ZN9rocsparseL27csrmvn_symm_adaptive_kernelIll21rocsparse_complex_numIfES1_IdES3_S3_EEvbT_S4_PKS4_NS_24const_host_device_scalarIT4_EES6_PKT0_PKT1_PKT2_S9_PT3_21rocsparse_index_base_b
    .private_segment_fixed_size: 0
    .sgpr_count:     56
    .sgpr_spill_count: 0
    .symbol:         _ZN9rocsparseL27csrmvn_symm_adaptive_kernelIll21rocsparse_complex_numIfES1_IdES3_S3_EEvbT_S4_PKS4_NS_24const_host_device_scalarIT4_EES6_PKT0_PKT1_PKT2_S9_PT3_21rocsparse_index_base_b.kd
    .uniform_work_group_size: 1
    .uses_dynamic_stack: false
    .vgpr_count:     43
    .vgpr_spill_count: 0
    .wavefront_size: 64
  - .args:
      - .offset:         0
        .size:           1
        .value_kind:     by_value
      - .offset:         8
        .size:           8
        .value_kind:     by_value
      - .actual_access:  read_only
        .address_space:  global
        .offset:         16
        .size:           8
        .value_kind:     global_buffer
      - .offset:         24
        .size:           16
        .value_kind:     by_value
      - .actual_access:  read_only
        .address_space:  global
        .offset:         40
        .size:           8
        .value_kind:     global_buffer
      - .actual_access:  read_only
        .address_space:  global
        .offset:         48
        .size:           8
        .value_kind:     global_buffer
      - .actual_access:  read_only
        .address_space:  global
        .offset:         56
        .size:           8
        .value_kind:     global_buffer
      - .actual_access:  read_only
        .address_space:  global
        .offset:         64
        .size:           8
        .value_kind:     global_buffer
      - .offset:         72
        .size:           16
        .value_kind:     by_value
      - .address_space:  global
        .offset:         88
        .size:           8
        .value_kind:     global_buffer
      - .offset:         96
        .size:           4
        .value_kind:     by_value
      - .offset:         100
        .size:           1
        .value_kind:     by_value
    .group_segment_fixed_size: 16384
    .kernarg_segment_align: 8
    .kernarg_segment_size: 104
    .language:       OpenCL C
    .language_version:
      - 2
      - 0
    .max_flat_workgroup_size: 256
    .name:           _ZL33csrmvn_symm_large_adaptive_kernelIll21rocsparse_complex_numIfES0_IdES2_S2_EvbT_PKS3_N9rocsparse24const_host_device_scalarIT4_EES5_PKT0_PKT1_PKT2_S9_PT3_21rocsparse_index_base_b
    .private_segment_fixed_size: 0
    .sgpr_count:     46
    .sgpr_spill_count: 0
    .symbol:         _ZL33csrmvn_symm_large_adaptive_kernelIll21rocsparse_complex_numIfES0_IdES2_S2_EvbT_PKS3_N9rocsparse24const_host_device_scalarIT4_EES5_PKT0_PKT1_PKT2_S9_PT3_21rocsparse_index_base_b.kd
    .uniform_work_group_size: 1
    .uses_dynamic_stack: false
    .vgpr_count:     29
    .vgpr_spill_count: 0
    .wavefront_size: 64
amdhsa.target:   amdgcn-amd-amdhsa--gfx906
amdhsa.version:
  - 1
  - 2
...

	.end_amdgpu_metadata
